;; amdgpu-corpus repo=ROCm/rocThrust kind=compiled arch=gfx1250 opt=O3
	.amdgcn_target "amdgcn-amd-amdhsa--gfx1250"
	.amdhsa_code_object_version 6
	.section	.text._ZN7rocprim17ROCPRIM_400000_NS6detail31init_lookback_scan_state_kernelINS1_19lookback_scan_stateIiLb0ELb1EEENS1_16block_id_wrapperIjLb0EEEEEvT_jT0_jPNS7_10value_typeE,"axG",@progbits,_ZN7rocprim17ROCPRIM_400000_NS6detail31init_lookback_scan_state_kernelINS1_19lookback_scan_stateIiLb0ELb1EEENS1_16block_id_wrapperIjLb0EEEEEvT_jT0_jPNS7_10value_typeE,comdat
	.protected	_ZN7rocprim17ROCPRIM_400000_NS6detail31init_lookback_scan_state_kernelINS1_19lookback_scan_stateIiLb0ELb1EEENS1_16block_id_wrapperIjLb0EEEEEvT_jT0_jPNS7_10value_typeE ; -- Begin function _ZN7rocprim17ROCPRIM_400000_NS6detail31init_lookback_scan_state_kernelINS1_19lookback_scan_stateIiLb0ELb1EEENS1_16block_id_wrapperIjLb0EEEEEvT_jT0_jPNS7_10value_typeE
	.globl	_ZN7rocprim17ROCPRIM_400000_NS6detail31init_lookback_scan_state_kernelINS1_19lookback_scan_stateIiLb0ELb1EEENS1_16block_id_wrapperIjLb0EEEEEvT_jT0_jPNS7_10value_typeE
	.p2align	8
	.type	_ZN7rocprim17ROCPRIM_400000_NS6detail31init_lookback_scan_state_kernelINS1_19lookback_scan_stateIiLb0ELb1EEENS1_16block_id_wrapperIjLb0EEEEEvT_jT0_jPNS7_10value_typeE,@function
_ZN7rocprim17ROCPRIM_400000_NS6detail31init_lookback_scan_state_kernelINS1_19lookback_scan_stateIiLb0ELb1EEENS1_16block_id_wrapperIjLb0EEEEEvT_jT0_jPNS7_10value_typeE: ; @_ZN7rocprim17ROCPRIM_400000_NS6detail31init_lookback_scan_state_kernelINS1_19lookback_scan_stateIiLb0ELb1EEENS1_16block_id_wrapperIjLb0EEEEEvT_jT0_jPNS7_10value_typeE
; %bb.0:
	s_clause 0x2
	s_load_b32 s7, s[0:1], 0x2c
	s_load_b96 s[4:6], s[0:1], 0x0
	s_load_b64 s[2:3], s[0:1], 0x18
	s_bfe_u32 s8, ttmp6, 0x4000c
	s_and_b32 s9, ttmp6, 15
	s_add_co_i32 s8, s8, 1
	s_getreg_b32 s10, hwreg(HW_REG_IB_STS2, 6, 4)
	s_mul_i32 s8, ttmp9, s8
	s_delay_alu instid0(SALU_CYCLE_1)
	s_add_co_i32 s9, s9, s8
	s_wait_kmcnt 0x0
	s_and_b32 s7, s7, 0xffff
	s_cmp_eq_u32 s10, 0
	s_cselect_b32 s8, ttmp9, s9
	s_cmp_eq_u64 s[2:3], 0
	v_mad_u32 v4, s8, s7, v0
	s_cbranch_scc1 .LBB0_7
; %bb.1:
	s_load_b32 s0, s[0:1], 0x10
	s_mov_b32 s7, exec_lo
	s_wait_kmcnt 0x0
	s_cmp_lt_u32 s0, s6
	s_cselect_b32 s1, s0, 0
	s_delay_alu instid0(VALU_DEP_1) | instid1(SALU_CYCLE_1)
	v_cmpx_eq_u32_e64 s1, v4
	s_cbranch_execz .LBB0_6
; %bb.2:
	s_add_co_i32 s0, s0, 32
	s_delay_alu instid0(SALU_CYCLE_1) | instskip(SKIP_3) | instid1(VALU_DEP_1)
	v_dual_mov_b32 v2, 0 :: v_dual_mov_b32 v0, s0
	global_load_b64 v[0:1], v0, s[4:5] scale_offset scope:SCOPE_DEV
	s_wait_loadcnt 0x0
	v_and_b32_e32 v3, 0xff, v1
	v_cmp_ne_u64_e32 vcc_lo, 0, v[2:3]
	s_cbranch_vccnz .LBB0_5
; %bb.3:
	s_mov_b32 s1, 0
	s_delay_alu instid0(SALU_CYCLE_1) | instskip(NEXT) | instid1(SALU_CYCLE_1)
	s_lshl_b64 s[0:1], s[0:1], 3
	s_add_nc_u64 s[0:1], s[4:5], s[0:1]
.LBB0_4:                                ; =>This Inner Loop Header: Depth=1
	global_load_b64 v[0:1], v2, s[0:1] scope:SCOPE_DEV
	s_wait_loadcnt 0x0
	v_and_b32_e32 v3, 0xff, v1
	s_delay_alu instid0(VALU_DEP_1)
	v_cmp_eq_u64_e32 vcc_lo, 0, v[2:3]
	s_cbranch_vccnz .LBB0_4
.LBB0_5:
	v_mov_b32_e32 v1, 0
	global_store_b32 v1, v0, s[2:3]
.LBB0_6:
	s_wait_xcnt 0x0
	s_or_b32 exec_lo, exec_lo, s7
.LBB0_7:
	s_delay_alu instid0(SALU_CYCLE_1) | instskip(NEXT) | instid1(VALU_DEP_1)
	s_mov_b32 s0, exec_lo
	v_cmpx_gt_u32_e64 s6, v4
	s_cbranch_execz .LBB0_9
; %bb.8:
	v_mov_b64_e32 v[0:1], 0
	v_add_nc_u32_e32 v2, 32, v4
	global_store_b64 v2, v[0:1], s[4:5] scale_offset
.LBB0_9:
	s_wait_xcnt 0x0
	s_or_b32 exec_lo, exec_lo, s0
	s_delay_alu instid0(SALU_CYCLE_1)
	s_mov_b32 s0, exec_lo
	v_cmpx_gt_u32_e32 32, v4
	s_cbranch_execz .LBB0_11
; %bb.10:
	v_mov_b64_e32 v[0:1], 0xff00000000
	global_store_b64 v4, v[0:1], s[4:5] scale_offset
.LBB0_11:
	s_endpgm
	.section	.rodata,"a",@progbits
	.p2align	6, 0x0
	.amdhsa_kernel _ZN7rocprim17ROCPRIM_400000_NS6detail31init_lookback_scan_state_kernelINS1_19lookback_scan_stateIiLb0ELb1EEENS1_16block_id_wrapperIjLb0EEEEEvT_jT0_jPNS7_10value_typeE
		.amdhsa_group_segment_fixed_size 0
		.amdhsa_private_segment_fixed_size 0
		.amdhsa_kernarg_size 288
		.amdhsa_user_sgpr_count 2
		.amdhsa_user_sgpr_dispatch_ptr 0
		.amdhsa_user_sgpr_queue_ptr 0
		.amdhsa_user_sgpr_kernarg_segment_ptr 1
		.amdhsa_user_sgpr_dispatch_id 0
		.amdhsa_user_sgpr_kernarg_preload_length 0
		.amdhsa_user_sgpr_kernarg_preload_offset 0
		.amdhsa_user_sgpr_private_segment_size 0
		.amdhsa_wavefront_size32 1
		.amdhsa_uses_dynamic_stack 0
		.amdhsa_enable_private_segment 0
		.amdhsa_system_sgpr_workgroup_id_x 1
		.amdhsa_system_sgpr_workgroup_id_y 0
		.amdhsa_system_sgpr_workgroup_id_z 0
		.amdhsa_system_sgpr_workgroup_info 0
		.amdhsa_system_vgpr_workitem_id 0
		.amdhsa_next_free_vgpr 5
		.amdhsa_next_free_sgpr 11
		.amdhsa_named_barrier_count 0
		.amdhsa_reserve_vcc 1
		.amdhsa_float_round_mode_32 0
		.amdhsa_float_round_mode_16_64 0
		.amdhsa_float_denorm_mode_32 3
		.amdhsa_float_denorm_mode_16_64 3
		.amdhsa_fp16_overflow 0
		.amdhsa_memory_ordered 1
		.amdhsa_forward_progress 1
		.amdhsa_inst_pref_size 3
		.amdhsa_round_robin_scheduling 0
		.amdhsa_exception_fp_ieee_invalid_op 0
		.amdhsa_exception_fp_denorm_src 0
		.amdhsa_exception_fp_ieee_div_zero 0
		.amdhsa_exception_fp_ieee_overflow 0
		.amdhsa_exception_fp_ieee_underflow 0
		.amdhsa_exception_fp_ieee_inexact 0
		.amdhsa_exception_int_div_zero 0
	.end_amdhsa_kernel
	.section	.text._ZN7rocprim17ROCPRIM_400000_NS6detail31init_lookback_scan_state_kernelINS1_19lookback_scan_stateIiLb0ELb1EEENS1_16block_id_wrapperIjLb0EEEEEvT_jT0_jPNS7_10value_typeE,"axG",@progbits,_ZN7rocprim17ROCPRIM_400000_NS6detail31init_lookback_scan_state_kernelINS1_19lookback_scan_stateIiLb0ELb1EEENS1_16block_id_wrapperIjLb0EEEEEvT_jT0_jPNS7_10value_typeE,comdat
.Lfunc_end0:
	.size	_ZN7rocprim17ROCPRIM_400000_NS6detail31init_lookback_scan_state_kernelINS1_19lookback_scan_stateIiLb0ELb1EEENS1_16block_id_wrapperIjLb0EEEEEvT_jT0_jPNS7_10value_typeE, .Lfunc_end0-_ZN7rocprim17ROCPRIM_400000_NS6detail31init_lookback_scan_state_kernelINS1_19lookback_scan_stateIiLb0ELb1EEENS1_16block_id_wrapperIjLb0EEEEEvT_jT0_jPNS7_10value_typeE
                                        ; -- End function
	.set _ZN7rocprim17ROCPRIM_400000_NS6detail31init_lookback_scan_state_kernelINS1_19lookback_scan_stateIiLb0ELb1EEENS1_16block_id_wrapperIjLb0EEEEEvT_jT0_jPNS7_10value_typeE.num_vgpr, 5
	.set _ZN7rocprim17ROCPRIM_400000_NS6detail31init_lookback_scan_state_kernelINS1_19lookback_scan_stateIiLb0ELb1EEENS1_16block_id_wrapperIjLb0EEEEEvT_jT0_jPNS7_10value_typeE.num_agpr, 0
	.set _ZN7rocprim17ROCPRIM_400000_NS6detail31init_lookback_scan_state_kernelINS1_19lookback_scan_stateIiLb0ELb1EEENS1_16block_id_wrapperIjLb0EEEEEvT_jT0_jPNS7_10value_typeE.numbered_sgpr, 11
	.set _ZN7rocprim17ROCPRIM_400000_NS6detail31init_lookback_scan_state_kernelINS1_19lookback_scan_stateIiLb0ELb1EEENS1_16block_id_wrapperIjLb0EEEEEvT_jT0_jPNS7_10value_typeE.num_named_barrier, 0
	.set _ZN7rocprim17ROCPRIM_400000_NS6detail31init_lookback_scan_state_kernelINS1_19lookback_scan_stateIiLb0ELb1EEENS1_16block_id_wrapperIjLb0EEEEEvT_jT0_jPNS7_10value_typeE.private_seg_size, 0
	.set _ZN7rocprim17ROCPRIM_400000_NS6detail31init_lookback_scan_state_kernelINS1_19lookback_scan_stateIiLb0ELb1EEENS1_16block_id_wrapperIjLb0EEEEEvT_jT0_jPNS7_10value_typeE.uses_vcc, 1
	.set _ZN7rocprim17ROCPRIM_400000_NS6detail31init_lookback_scan_state_kernelINS1_19lookback_scan_stateIiLb0ELb1EEENS1_16block_id_wrapperIjLb0EEEEEvT_jT0_jPNS7_10value_typeE.uses_flat_scratch, 0
	.set _ZN7rocprim17ROCPRIM_400000_NS6detail31init_lookback_scan_state_kernelINS1_19lookback_scan_stateIiLb0ELb1EEENS1_16block_id_wrapperIjLb0EEEEEvT_jT0_jPNS7_10value_typeE.has_dyn_sized_stack, 0
	.set _ZN7rocprim17ROCPRIM_400000_NS6detail31init_lookback_scan_state_kernelINS1_19lookback_scan_stateIiLb0ELb1EEENS1_16block_id_wrapperIjLb0EEEEEvT_jT0_jPNS7_10value_typeE.has_recursion, 0
	.set _ZN7rocprim17ROCPRIM_400000_NS6detail31init_lookback_scan_state_kernelINS1_19lookback_scan_stateIiLb0ELb1EEENS1_16block_id_wrapperIjLb0EEEEEvT_jT0_jPNS7_10value_typeE.has_indirect_call, 0
	.section	.AMDGPU.csdata,"",@progbits
; Kernel info:
; codeLenInByte = 356
; TotalNumSgprs: 13
; NumVgprs: 5
; ScratchSize: 0
; MemoryBound: 0
; FloatMode: 240
; IeeeMode: 1
; LDSByteSize: 0 bytes/workgroup (compile time only)
; SGPRBlocks: 0
; VGPRBlocks: 0
; NumSGPRsForWavesPerEU: 13
; NumVGPRsForWavesPerEU: 5
; NamedBarCnt: 0
; Occupancy: 16
; WaveLimiterHint : 0
; COMPUTE_PGM_RSRC2:SCRATCH_EN: 0
; COMPUTE_PGM_RSRC2:USER_SGPR: 2
; COMPUTE_PGM_RSRC2:TRAP_HANDLER: 0
; COMPUTE_PGM_RSRC2:TGID_X_EN: 1
; COMPUTE_PGM_RSRC2:TGID_Y_EN: 0
; COMPUTE_PGM_RSRC2:TGID_Z_EN: 0
; COMPUTE_PGM_RSRC2:TIDIG_COMP_CNT: 0
	.section	.text._ZN7rocprim17ROCPRIM_400000_NS6detail17trampoline_kernelINS0_14default_configENS1_20scan_config_selectorIiEEZZNS1_9scan_implILNS1_25lookback_scan_determinismE0ELb0ELb0ES3_N6thrust23THRUST_200600_302600_NS6detail15normal_iteratorINS9_10device_ptrIiEEEESE_iNS9_4plusIvEEiEEDaPvRmT3_T4_T5_mT6_P12ihipStream_tbENKUlT_T0_E_clISt17integral_constantIbLb0EESU_EEDaSP_SQ_EUlSP_E_NS1_11comp_targetILNS1_3genE0ELNS1_11target_archE4294967295ELNS1_3gpuE0ELNS1_3repE0EEENS1_30default_config_static_selectorELNS0_4arch9wavefront6targetE0EEEvT1_,"axG",@progbits,_ZN7rocprim17ROCPRIM_400000_NS6detail17trampoline_kernelINS0_14default_configENS1_20scan_config_selectorIiEEZZNS1_9scan_implILNS1_25lookback_scan_determinismE0ELb0ELb0ES3_N6thrust23THRUST_200600_302600_NS6detail15normal_iteratorINS9_10device_ptrIiEEEESE_iNS9_4plusIvEEiEEDaPvRmT3_T4_T5_mT6_P12ihipStream_tbENKUlT_T0_E_clISt17integral_constantIbLb0EESU_EEDaSP_SQ_EUlSP_E_NS1_11comp_targetILNS1_3genE0ELNS1_11target_archE4294967295ELNS1_3gpuE0ELNS1_3repE0EEENS1_30default_config_static_selectorELNS0_4arch9wavefront6targetE0EEEvT1_,comdat
	.protected	_ZN7rocprim17ROCPRIM_400000_NS6detail17trampoline_kernelINS0_14default_configENS1_20scan_config_selectorIiEEZZNS1_9scan_implILNS1_25lookback_scan_determinismE0ELb0ELb0ES3_N6thrust23THRUST_200600_302600_NS6detail15normal_iteratorINS9_10device_ptrIiEEEESE_iNS9_4plusIvEEiEEDaPvRmT3_T4_T5_mT6_P12ihipStream_tbENKUlT_T0_E_clISt17integral_constantIbLb0EESU_EEDaSP_SQ_EUlSP_E_NS1_11comp_targetILNS1_3genE0ELNS1_11target_archE4294967295ELNS1_3gpuE0ELNS1_3repE0EEENS1_30default_config_static_selectorELNS0_4arch9wavefront6targetE0EEEvT1_ ; -- Begin function _ZN7rocprim17ROCPRIM_400000_NS6detail17trampoline_kernelINS0_14default_configENS1_20scan_config_selectorIiEEZZNS1_9scan_implILNS1_25lookback_scan_determinismE0ELb0ELb0ES3_N6thrust23THRUST_200600_302600_NS6detail15normal_iteratorINS9_10device_ptrIiEEEESE_iNS9_4plusIvEEiEEDaPvRmT3_T4_T5_mT6_P12ihipStream_tbENKUlT_T0_E_clISt17integral_constantIbLb0EESU_EEDaSP_SQ_EUlSP_E_NS1_11comp_targetILNS1_3genE0ELNS1_11target_archE4294967295ELNS1_3gpuE0ELNS1_3repE0EEENS1_30default_config_static_selectorELNS0_4arch9wavefront6targetE0EEEvT1_
	.globl	_ZN7rocprim17ROCPRIM_400000_NS6detail17trampoline_kernelINS0_14default_configENS1_20scan_config_selectorIiEEZZNS1_9scan_implILNS1_25lookback_scan_determinismE0ELb0ELb0ES3_N6thrust23THRUST_200600_302600_NS6detail15normal_iteratorINS9_10device_ptrIiEEEESE_iNS9_4plusIvEEiEEDaPvRmT3_T4_T5_mT6_P12ihipStream_tbENKUlT_T0_E_clISt17integral_constantIbLb0EESU_EEDaSP_SQ_EUlSP_E_NS1_11comp_targetILNS1_3genE0ELNS1_11target_archE4294967295ELNS1_3gpuE0ELNS1_3repE0EEENS1_30default_config_static_selectorELNS0_4arch9wavefront6targetE0EEEvT1_
	.p2align	8
	.type	_ZN7rocprim17ROCPRIM_400000_NS6detail17trampoline_kernelINS0_14default_configENS1_20scan_config_selectorIiEEZZNS1_9scan_implILNS1_25lookback_scan_determinismE0ELb0ELb0ES3_N6thrust23THRUST_200600_302600_NS6detail15normal_iteratorINS9_10device_ptrIiEEEESE_iNS9_4plusIvEEiEEDaPvRmT3_T4_T5_mT6_P12ihipStream_tbENKUlT_T0_E_clISt17integral_constantIbLb0EESU_EEDaSP_SQ_EUlSP_E_NS1_11comp_targetILNS1_3genE0ELNS1_11target_archE4294967295ELNS1_3gpuE0ELNS1_3repE0EEENS1_30default_config_static_selectorELNS0_4arch9wavefront6targetE0EEEvT1_,@function
_ZN7rocprim17ROCPRIM_400000_NS6detail17trampoline_kernelINS0_14default_configENS1_20scan_config_selectorIiEEZZNS1_9scan_implILNS1_25lookback_scan_determinismE0ELb0ELb0ES3_N6thrust23THRUST_200600_302600_NS6detail15normal_iteratorINS9_10device_ptrIiEEEESE_iNS9_4plusIvEEiEEDaPvRmT3_T4_T5_mT6_P12ihipStream_tbENKUlT_T0_E_clISt17integral_constantIbLb0EESU_EEDaSP_SQ_EUlSP_E_NS1_11comp_targetILNS1_3genE0ELNS1_11target_archE4294967295ELNS1_3gpuE0ELNS1_3repE0EEENS1_30default_config_static_selectorELNS0_4arch9wavefront6targetE0EEEvT1_: ; @_ZN7rocprim17ROCPRIM_400000_NS6detail17trampoline_kernelINS0_14default_configENS1_20scan_config_selectorIiEEZZNS1_9scan_implILNS1_25lookback_scan_determinismE0ELb0ELb0ES3_N6thrust23THRUST_200600_302600_NS6detail15normal_iteratorINS9_10device_ptrIiEEEESE_iNS9_4plusIvEEiEEDaPvRmT3_T4_T5_mT6_P12ihipStream_tbENKUlT_T0_E_clISt17integral_constantIbLb0EESU_EEDaSP_SQ_EUlSP_E_NS1_11comp_targetILNS1_3genE0ELNS1_11target_archE4294967295ELNS1_3gpuE0ELNS1_3repE0EEENS1_30default_config_static_selectorELNS0_4arch9wavefront6targetE0EEEvT1_
; %bb.0:
	s_clause 0x1
	s_load_b256 s[4:11], s[0:1], 0x0
	s_load_b32 s2, s[0:1], 0x30
	s_bfe_u32 s13, ttmp6, 0x4000c
	s_and_b32 s12, ttmp6, 15
	s_add_co_i32 s13, s13, 1
	s_getreg_b32 s14, hwreg(HW_REG_IB_STS2, 6, 4)
	s_mul_i32 s16, ttmp9, s13
	s_mov_b32 s3, 0
	s_add_co_i32 s12, s12, s16
	s_mov_b32 s13, s3
	v_lshlrev_b32_e32 v30, 2, v0
	s_mov_b32 s15, -1
	s_wait_kmcnt 0x0
	s_lshl_b64 s[6:7], s[6:7], 2
	s_cmp_eq_u32 s14, 0
	s_add_nc_u64 s[4:5], s[4:5], s[6:7]
	s_cselect_b32 s14, ttmp9, s12
	s_add_co_i32 s2, s2, -1
	s_mul_i32 s12, s14, 0xe00
	s_cmp_lg_u32 s14, s2
	s_mulk_i32 s2, 0xe00
	s_cselect_b32 s24, -1, 0
	s_lshl_b64 s[20:21], s[12:13], 2
	s_and_b32 vcc_lo, exec_lo, s24
	s_add_nc_u64 s[12:13], s[4:5], s[20:21]
	s_cbranch_vccz .LBB1_2
; %bb.1:
	s_clause 0xd
	flat_load_b32 v1, v0, s[12:13] scale_offset
	flat_load_b32 v2, v0, s[12:13] offset:1024 scale_offset
	flat_load_b32 v3, v0, s[12:13] offset:2048 scale_offset
	;; [unrolled: 1-line block ×13, first 2 shown]
	s_mov_b32 s15, s3
	s_wait_loadcnt_dscnt 0xc0c
	ds_store_2addr_stride64_b32 v30, v1, v2 offset1:4
	s_wait_loadcnt_dscnt 0xa0b
	ds_store_2addr_stride64_b32 v30, v3, v4 offset0:8 offset1:12
	s_wait_loadcnt_dscnt 0x80a
	ds_store_2addr_stride64_b32 v30, v5, v6 offset0:16 offset1:20
	;; [unrolled: 2-line block ×6, first 2 shown]
	s_wait_dscnt 0x0
	s_barrier_signal -1
	s_barrier_wait -1
.LBB1_2:
	s_load_b64 s[22:23], s[0:1], 0x28
	s_sub_nc_u64 s[4:5], s[10:11], s[2:3]
	s_and_not1_b32 vcc_lo, exec_lo, s15
	v_cmp_gt_u32_e64 s2, s4, v0
	s_cbranch_vccnz .LBB1_32
; %bb.3:
	v_mov_b32_e32 v1, 0
	flat_load_b32 v1, v1, s[12:13]
	s_wait_loadcnt_dscnt 0x0
	v_dual_mov_b32 v2, v1 :: v_dual_mov_b32 v3, v1
	v_dual_mov_b32 v4, v1 :: v_dual_mov_b32 v5, v1
	;; [unrolled: 1-line block ×6, first 2 shown]
	v_mov_b64_e32 v[16:17], v[14:15]
	s_delay_alu instid0(VALU_DEP_2) | instskip(NEXT) | instid1(VALU_DEP_4)
	v_mov_b64_e32 v[14:15], v[12:13]
	v_mov_b64_e32 v[12:13], v[10:11]
	;; [unrolled: 1-line block ×7, first 2 shown]
	s_and_saveexec_b32 s3, s2
	s_cbranch_execz .LBB1_5
; %bb.4:
	flat_load_b32 v18, v0, s[12:13] scale_offset
	v_dual_mov_b32 v2, v1 :: v_dual_mov_b32 v3, v1
	v_dual_mov_b32 v4, v1 :: v_dual_mov_b32 v5, v1
	;; [unrolled: 1-line block ×6, first 2 shown]
	v_mov_b64_e32 v[16:17], v[14:15]
	s_delay_alu instid0(VALU_DEP_2) | instskip(NEXT) | instid1(VALU_DEP_4)
	v_mov_b64_e32 v[14:15], v[12:13]
	v_mov_b64_e32 v[12:13], v[10:11]
	;; [unrolled: 1-line block ×7, first 2 shown]
	s_wait_loadcnt_dscnt 0x0
	v_mov_b32_e32 v1, v18
.LBB1_5:
	s_or_b32 exec_lo, exec_lo, s3
	v_or_b32_e32 v2, 0x100, v0
	s_mov_b32 s2, exec_lo
	s_delay_alu instid0(VALU_DEP_1)
	v_cmpx_gt_u32_e64 s4, v2
	s_cbranch_execz .LBB1_7
; %bb.6:
	flat_load_b32 v3, v0, s[12:13] offset:1024 scale_offset
.LBB1_7:
	s_wait_xcnt 0x0
	s_or_b32 exec_lo, exec_lo, s2
	v_or_b32_e32 v2, 0x200, v0
	s_mov_b32 s2, exec_lo
	s_delay_alu instid0(VALU_DEP_1)
	v_cmpx_gt_u32_e64 s4, v2
	s_cbranch_execz .LBB1_9
; %bb.8:
	flat_load_b32 v4, v0, s[12:13] offset:2048 scale_offset
.LBB1_9:
	s_wait_xcnt 0x0
	;; [unrolled: 10-line block ×13, first 2 shown]
	s_or_b32 exec_lo, exec_lo, s2
	s_wait_loadcnt_dscnt 0x0
	ds_store_2addr_stride64_b32 v30, v1, v3 offset1:4
	ds_store_2addr_stride64_b32 v30, v4, v5 offset0:8 offset1:12
	ds_store_2addr_stride64_b32 v30, v6, v7 offset0:16 offset1:20
	;; [unrolled: 1-line block ×6, first 2 shown]
	s_wait_dscnt 0x0
	s_barrier_signal -1
	s_barrier_wait -1
.LBB1_32:
	v_mul_u32_u24_e32 v1, 56, v0
	v_mbcnt_lo_u32_b32 v31, -1, 0
	v_dual_lshrrev_b32 v34, 5, v0 :: v_dual_bitop2_b32 v35, 31, v0 bitop3:0x54
	ds_load_2addr_b64 v[2:5], v1 offset1:1
	ds_load_2addr_b64 v[26:29], v1 offset0:2 offset1:3
	ds_load_2addr_b64 v[22:25], v1 offset0:4 offset1:5
	ds_load_b64 v[32:33], v1 offset:48
	s_cmp_lg_u32 s14, 0
	s_wait_dscnt 0x0
	s_barrier_signal -1
	s_barrier_wait -1
	s_cbranch_scc0 .LBB1_54
; %bb.33:
	v_dual_add_nc_u32 v6, v3, v2 :: v_dual_bitop2_b32 v7, 15, v31 bitop3:0x40
	s_mov_b32 s2, exec_lo
	s_delay_alu instid0(VALU_DEP_1) | instskip(NEXT) | instid1(VALU_DEP_2)
	v_add3_u32 v6, v6, v4, v5
	v_cmp_ne_u32_e32 vcc_lo, 0, v7
	s_delay_alu instid0(VALU_DEP_2) | instskip(NEXT) | instid1(VALU_DEP_1)
	v_add3_u32 v6, v6, v26, v27
	v_add3_u32 v6, v6, v28, v29
	s_delay_alu instid0(VALU_DEP_1) | instskip(NEXT) | instid1(VALU_DEP_1)
	v_add3_u32 v6, v6, v22, v23
	v_add3_u32 v6, v6, v24, v25
	s_delay_alu instid0(VALU_DEP_1) | instskip(NEXT) | instid1(VALU_DEP_1)
	v_add3_u32 v6, v6, v32, v33
	v_mov_b32_dpp v8, v6 row_shr:1 row_mask:0xf bank_mask:0xf
	s_delay_alu instid0(VALU_DEP_1) | instskip(SKIP_1) | instid1(VALU_DEP_2)
	v_cndmask_b32_e32 v8, 0, v8, vcc_lo
	v_cmp_lt_u32_e32 vcc_lo, 1, v7
	v_add_nc_u32_e32 v6, v8, v6
	s_delay_alu instid0(VALU_DEP_1) | instskip(NEXT) | instid1(VALU_DEP_1)
	v_mov_b32_dpp v8, v6 row_shr:2 row_mask:0xf bank_mask:0xf
	v_cndmask_b32_e32 v8, 0, v8, vcc_lo
	v_cmp_lt_u32_e32 vcc_lo, 3, v7
	s_delay_alu instid0(VALU_DEP_2) | instskip(NEXT) | instid1(VALU_DEP_1)
	v_add_nc_u32_e32 v6, v6, v8
	v_mov_b32_dpp v8, v6 row_shr:4 row_mask:0xf bank_mask:0xf
	s_delay_alu instid0(VALU_DEP_1) | instskip(SKIP_1) | instid1(VALU_DEP_2)
	v_cndmask_b32_e32 v8, 0, v8, vcc_lo
	v_cmp_lt_u32_e32 vcc_lo, 7, v7
	v_add_nc_u32_e32 v6, v6, v8
	s_delay_alu instid0(VALU_DEP_1) | instskip(NEXT) | instid1(VALU_DEP_1)
	v_mov_b32_dpp v8, v6 row_shr:8 row_mask:0xf bank_mask:0xf
	v_cndmask_b32_e32 v7, 0, v8, vcc_lo
	v_bfe_i32 v8, v31, 4, 1
	s_delay_alu instid0(VALU_DEP_2) | instskip(SKIP_3) | instid1(VALU_DEP_1)
	v_add_nc_u32_e32 v6, v6, v7
	ds_swizzle_b32 v7, v6 offset:swizzle(BROADCAST,32,15)
	s_wait_dscnt 0x0
	v_and_b32_e32 v7, v8, v7
	v_add_nc_u32_e32 v6, v6, v7
	v_cmpx_eq_u32_e64 v0, v35
; %bb.34:
	v_lshlrev_b32_e32 v7, 2, v34
	ds_store_b32 v7, v6
; %bb.35:
	s_or_b32 exec_lo, exec_lo, s2
	s_delay_alu instid0(SALU_CYCLE_1)
	s_mov_b32 s2, exec_lo
	s_wait_dscnt 0x0
	s_barrier_signal -1
	s_barrier_wait -1
	v_cmpx_gt_u32_e32 8, v0
	s_cbranch_execz .LBB1_37
; %bb.36:
	ds_load_b32 v7, v30
	s_wait_dscnt 0x0
	v_mov_b32_dpp v9, v7 row_shr:1 row_mask:0xf bank_mask:0xf
	v_and_b32_e32 v8, 7, v31
	s_delay_alu instid0(VALU_DEP_1) | instskip(NEXT) | instid1(VALU_DEP_3)
	v_cmp_ne_u32_e32 vcc_lo, 0, v8
	v_cndmask_b32_e32 v9, 0, v9, vcc_lo
	v_cmp_lt_u32_e32 vcc_lo, 1, v8
	s_delay_alu instid0(VALU_DEP_2) | instskip(NEXT) | instid1(VALU_DEP_1)
	v_add_nc_u32_e32 v7, v9, v7
	v_mov_b32_dpp v9, v7 row_shr:2 row_mask:0xf bank_mask:0xf
	s_delay_alu instid0(VALU_DEP_1) | instskip(SKIP_1) | instid1(VALU_DEP_2)
	v_cndmask_b32_e32 v9, 0, v9, vcc_lo
	v_cmp_lt_u32_e32 vcc_lo, 3, v8
	v_add_nc_u32_e32 v7, v7, v9
	s_delay_alu instid0(VALU_DEP_1) | instskip(NEXT) | instid1(VALU_DEP_1)
	v_mov_b32_dpp v9, v7 row_shr:4 row_mask:0xf bank_mask:0xf
	v_cndmask_b32_e32 v8, 0, v9, vcc_lo
	s_delay_alu instid0(VALU_DEP_1)
	v_add_nc_u32_e32 v7, v7, v8
	ds_store_b32 v30, v7
.LBB1_37:
	s_or_b32 exec_lo, exec_lo, s2
	s_delay_alu instid0(SALU_CYCLE_1)
	s_mov_b32 s3, exec_lo
	v_cmp_gt_u32_e32 vcc_lo, 32, v0
	s_wait_dscnt 0x0
	s_barrier_signal -1
	s_barrier_wait -1
                                        ; implicit-def: $vgpr14
	v_cmpx_lt_u32_e32 31, v0
	s_cbranch_execz .LBB1_39
; %bb.38:
	v_lshl_add_u32 v7, v34, 2, -4
	ds_load_b32 v14, v7
	s_wait_dscnt 0x0
	v_add_nc_u32_e32 v6, v14, v6
.LBB1_39:
	s_or_b32 exec_lo, exec_lo, s3
	v_sub_co_u32 v7, s2, v31, 1
	s_delay_alu instid0(VALU_DEP_1) | instskip(NEXT) | instid1(VALU_DEP_1)
	v_cmp_gt_i32_e64 s3, 0, v7
	v_cndmask_b32_e64 v7, v7, v31, s3
	s_delay_alu instid0(VALU_DEP_1)
	v_lshlrev_b32_e32 v7, 2, v7
	ds_bpermute_b32 v15, v7, v6
	s_and_saveexec_b32 s3, vcc_lo
	s_cbranch_execz .LBB1_59
; %bb.40:
	v_mov_b32_e32 v13, 0
	ds_load_b32 v6, v13 offset:28
	s_and_saveexec_b32 s10, s2
	s_cbranch_execz .LBB1_42
; %bb.41:
	s_add_co_i32 s11, s14, 32
	s_delay_alu instid0(SALU_CYCLE_1)
	v_dual_mov_b32 v7, 1 :: v_dual_mov_b32 v8, s11
	s_wait_xcnt 0x0
	s_wait_dscnt 0x0
	s_wait_kmcnt 0x0
	global_store_b64 v8, v[6:7], s[22:23] scale_offset scope:SCOPE_DEV
.LBB1_42:
	s_wait_xcnt 0x0
	s_or_b32 exec_lo, exec_lo, s10
	v_xad_u32 v8, v31, -1, s14
	s_mov_b32 s11, 0
	s_mov_b32 s10, exec_lo
	s_delay_alu instid0(VALU_DEP_1)
	v_add_nc_u32_e32 v12, 32, v8
	s_wait_kmcnt 0x0
	global_load_b64 v[10:11], v12, s[22:23] scale_offset scope:SCOPE_DEV
	s_wait_loadcnt 0x0
	v_and_b32_e32 v7, 0xff, v11
	s_wait_xcnt 0x0
	s_delay_alu instid0(VALU_DEP_1)
	v_cmpx_eq_u16_e32 0, v7
	s_cbranch_execz .LBB1_46
; %bb.43:
	v_lshl_add_u64 v[12:13], v[12:13], 3, s[22:23]
.LBB1_44:                               ; =>This Inner Loop Header: Depth=1
	global_load_b64 v[10:11], v[12:13], off scope:SCOPE_DEV
	s_wait_loadcnt 0x0
	v_and_b32_e32 v7, 0xff, v11
	s_delay_alu instid0(VALU_DEP_1)
	v_cmp_ne_u16_e32 vcc_lo, 0, v7
	s_or_b32 s11, vcc_lo, s11
	s_wait_xcnt 0x0
	s_and_not1_b32 exec_lo, exec_lo, s11
	s_cbranch_execnz .LBB1_44
; %bb.45:
	s_or_b32 exec_lo, exec_lo, s11
.LBB1_46:
	s_delay_alu instid0(SALU_CYCLE_1)
	s_or_b32 exec_lo, exec_lo, s10
	v_cmp_ne_u32_e32 vcc_lo, 31, v31
	v_and_b32_e32 v9, 0xff, v11
	v_lshlrev_b32_e64 v16, v31, -1
	v_lshl_or_b32 v38, v31, 2, 64
	v_add_nc_u32_e32 v18, 2, v31
	v_add_co_ci_u32_e64 v7, null, 0, v31, vcc_lo
	v_cmp_eq_u16_e32 vcc_lo, 2, v9
	v_dual_add_nc_u32 v20, 4, v31 :: v_dual_add_nc_u32 v37, 8, v31
	v_add_nc_u32_e32 v39, 16, v31
	v_and_or_b32 v9, vcc_lo, v16, 0x80000000
	v_cmp_gt_u32_e32 vcc_lo, 30, v31
	s_delay_alu instid0(VALU_DEP_2) | instskip(SKIP_1) | instid1(VALU_DEP_2)
	v_ctz_i32_b32_e32 v9, v9
	v_cndmask_b32_e64 v13, 0, 2, vcc_lo
	v_cmp_lt_u32_e32 vcc_lo, v31, v9
	v_lshlrev_b32_e32 v7, 2, v7
	s_delay_alu instid0(VALU_DEP_3) | instskip(SKIP_4) | instid1(VALU_DEP_2)
	v_add_lshl_u32 v17, v13, v31, 2
	ds_bpermute_b32 v12, v7, v10
	s_wait_dscnt 0x0
	v_cndmask_b32_e32 v12, 0, v12, vcc_lo
	v_cmp_gt_u32_e32 vcc_lo, 28, v31
	v_add_nc_u32_e32 v10, v12, v10
	v_cndmask_b32_e64 v13, 0, 4, vcc_lo
	v_cmp_le_u32_e32 vcc_lo, v18, v9
	ds_bpermute_b32 v12, v17, v10
	v_add_lshl_u32 v19, v13, v31, 2
	s_wait_dscnt 0x0
	v_cndmask_b32_e32 v12, 0, v12, vcc_lo
	v_cmp_gt_u32_e32 vcc_lo, 24, v31
	v_cndmask_b32_e64 v13, 0, 8, vcc_lo
	v_cmp_le_u32_e32 vcc_lo, v20, v9
	s_delay_alu instid0(VALU_DEP_4) | instskip(NEXT) | instid1(VALU_DEP_3)
	v_add_nc_u32_e32 v10, v10, v12
	v_add_lshl_u32 v21, v13, v31, 2
	ds_bpermute_b32 v12, v19, v10
	s_wait_dscnt 0x0
	v_cndmask_b32_e32 v12, 0, v12, vcc_lo
	v_cmp_le_u32_e32 vcc_lo, v37, v9
	s_delay_alu instid0(VALU_DEP_2) | instskip(SKIP_4) | instid1(VALU_DEP_2)
	v_add_nc_u32_e32 v10, v10, v12
	ds_bpermute_b32 v12, v21, v10
	s_wait_dscnt 0x0
	v_cndmask_b32_e32 v12, 0, v12, vcc_lo
	v_cmp_le_u32_e32 vcc_lo, v39, v9
	v_add_nc_u32_e32 v10, v10, v12
	ds_bpermute_b32 v12, v38, v10
	s_wait_dscnt 0x0
	v_cndmask_b32_e32 v9, 0, v12, vcc_lo
	s_delay_alu instid0(VALU_DEP_1)
	v_dual_mov_b32 v9, 0 :: v_dual_add_nc_u32 v10, v10, v9
	s_branch .LBB1_50
.LBB1_47:                               ;   in Loop: Header=BB1_50 Depth=1
	s_or_b32 exec_lo, exec_lo, s11
.LBB1_48:                               ;   in Loop: Header=BB1_50 Depth=1
	s_delay_alu instid0(SALU_CYCLE_1)
	s_or_b32 exec_lo, exec_lo, s10
	v_and_b32_e32 v12, 0xff, v11
	ds_bpermute_b32 v13, v7, v10
	v_subrev_nc_u32_e32 v8, 32, v8
	s_mov_b32 s10, 0
	v_cmp_eq_u16_e32 vcc_lo, 2, v12
	v_and_or_b32 v12, vcc_lo, v16, 0x80000000
	s_delay_alu instid0(VALU_DEP_1) | instskip(NEXT) | instid1(VALU_DEP_1)
	v_ctz_i32_b32_e32 v12, v12
	v_cmp_lt_u32_e32 vcc_lo, v31, v12
	s_wait_dscnt 0x0
	v_cndmask_b32_e32 v13, 0, v13, vcc_lo
	v_cmp_le_u32_e32 vcc_lo, v18, v12
	s_delay_alu instid0(VALU_DEP_2) | instskip(SKIP_4) | instid1(VALU_DEP_2)
	v_add_nc_u32_e32 v10, v13, v10
	ds_bpermute_b32 v13, v17, v10
	s_wait_dscnt 0x0
	v_cndmask_b32_e32 v13, 0, v13, vcc_lo
	v_cmp_le_u32_e32 vcc_lo, v20, v12
	v_add_nc_u32_e32 v10, v10, v13
	ds_bpermute_b32 v13, v19, v10
	s_wait_dscnt 0x0
	v_cndmask_b32_e32 v13, 0, v13, vcc_lo
	v_cmp_le_u32_e32 vcc_lo, v37, v12
	s_delay_alu instid0(VALU_DEP_2) | instskip(SKIP_4) | instid1(VALU_DEP_2)
	v_add_nc_u32_e32 v10, v10, v13
	ds_bpermute_b32 v13, v21, v10
	s_wait_dscnt 0x0
	v_cndmask_b32_e32 v13, 0, v13, vcc_lo
	v_cmp_le_u32_e32 vcc_lo, v39, v12
	v_add_nc_u32_e32 v10, v10, v13
	ds_bpermute_b32 v13, v38, v10
	s_wait_dscnt 0x0
	v_cndmask_b32_e32 v12, 0, v13, vcc_lo
	s_delay_alu instid0(VALU_DEP_1)
	v_add3_u32 v10, v12, v36, v10
.LBB1_49:                               ;   in Loop: Header=BB1_50 Depth=1
	s_and_b32 vcc_lo, exec_lo, s10
	s_cbranch_vccnz .LBB1_55
.LBB1_50:                               ; =>This Loop Header: Depth=1
                                        ;     Child Loop BB1_53 Depth 2
	v_and_b32_e32 v11, 0xff, v11
	s_delay_alu instid0(VALU_DEP_2) | instskip(SKIP_1) | instid1(VALU_DEP_2)
	v_mov_b32_e32 v36, v10
	s_mov_b32 s10, -1
                                        ; implicit-def: $vgpr10
	v_cmp_ne_u16_e32 vcc_lo, 2, v11
                                        ; implicit-def: $vgpr11
	s_cmp_lg_u32 vcc_lo, exec_lo
	s_cbranch_scc1 .LBB1_49
; %bb.51:                               ;   in Loop: Header=BB1_50 Depth=1
	global_load_b64 v[10:11], v8, s[22:23] scale_offset scope:SCOPE_DEV
	s_mov_b32 s10, exec_lo
	s_wait_loadcnt 0x0
	v_and_b32_e32 v12, 0xff, v11
	s_wait_xcnt 0x0
	s_delay_alu instid0(VALU_DEP_1)
	v_cmpx_eq_u16_e32 0, v12
	s_cbranch_execz .LBB1_48
; %bb.52:                               ;   in Loop: Header=BB1_50 Depth=1
	v_lshl_add_u64 v[12:13], v[8:9], 3, s[22:23]
	s_mov_b32 s11, 0
.LBB1_53:                               ;   Parent Loop BB1_50 Depth=1
                                        ; =>  This Inner Loop Header: Depth=2
	global_load_b64 v[10:11], v[12:13], off scope:SCOPE_DEV
	s_wait_loadcnt 0x0
	v_and_b32_e32 v40, 0xff, v11
	s_delay_alu instid0(VALU_DEP_1)
	v_cmp_ne_u16_e32 vcc_lo, 0, v40
	s_or_b32 s11, vcc_lo, s11
	s_wait_xcnt 0x0
	s_and_not1_b32 exec_lo, exec_lo, s11
	s_cbranch_execnz .LBB1_53
	s_branch .LBB1_47
.LBB1_54:
                                        ; implicit-def: $vgpr6_vgpr7_vgpr8_vgpr9_vgpr10_vgpr11_vgpr12_vgpr13_vgpr14_vgpr15_vgpr16_vgpr17_vgpr18_vgpr19_vgpr20_vgpr21
	s_load_b256 s[12:19], s[0:1], 0x38
	s_cbranch_execnz .LBB1_60
	s_branch .LBB1_73
.LBB1_55:
	s_and_saveexec_b32 s10, s2
	s_cbranch_execz .LBB1_57
; %bb.56:
	s_add_co_i32 s11, s14, 32
	v_dual_mov_b32 v7, 2 :: v_dual_add_nc_u32 v6, v36, v6
	v_mov_b32_e32 v8, s11
	global_store_b64 v8, v[6:7], s[22:23] scale_offset scope:SCOPE_DEV
.LBB1_57:
	s_wait_xcnt 0x0
	s_or_b32 exec_lo, exec_lo, s10
	v_cmp_eq_u32_e32 vcc_lo, 0, v0
	s_and_b32 exec_lo, exec_lo, vcc_lo
; %bb.58:
	v_mov_b32_e32 v6, 0
	ds_store_b32 v6, v36 offset:28
.LBB1_59:
	s_or_b32 exec_lo, exec_lo, s3
	s_wait_dscnt 0x0
	v_dual_mov_b32 v6, 0 :: v_dual_cndmask_b32 v7, v15, v14, s2
	s_wait_storecnt 0x0
	s_barrier_signal -1
	s_barrier_wait -1
	ds_load_b32 v6, v6 offset:28
	v_cmp_ne_u32_e32 vcc_lo, 0, v0
	v_cndmask_b32_e32 v7, 0, v7, vcc_lo
	s_wait_dscnt 0x0
	s_delay_alu instid0(VALU_DEP_1) | instskip(NEXT) | instid1(VALU_DEP_1)
	v_add3_u32 v6, v7, v2, v6
	v_add_nc_u32_e32 v7, v6, v3
	s_delay_alu instid0(VALU_DEP_1) | instskip(NEXT) | instid1(VALU_DEP_1)
	v_add_nc_u32_e32 v8, v7, v4
	v_add_nc_u32_e32 v9, v8, v5
	s_delay_alu instid0(VALU_DEP_1) | instskip(NEXT) | instid1(VALU_DEP_1)
	v_add_nc_u32_e32 v10, v9, v26
	;; [unrolled: 3-line block ×6, first 2 shown]
	v_add_nc_u32_e32 v19, v18, v33
	s_load_b256 s[12:19], s[0:1], 0x38
	s_branch .LBB1_73
.LBB1_60:
	s_wait_xcnt 0x0
	v_cmp_eq_u32_e64 s0, 0, v0
	s_wait_kmcnt 0x0
	s_cmp_lg_u64 s[16:17], 0
	v_cmp_ne_u32_e32 vcc_lo, 0, v0
	s_cselect_b32 s1, -1, 0
	s_delay_alu instid0(SALU_CYCLE_1) | instskip(NEXT) | instid1(SALU_CYCLE_1)
	s_and_b32 s1, s0, s1
	s_and_saveexec_b32 s0, s1
	s_cbranch_execz .LBB1_62
; %bb.61:
	v_mov_b32_e32 v6, 0
	global_load_b32 v6, v6, s[12:13]
	s_wait_loadcnt 0x0
	v_add_nc_u32_e32 v2, v6, v2
.LBB1_62:
	s_or_b32 exec_lo, exec_lo, s0
	s_delay_alu instid0(VALU_DEP_1) | instskip(SKIP_1) | instid1(VALU_DEP_1)
	v_add_nc_u32_e32 v16, v3, v2
	s_mov_b32 s1, exec_lo
	v_dual_add_nc_u32 v17, v16, v4 :: v_dual_bitop2_b32 v19, 15, v31 bitop3:0x40
	s_delay_alu instid0(VALU_DEP_1) | instskip(NEXT) | instid1(VALU_DEP_2)
	v_cmp_ne_u32_e64 s0, 0, v19
	v_add_nc_u32_e32 v18, v17, v5
	s_delay_alu instid0(VALU_DEP_1) | instskip(NEXT) | instid1(VALU_DEP_1)
	v_add_nc_u32_e32 v6, v18, v26
	v_add_nc_u32_e32 v7, v6, v27
	s_delay_alu instid0(VALU_DEP_1) | instskip(NEXT) | instid1(VALU_DEP_1)
	v_add_nc_u32_e32 v8, v7, v28
	;; [unrolled: 3-line block ×5, first 2 shown]
	v_add_nc_u32_e32 v15, v14, v33
	s_delay_alu instid0(VALU_DEP_1) | instskip(NEXT) | instid1(VALU_DEP_1)
	v_mov_b32_dpp v20, v15 row_shr:1 row_mask:0xf bank_mask:0xf
	v_cndmask_b32_e64 v20, 0, v20, s0
	v_cmp_lt_u32_e64 s0, 1, v19
	s_delay_alu instid0(VALU_DEP_2) | instskip(NEXT) | instid1(VALU_DEP_1)
	v_add_nc_u32_e32 v20, v15, v20
	v_mov_b32_dpp v21, v20 row_shr:2 row_mask:0xf bank_mask:0xf
	s_delay_alu instid0(VALU_DEP_1) | instskip(SKIP_1) | instid1(VALU_DEP_2)
	v_cndmask_b32_e64 v21, 0, v21, s0
	v_cmp_lt_u32_e64 s0, 3, v19
	v_add_nc_u32_e32 v20, v20, v21
	s_delay_alu instid0(VALU_DEP_1) | instskip(NEXT) | instid1(VALU_DEP_1)
	v_mov_b32_dpp v21, v20 row_shr:4 row_mask:0xf bank_mask:0xf
	v_cndmask_b32_e64 v21, 0, v21, s0
	v_cmp_lt_u32_e64 s0, 7, v19
	s_delay_alu instid0(VALU_DEP_2) | instskip(NEXT) | instid1(VALU_DEP_1)
	v_add_nc_u32_e32 v20, v20, v21
	v_mov_b32_dpp v21, v20 row_shr:8 row_mask:0xf bank_mask:0xf
	s_delay_alu instid0(VALU_DEP_1) | instskip(SKIP_1) | instid1(VALU_DEP_2)
	v_cndmask_b32_e64 v19, 0, v21, s0
	v_bfe_i32 v21, v31, 4, 1
	v_add_nc_u32_e32 v19, v20, v19
	ds_swizzle_b32 v20, v19 offset:swizzle(BROADCAST,32,15)
	s_wait_dscnt 0x0
	v_and_b32_e32 v20, v21, v20
	s_delay_alu instid0(VALU_DEP_1)
	v_add_nc_u32_e32 v19, v19, v20
	v_cmpx_eq_u32_e64 v0, v35
; %bb.63:
	v_lshlrev_b32_e32 v20, 2, v34
	ds_store_b32 v20, v19
; %bb.64:
	s_or_b32 exec_lo, exec_lo, s1
	s_delay_alu instid0(SALU_CYCLE_1)
	s_mov_b32 s1, exec_lo
	s_wait_dscnt 0x0
	s_barrier_signal -1
	s_barrier_wait -1
	v_cmpx_gt_u32_e32 8, v0
	s_cbranch_execz .LBB1_66
; %bb.65:
	v_mad_i32_i24 v20, 0xffffffcc, v0, v1
	ds_load_b32 v21, v20
	s_wait_dscnt 0x0
	v_mov_b32_dpp v36, v21 row_shr:1 row_mask:0xf bank_mask:0xf
	v_and_b32_e32 v35, 7, v31
	s_delay_alu instid0(VALU_DEP_1) | instskip(NEXT) | instid1(VALU_DEP_1)
	v_cmp_ne_u32_e64 s0, 0, v35
	v_cndmask_b32_e64 v36, 0, v36, s0
	v_cmp_lt_u32_e64 s0, 1, v35
	s_delay_alu instid0(VALU_DEP_2) | instskip(NEXT) | instid1(VALU_DEP_1)
	v_add_nc_u32_e32 v21, v36, v21
	v_mov_b32_dpp v36, v21 row_shr:2 row_mask:0xf bank_mask:0xf
	s_delay_alu instid0(VALU_DEP_1) | instskip(SKIP_1) | instid1(VALU_DEP_2)
	v_cndmask_b32_e64 v36, 0, v36, s0
	v_cmp_lt_u32_e64 s0, 3, v35
	v_add_nc_u32_e32 v21, v21, v36
	s_delay_alu instid0(VALU_DEP_1) | instskip(NEXT) | instid1(VALU_DEP_1)
	v_mov_b32_dpp v36, v21 row_shr:4 row_mask:0xf bank_mask:0xf
	v_cndmask_b32_e64 v35, 0, v36, s0
	s_delay_alu instid0(VALU_DEP_1)
	v_add_nc_u32_e32 v21, v21, v35
	ds_store_b32 v20, v21
.LBB1_66:
	s_or_b32 exec_lo, exec_lo, s1
	s_delay_alu instid0(SALU_CYCLE_1)
	s_mov_b32 s1, exec_lo
	s_wait_dscnt 0x0
	s_barrier_signal -1
	s_barrier_wait -1
                                        ; implicit-def: $vgpr20
	v_cmpx_lt_u32_e32 31, v0
	s_cbranch_execz .LBB1_68
; %bb.67:
	v_lshl_add_u32 v20, v34, 2, -4
	ds_load_b32 v20, v20
	s_wait_dscnt 0x0
	v_add_nc_u32_e32 v19, v20, v19
.LBB1_68:
	s_or_b32 exec_lo, exec_lo, s1
	v_add_nc_u32_e32 v21, -1, v31
	s_delay_alu instid0(VALU_DEP_1) | instskip(NEXT) | instid1(VALU_DEP_1)
	v_cmp_gt_i32_e64 s0, 0, v21
	v_cndmask_b32_e64 v21, v21, v31, s0
	s_delay_alu instid0(VALU_DEP_1)
	v_lshlrev_b32_e32 v21, 2, v21
	ds_bpermute_b32 v19, v21, v19
	s_and_saveexec_b32 s0, vcc_lo
	s_cbranch_execz .LBB1_70
; %bb.69:
	v_cmp_eq_u32_e32 vcc_lo, 0, v31
	;;#ASMSTART
	;;#ASMEND
	s_wait_dscnt 0x0
	v_cndmask_b32_e32 v6, v19, v20, vcc_lo
	s_delay_alu instid0(VALU_DEP_1) | instskip(NEXT) | instid1(VALU_DEP_1)
	v_add_nc_u32_e32 v2, v6, v2
	v_add_nc_u32_e32 v16, v2, v3
	s_delay_alu instid0(VALU_DEP_1) | instskip(NEXT) | instid1(VALU_DEP_1)
	v_add_nc_u32_e32 v17, v16, v4
	v_add_nc_u32_e32 v18, v17, v5
	;; [unrolled: 3-line block ×7, first 2 shown]
.LBB1_70:
	s_or_b32 exec_lo, exec_lo, s0
	s_delay_alu instid0(SALU_CYCLE_1)
	s_mov_b32 s0, exec_lo
	v_cmpx_eq_u32_e32 0xff, v0
	s_cbranch_execz .LBB1_72
; %bb.71:
	v_dual_mov_b32 v3, 0 :: v_dual_mov_b32 v5, 2
	v_mov_b32_e32 v4, v15
	global_store_b64 v3, v[4:5], s[22:23] offset:256 scope:SCOPE_DEV
.LBB1_72:
	s_wait_xcnt 0x0
	s_or_b32 exec_lo, exec_lo, s0
	v_dual_mov_b32 v3, v16 :: v_dual_mov_b32 v4, v17
	v_mov_b32_e32 v5, v18
	s_wait_dscnt 0x0
	v_mov_b64_e32 v[20:21], v[16:17]
	v_mov_b64_e32 v[18:19], v[14:15]
	;; [unrolled: 1-line block ×8, first 2 shown]
.LBB1_73:
	s_wait_xcnt 0x0
	s_add_nc_u64 s[0:1], s[8:9], s[6:7]
	s_and_b32 vcc_lo, exec_lo, s24
	s_add_nc_u64 s[0:1], s[0:1], s[20:21]
	s_mov_b32 s2, -1
	s_wait_storecnt 0x0
	s_barrier_signal -1
	s_barrier_wait -1
	s_cbranch_vccz .LBB1_75
; %bb.74:
	ds_store_2addr_b64 v1, v[6:7], v[8:9] offset1:1
	ds_store_2addr_b64 v1, v[10:11], v[12:13] offset0:2 offset1:3
	ds_store_2addr_b64 v1, v[14:15], v[16:17] offset0:4 offset1:5
	ds_store_b64 v1, v[18:19] offset:48
	s_wait_dscnt 0x0
	s_barrier_signal -1
	s_barrier_wait -1
	ds_load_2addr_stride64_b32 v[2:3], v30 offset1:4
	ds_load_2addr_stride64_b32 v[4:5], v30 offset0:8 offset1:12
	ds_load_2addr_stride64_b32 v[20:21], v30 offset0:16 offset1:20
	;; [unrolled: 1-line block ×6, first 2 shown]
	s_mov_b32 s2, 0
	s_wait_dscnt 0x6
	s_clause 0x1
	flat_store_b32 v0, v2, s[0:1] scale_offset
	flat_store_b32 v0, v3, s[0:1] offset:1024 scale_offset
	s_wait_dscnt 0x7
	s_clause 0x1
	flat_store_b32 v0, v4, s[0:1] offset:2048 scale_offset
	flat_store_b32 v0, v5, s[0:1] offset:3072 scale_offset
	s_wait_dscnt 0x8
	s_clause 0x1
	flat_store_b32 v0, v20, s[0:1] offset:4096 scale_offset
	;; [unrolled: 4-line block ×6, first 2 shown]
	flat_store_b32 v0, v29, s[0:1] offset:13312 scale_offset
.LBB1_75:
	s_and_not1_b32 vcc_lo, exec_lo, s2
	s_cbranch_vccnz .LBB1_155
; %bb.76:
	ds_store_2addr_b64 v1, v[6:7], v[8:9] offset1:1
	ds_store_2addr_b64 v1, v[10:11], v[12:13] offset0:2 offset1:3
	ds_store_2addr_b64 v1, v[14:15], v[16:17] offset0:4 offset1:5
	ds_store_b64 v1, v[18:19] offset:48
	s_wait_storecnt_dscnt 0x0
	s_barrier_signal -1
	s_barrier_wait -1
	s_wait_xcnt 0xa
	ds_load_2addr_stride64_b32 v[4:5], v30 offset1:4
	ds_load_2addr_stride64_b32 v[6:7], v30 offset0:8 offset1:12
	ds_load_2addr_stride64_b32 v[8:9], v30 offset0:16 offset1:20
	;; [unrolled: 1-line block ×6, first 2 shown]
	v_mov_b32_e32 v31, 0
	s_delay_alu instid0(VALU_DEP_1)
	v_add_nc_u64_e32 v[16:17], s[0:1], v[30:31]
	s_wait_xcnt 0x0
	s_mov_b32 s0, exec_lo
	v_cmpx_gt_u32_e64 s4, v0
	s_cbranch_execz .LBB1_78
; %bb.77:
	s_wait_dscnt 0x6
	flat_store_b32 v[16:17], v4
.LBB1_78:
	s_wait_xcnt 0x0
	s_or_b32 exec_lo, exec_lo, s0
	v_or_b32_e32 v1, 0x100, v0
	s_mov_b32 s0, exec_lo
	s_delay_alu instid0(VALU_DEP_1)
	v_cmpx_gt_u32_e64 s4, v1
	s_cbranch_execz .LBB1_80
; %bb.79:
	s_wait_dscnt 0x6
	flat_store_b32 v[16:17], v5 offset:1024
.LBB1_80:
	s_wait_xcnt 0x0
	s_or_b32 exec_lo, exec_lo, s0
	v_or_b32_e32 v1, 0x200, v0
	s_mov_b32 s0, exec_lo
	s_delay_alu instid0(VALU_DEP_1)
	v_cmpx_gt_u32_e64 s4, v1
	s_cbranch_execz .LBB1_82
; %bb.81:
	s_wait_dscnt 0x5
	flat_store_b32 v[16:17], v6 offset:2048
.LBB1_82:
	;; [unrolled: 11-line block ×13, first 2 shown]
	s_wait_xcnt 0x0
	s_or_b32 exec_lo, exec_lo, s0
	s_wait_kmcnt 0x0
	v_cmp_lt_u64_e64 s0, s[18:19], 2
	s_and_b32 vcc_lo, exec_lo, s0
	s_cbranch_vccnz .LBB1_155
; %bb.105:
	s_add_nc_u64 s[0:1], s[4:5], -1
	s_mov_b64 s[4:5], 0xffffffff
	s_lshr_b64 s[2:3], s[0:1], 1
	s_lshr_b32 s6, s1, 1
	s_and_b64 s[2:3], s[2:3], s[4:5]
	s_mov_b32 s7, 0
	s_mul_u64 s[4:5], s[2:3], 0x24924925
	s_mul_u64 s[8:9], s[6:7], 0x24924925
	s_mov_b32 s4, s5
	s_mov_b32 s5, s7
	s_mul_u64 s[2:3], s[2:3], 0x49249249
	s_add_nc_u64 s[4:5], s[8:9], s[4:5]
	s_mov_b32 s9, s7
	s_mov_b32 s8, s5
	;; [unrolled: 1-line block ×3, first 2 shown]
	v_mov_b32_e32 v1, v31
	s_add_nc_u64 s[2:3], s[2:3], s[4:5]
	s_mul_u64 s[4:5], s[6:7], 0x49249249
	s_mov_b32 s2, s3
	s_mov_b32 s3, s7
	s_delay_alu instid0(SALU_CYCLE_1) | instskip(NEXT) | instid1(SALU_CYCLE_1)
	s_add_nc_u64 s[2:3], s[8:9], s[2:3]
	s_add_nc_u64 s[2:3], s[4:5], s[2:3]
	s_delay_alu instid0(SALU_CYCLE_1) | instskip(NEXT) | instid1(SALU_CYCLE_1)
	s_lshr_b64 s[2:3], s[2:3], 1
	v_cmp_eq_u64_e32 vcc_lo, s[2:3], v[0:1]
	s_and_saveexec_b32 s2, vcc_lo
	s_cbranch_execz .LBB1_155
; %bb.106:
	v_mul_hi_u32_u24_e32 v1, 14, v0
	v_mul_u32_u24_e32 v0, 14, v0
	s_delay_alu instid0(VALU_DEP_1) | instskip(SKIP_1) | instid1(VALU_DEP_1)
	v_sub_nc_u64_e32 v[0:1], s[0:1], v[0:1]
	s_mov_b32 s0, exec_lo
	v_cmpx_lt_i64_e32 6, v[0:1]
	s_xor_b32 s0, exec_lo, s0
	s_cbranch_execz .LBB1_132
; %bb.107:
	s_mov_b32 s1, exec_lo
	v_cmpx_lt_i64_e32 9, v[0:1]
	s_xor_b32 s1, exec_lo, s1
	s_cbranch_execz .LBB1_121
; %bb.108:
	;; [unrolled: 5-line block ×4, first 2 shown]
	v_mov_b32_e32 v0, 0
	s_wait_dscnt 0x0
	global_store_b32 v0, v15, s[14:15]
                                        ; implicit-def: $vgpr14_vgpr15
.LBB1_111:
	s_wait_xcnt 0x0
	s_and_not1_saveexec_b32 s3, s3
	s_cbranch_execz .LBB1_113
; %bb.112:
	v_mov_b32_e32 v0, 0
	s_wait_dscnt 0x0
	global_store_b32 v0, v14, s[14:15]
.LBB1_113:
	s_wait_xcnt 0x0
	s_or_b32 exec_lo, exec_lo, s3
                                        ; implicit-def: $vgpr10_vgpr11
                                        ; implicit-def: $vgpr0_vgpr1
.LBB1_114:
	s_and_not1_saveexec_b32 s2, s2
	s_cbranch_execz .LBB1_120
; %bb.115:
	s_mov_b32 s3, exec_lo
	v_cmpx_lt_i64_e32 10, v[0:1]
	s_xor_b32 s3, exec_lo, s3
	s_cbranch_execz .LBB1_117
; %bb.116:
	v_mov_b32_e32 v0, 0
	s_wait_dscnt 0x1
	global_store_b32 v0, v11, s[14:15]
                                        ; implicit-def: $vgpr10_vgpr11
.LBB1_117:
	s_wait_xcnt 0x0
	s_and_not1_saveexec_b32 s3, s3
	s_cbranch_execz .LBB1_119
; %bb.118:
	v_mov_b32_e32 v0, 0
	s_wait_dscnt 0x1
	global_store_b32 v0, v10, s[14:15]
.LBB1_119:
	s_wait_xcnt 0x0
	s_or_b32 exec_lo, exec_lo, s3
.LBB1_120:
	s_delay_alu instid0(SALU_CYCLE_1)
	s_or_b32 exec_lo, exec_lo, s2
                                        ; implicit-def: $vgpr2_vgpr3
                                        ; implicit-def: $vgpr0_vgpr1
                                        ; implicit-def: $vgpr12_vgpr13
.LBB1_121:
	s_and_not1_saveexec_b32 s1, s1
	s_cbranch_execz .LBB1_131
; %bb.122:
	s_mov_b32 s2, exec_lo
	v_cmpx_lt_i64_e32 7, v[0:1]
	s_xor_b32 s2, exec_lo, s2
	s_cbranch_execz .LBB1_128
; %bb.123:
	s_mov_b32 s3, exec_lo
	v_cmpx_lt_i64_e32 8, v[0:1]
	s_xor_b32 s3, exec_lo, s3
	s_cbranch_execz .LBB1_125
; %bb.124:
	v_mov_b32_e32 v0, 0
	s_wait_dscnt 0x2
	global_store_b32 v0, v13, s[14:15]
                                        ; implicit-def: $vgpr12_vgpr13
.LBB1_125:
	s_wait_xcnt 0x0
	s_and_not1_saveexec_b32 s3, s3
	s_cbranch_execz .LBB1_127
; %bb.126:
	v_mov_b32_e32 v0, 0
	s_wait_dscnt 0x2
	global_store_b32 v0, v12, s[14:15]
.LBB1_127:
	s_wait_xcnt 0x0
	s_or_b32 exec_lo, exec_lo, s3
                                        ; implicit-def: $vgpr2_vgpr3
.LBB1_128:
	s_and_not1_saveexec_b32 s2, s2
	s_cbranch_execz .LBB1_130
; %bb.129:
	v_mov_b32_e32 v0, 0
	s_wait_dscnt 0x3
	global_store_b32 v0, v3, s[14:15]
.LBB1_130:
	s_wait_xcnt 0x0
	s_or_b32 exec_lo, exec_lo, s2
.LBB1_131:
	s_delay_alu instid0(SALU_CYCLE_1)
	s_or_b32 exec_lo, exec_lo, s1
                                        ; implicit-def: $vgpr0_vgpr1
                                        ; implicit-def: $vgpr8_vgpr9
                                        ; implicit-def: $vgpr4_vgpr5
                                        ; implicit-def: $vgpr6_vgpr7
                                        ; implicit-def: $vgpr2_vgpr3
.LBB1_132:
	s_and_not1_saveexec_b32 s0, s0
	s_cbranch_execz .LBB1_155
; %bb.133:
	s_mov_b32 s0, exec_lo
	v_cmpx_lt_i64_e32 3, v[0:1]
	s_xor_b32 s0, exec_lo, s0
	s_cbranch_execz .LBB1_143
; %bb.134:
	s_mov_b32 s1, exec_lo
	v_cmpx_lt_i64_e32 4, v[0:1]
	s_xor_b32 s1, exec_lo, s1
	;; [unrolled: 5-line block ×3, first 2 shown]
	s_cbranch_execz .LBB1_137
; %bb.136:
	v_mov_b32_e32 v0, 0
                                        ; implicit-def: $vgpr8_vgpr9
	s_wait_dscnt 0x3
	global_store_b32 v0, v2, s[14:15]
.LBB1_137:
	s_wait_xcnt 0x0
	s_and_not1_saveexec_b32 s2, s2
	s_cbranch_execz .LBB1_139
; %bb.138:
	v_mov_b32_e32 v0, 0
	s_wait_dscnt 0x4
	global_store_b32 v0, v9, s[14:15]
.LBB1_139:
	s_wait_xcnt 0x0
	s_or_b32 exec_lo, exec_lo, s2
                                        ; implicit-def: $vgpr8_vgpr9
.LBB1_140:
	s_and_not1_saveexec_b32 s1, s1
	s_cbranch_execz .LBB1_142
; %bb.141:
	v_mov_b32_e32 v0, 0
	s_wait_dscnt 0x4
	global_store_b32 v0, v8, s[14:15]
.LBB1_142:
	s_wait_xcnt 0x0
	s_or_b32 exec_lo, exec_lo, s1
                                        ; implicit-def: $vgpr0_vgpr1
                                        ; implicit-def: $vgpr4_vgpr5
                                        ; implicit-def: $vgpr6_vgpr7
.LBB1_143:
	s_and_not1_saveexec_b32 s0, s0
	s_cbranch_execz .LBB1_155
; %bb.144:
	s_mov_b32 s0, exec_lo
	v_cmpx_lt_i64_e32 1, v[0:1]
	s_xor_b32 s0, exec_lo, s0
	s_cbranch_execz .LBB1_150
; %bb.145:
	s_mov_b32 s1, exec_lo
	v_cmpx_lt_i64_e32 2, v[0:1]
	s_xor_b32 s1, exec_lo, s1
	s_cbranch_execz .LBB1_147
; %bb.146:
	v_mov_b32_e32 v0, 0
	s_wait_dscnt 0x5
	global_store_b32 v0, v7, s[14:15]
                                        ; implicit-def: $vgpr6_vgpr7
.LBB1_147:
	s_wait_xcnt 0x0
	s_and_not1_saveexec_b32 s1, s1
	s_cbranch_execz .LBB1_149
; %bb.148:
	v_mov_b32_e32 v0, 0
	s_wait_dscnt 0x5
	global_store_b32 v0, v6, s[14:15]
.LBB1_149:
	s_wait_xcnt 0x0
	s_or_b32 exec_lo, exec_lo, s1
                                        ; implicit-def: $vgpr4_vgpr5
                                        ; implicit-def: $vgpr0_vgpr1
.LBB1_150:
	s_and_not1_saveexec_b32 s0, s0
	s_cbranch_execz .LBB1_155
; %bb.151:
	s_mov_b32 s0, exec_lo
	v_cmpx_ne_u64_e32 1, v[0:1]
	s_xor_b32 s0, exec_lo, s0
	s_cbranch_execz .LBB1_153
; %bb.152:
	v_mov_b32_e32 v0, 0
	s_wait_dscnt 0x6
	global_store_b32 v0, v4, s[14:15]
                                        ; implicit-def: $vgpr4_vgpr5
.LBB1_153:
	s_wait_xcnt 0x0
	s_and_not1_saveexec_b32 s0, s0
	s_cbranch_execz .LBB1_155
; %bb.154:
	v_mov_b32_e32 v0, 0
	s_wait_dscnt 0x6
	global_store_b32 v0, v5, s[14:15]
.LBB1_155:
	s_endpgm
	.section	.rodata,"a",@progbits
	.p2align	6, 0x0
	.amdhsa_kernel _ZN7rocprim17ROCPRIM_400000_NS6detail17trampoline_kernelINS0_14default_configENS1_20scan_config_selectorIiEEZZNS1_9scan_implILNS1_25lookback_scan_determinismE0ELb0ELb0ES3_N6thrust23THRUST_200600_302600_NS6detail15normal_iteratorINS9_10device_ptrIiEEEESE_iNS9_4plusIvEEiEEDaPvRmT3_T4_T5_mT6_P12ihipStream_tbENKUlT_T0_E_clISt17integral_constantIbLb0EESU_EEDaSP_SQ_EUlSP_E_NS1_11comp_targetILNS1_3genE0ELNS1_11target_archE4294967295ELNS1_3gpuE0ELNS1_3repE0EEENS1_30default_config_static_selectorELNS0_4arch9wavefront6targetE0EEEvT1_
		.amdhsa_group_segment_fixed_size 14336
		.amdhsa_private_segment_fixed_size 0
		.amdhsa_kernarg_size 96
		.amdhsa_user_sgpr_count 2
		.amdhsa_user_sgpr_dispatch_ptr 0
		.amdhsa_user_sgpr_queue_ptr 0
		.amdhsa_user_sgpr_kernarg_segment_ptr 1
		.amdhsa_user_sgpr_dispatch_id 0
		.amdhsa_user_sgpr_kernarg_preload_length 0
		.amdhsa_user_sgpr_kernarg_preload_offset 0
		.amdhsa_user_sgpr_private_segment_size 0
		.amdhsa_wavefront_size32 1
		.amdhsa_uses_dynamic_stack 0
		.amdhsa_enable_private_segment 0
		.amdhsa_system_sgpr_workgroup_id_x 1
		.amdhsa_system_sgpr_workgroup_id_y 0
		.amdhsa_system_sgpr_workgroup_id_z 0
		.amdhsa_system_sgpr_workgroup_info 0
		.amdhsa_system_vgpr_workitem_id 0
		.amdhsa_next_free_vgpr 41
		.amdhsa_next_free_sgpr 25
		.amdhsa_named_barrier_count 0
		.amdhsa_reserve_vcc 1
		.amdhsa_float_round_mode_32 0
		.amdhsa_float_round_mode_16_64 0
		.amdhsa_float_denorm_mode_32 3
		.amdhsa_float_denorm_mode_16_64 3
		.amdhsa_fp16_overflow 0
		.amdhsa_memory_ordered 1
		.amdhsa_forward_progress 1
		.amdhsa_inst_pref_size 46
		.amdhsa_round_robin_scheduling 0
		.amdhsa_exception_fp_ieee_invalid_op 0
		.amdhsa_exception_fp_denorm_src 0
		.amdhsa_exception_fp_ieee_div_zero 0
		.amdhsa_exception_fp_ieee_overflow 0
		.amdhsa_exception_fp_ieee_underflow 0
		.amdhsa_exception_fp_ieee_inexact 0
		.amdhsa_exception_int_div_zero 0
	.end_amdhsa_kernel
	.section	.text._ZN7rocprim17ROCPRIM_400000_NS6detail17trampoline_kernelINS0_14default_configENS1_20scan_config_selectorIiEEZZNS1_9scan_implILNS1_25lookback_scan_determinismE0ELb0ELb0ES3_N6thrust23THRUST_200600_302600_NS6detail15normal_iteratorINS9_10device_ptrIiEEEESE_iNS9_4plusIvEEiEEDaPvRmT3_T4_T5_mT6_P12ihipStream_tbENKUlT_T0_E_clISt17integral_constantIbLb0EESU_EEDaSP_SQ_EUlSP_E_NS1_11comp_targetILNS1_3genE0ELNS1_11target_archE4294967295ELNS1_3gpuE0ELNS1_3repE0EEENS1_30default_config_static_selectorELNS0_4arch9wavefront6targetE0EEEvT1_,"axG",@progbits,_ZN7rocprim17ROCPRIM_400000_NS6detail17trampoline_kernelINS0_14default_configENS1_20scan_config_selectorIiEEZZNS1_9scan_implILNS1_25lookback_scan_determinismE0ELb0ELb0ES3_N6thrust23THRUST_200600_302600_NS6detail15normal_iteratorINS9_10device_ptrIiEEEESE_iNS9_4plusIvEEiEEDaPvRmT3_T4_T5_mT6_P12ihipStream_tbENKUlT_T0_E_clISt17integral_constantIbLb0EESU_EEDaSP_SQ_EUlSP_E_NS1_11comp_targetILNS1_3genE0ELNS1_11target_archE4294967295ELNS1_3gpuE0ELNS1_3repE0EEENS1_30default_config_static_selectorELNS0_4arch9wavefront6targetE0EEEvT1_,comdat
.Lfunc_end1:
	.size	_ZN7rocprim17ROCPRIM_400000_NS6detail17trampoline_kernelINS0_14default_configENS1_20scan_config_selectorIiEEZZNS1_9scan_implILNS1_25lookback_scan_determinismE0ELb0ELb0ES3_N6thrust23THRUST_200600_302600_NS6detail15normal_iteratorINS9_10device_ptrIiEEEESE_iNS9_4plusIvEEiEEDaPvRmT3_T4_T5_mT6_P12ihipStream_tbENKUlT_T0_E_clISt17integral_constantIbLb0EESU_EEDaSP_SQ_EUlSP_E_NS1_11comp_targetILNS1_3genE0ELNS1_11target_archE4294967295ELNS1_3gpuE0ELNS1_3repE0EEENS1_30default_config_static_selectorELNS0_4arch9wavefront6targetE0EEEvT1_, .Lfunc_end1-_ZN7rocprim17ROCPRIM_400000_NS6detail17trampoline_kernelINS0_14default_configENS1_20scan_config_selectorIiEEZZNS1_9scan_implILNS1_25lookback_scan_determinismE0ELb0ELb0ES3_N6thrust23THRUST_200600_302600_NS6detail15normal_iteratorINS9_10device_ptrIiEEEESE_iNS9_4plusIvEEiEEDaPvRmT3_T4_T5_mT6_P12ihipStream_tbENKUlT_T0_E_clISt17integral_constantIbLb0EESU_EEDaSP_SQ_EUlSP_E_NS1_11comp_targetILNS1_3genE0ELNS1_11target_archE4294967295ELNS1_3gpuE0ELNS1_3repE0EEENS1_30default_config_static_selectorELNS0_4arch9wavefront6targetE0EEEvT1_
                                        ; -- End function
	.set _ZN7rocprim17ROCPRIM_400000_NS6detail17trampoline_kernelINS0_14default_configENS1_20scan_config_selectorIiEEZZNS1_9scan_implILNS1_25lookback_scan_determinismE0ELb0ELb0ES3_N6thrust23THRUST_200600_302600_NS6detail15normal_iteratorINS9_10device_ptrIiEEEESE_iNS9_4plusIvEEiEEDaPvRmT3_T4_T5_mT6_P12ihipStream_tbENKUlT_T0_E_clISt17integral_constantIbLb0EESU_EEDaSP_SQ_EUlSP_E_NS1_11comp_targetILNS1_3genE0ELNS1_11target_archE4294967295ELNS1_3gpuE0ELNS1_3repE0EEENS1_30default_config_static_selectorELNS0_4arch9wavefront6targetE0EEEvT1_.num_vgpr, 41
	.set _ZN7rocprim17ROCPRIM_400000_NS6detail17trampoline_kernelINS0_14default_configENS1_20scan_config_selectorIiEEZZNS1_9scan_implILNS1_25lookback_scan_determinismE0ELb0ELb0ES3_N6thrust23THRUST_200600_302600_NS6detail15normal_iteratorINS9_10device_ptrIiEEEESE_iNS9_4plusIvEEiEEDaPvRmT3_T4_T5_mT6_P12ihipStream_tbENKUlT_T0_E_clISt17integral_constantIbLb0EESU_EEDaSP_SQ_EUlSP_E_NS1_11comp_targetILNS1_3genE0ELNS1_11target_archE4294967295ELNS1_3gpuE0ELNS1_3repE0EEENS1_30default_config_static_selectorELNS0_4arch9wavefront6targetE0EEEvT1_.num_agpr, 0
	.set _ZN7rocprim17ROCPRIM_400000_NS6detail17trampoline_kernelINS0_14default_configENS1_20scan_config_selectorIiEEZZNS1_9scan_implILNS1_25lookback_scan_determinismE0ELb0ELb0ES3_N6thrust23THRUST_200600_302600_NS6detail15normal_iteratorINS9_10device_ptrIiEEEESE_iNS9_4plusIvEEiEEDaPvRmT3_T4_T5_mT6_P12ihipStream_tbENKUlT_T0_E_clISt17integral_constantIbLb0EESU_EEDaSP_SQ_EUlSP_E_NS1_11comp_targetILNS1_3genE0ELNS1_11target_archE4294967295ELNS1_3gpuE0ELNS1_3repE0EEENS1_30default_config_static_selectorELNS0_4arch9wavefront6targetE0EEEvT1_.numbered_sgpr, 25
	.set _ZN7rocprim17ROCPRIM_400000_NS6detail17trampoline_kernelINS0_14default_configENS1_20scan_config_selectorIiEEZZNS1_9scan_implILNS1_25lookback_scan_determinismE0ELb0ELb0ES3_N6thrust23THRUST_200600_302600_NS6detail15normal_iteratorINS9_10device_ptrIiEEEESE_iNS9_4plusIvEEiEEDaPvRmT3_T4_T5_mT6_P12ihipStream_tbENKUlT_T0_E_clISt17integral_constantIbLb0EESU_EEDaSP_SQ_EUlSP_E_NS1_11comp_targetILNS1_3genE0ELNS1_11target_archE4294967295ELNS1_3gpuE0ELNS1_3repE0EEENS1_30default_config_static_selectorELNS0_4arch9wavefront6targetE0EEEvT1_.num_named_barrier, 0
	.set _ZN7rocprim17ROCPRIM_400000_NS6detail17trampoline_kernelINS0_14default_configENS1_20scan_config_selectorIiEEZZNS1_9scan_implILNS1_25lookback_scan_determinismE0ELb0ELb0ES3_N6thrust23THRUST_200600_302600_NS6detail15normal_iteratorINS9_10device_ptrIiEEEESE_iNS9_4plusIvEEiEEDaPvRmT3_T4_T5_mT6_P12ihipStream_tbENKUlT_T0_E_clISt17integral_constantIbLb0EESU_EEDaSP_SQ_EUlSP_E_NS1_11comp_targetILNS1_3genE0ELNS1_11target_archE4294967295ELNS1_3gpuE0ELNS1_3repE0EEENS1_30default_config_static_selectorELNS0_4arch9wavefront6targetE0EEEvT1_.private_seg_size, 0
	.set _ZN7rocprim17ROCPRIM_400000_NS6detail17trampoline_kernelINS0_14default_configENS1_20scan_config_selectorIiEEZZNS1_9scan_implILNS1_25lookback_scan_determinismE0ELb0ELb0ES3_N6thrust23THRUST_200600_302600_NS6detail15normal_iteratorINS9_10device_ptrIiEEEESE_iNS9_4plusIvEEiEEDaPvRmT3_T4_T5_mT6_P12ihipStream_tbENKUlT_T0_E_clISt17integral_constantIbLb0EESU_EEDaSP_SQ_EUlSP_E_NS1_11comp_targetILNS1_3genE0ELNS1_11target_archE4294967295ELNS1_3gpuE0ELNS1_3repE0EEENS1_30default_config_static_selectorELNS0_4arch9wavefront6targetE0EEEvT1_.uses_vcc, 1
	.set _ZN7rocprim17ROCPRIM_400000_NS6detail17trampoline_kernelINS0_14default_configENS1_20scan_config_selectorIiEEZZNS1_9scan_implILNS1_25lookback_scan_determinismE0ELb0ELb0ES3_N6thrust23THRUST_200600_302600_NS6detail15normal_iteratorINS9_10device_ptrIiEEEESE_iNS9_4plusIvEEiEEDaPvRmT3_T4_T5_mT6_P12ihipStream_tbENKUlT_T0_E_clISt17integral_constantIbLb0EESU_EEDaSP_SQ_EUlSP_E_NS1_11comp_targetILNS1_3genE0ELNS1_11target_archE4294967295ELNS1_3gpuE0ELNS1_3repE0EEENS1_30default_config_static_selectorELNS0_4arch9wavefront6targetE0EEEvT1_.uses_flat_scratch, 1
	.set _ZN7rocprim17ROCPRIM_400000_NS6detail17trampoline_kernelINS0_14default_configENS1_20scan_config_selectorIiEEZZNS1_9scan_implILNS1_25lookback_scan_determinismE0ELb0ELb0ES3_N6thrust23THRUST_200600_302600_NS6detail15normal_iteratorINS9_10device_ptrIiEEEESE_iNS9_4plusIvEEiEEDaPvRmT3_T4_T5_mT6_P12ihipStream_tbENKUlT_T0_E_clISt17integral_constantIbLb0EESU_EEDaSP_SQ_EUlSP_E_NS1_11comp_targetILNS1_3genE0ELNS1_11target_archE4294967295ELNS1_3gpuE0ELNS1_3repE0EEENS1_30default_config_static_selectorELNS0_4arch9wavefront6targetE0EEEvT1_.has_dyn_sized_stack, 0
	.set _ZN7rocprim17ROCPRIM_400000_NS6detail17trampoline_kernelINS0_14default_configENS1_20scan_config_selectorIiEEZZNS1_9scan_implILNS1_25lookback_scan_determinismE0ELb0ELb0ES3_N6thrust23THRUST_200600_302600_NS6detail15normal_iteratorINS9_10device_ptrIiEEEESE_iNS9_4plusIvEEiEEDaPvRmT3_T4_T5_mT6_P12ihipStream_tbENKUlT_T0_E_clISt17integral_constantIbLb0EESU_EEDaSP_SQ_EUlSP_E_NS1_11comp_targetILNS1_3genE0ELNS1_11target_archE4294967295ELNS1_3gpuE0ELNS1_3repE0EEENS1_30default_config_static_selectorELNS0_4arch9wavefront6targetE0EEEvT1_.has_recursion, 0
	.set _ZN7rocprim17ROCPRIM_400000_NS6detail17trampoline_kernelINS0_14default_configENS1_20scan_config_selectorIiEEZZNS1_9scan_implILNS1_25lookback_scan_determinismE0ELb0ELb0ES3_N6thrust23THRUST_200600_302600_NS6detail15normal_iteratorINS9_10device_ptrIiEEEESE_iNS9_4plusIvEEiEEDaPvRmT3_T4_T5_mT6_P12ihipStream_tbENKUlT_T0_E_clISt17integral_constantIbLb0EESU_EEDaSP_SQ_EUlSP_E_NS1_11comp_targetILNS1_3genE0ELNS1_11target_archE4294967295ELNS1_3gpuE0ELNS1_3repE0EEENS1_30default_config_static_selectorELNS0_4arch9wavefront6targetE0EEEvT1_.has_indirect_call, 0
	.section	.AMDGPU.csdata,"",@progbits
; Kernel info:
; codeLenInByte = 5864
; TotalNumSgprs: 27
; NumVgprs: 41
; ScratchSize: 0
; MemoryBound: 0
; FloatMode: 240
; IeeeMode: 1
; LDSByteSize: 14336 bytes/workgroup (compile time only)
; SGPRBlocks: 0
; VGPRBlocks: 2
; NumSGPRsForWavesPerEU: 27
; NumVGPRsForWavesPerEU: 41
; NamedBarCnt: 0
; Occupancy: 16
; WaveLimiterHint : 1
; COMPUTE_PGM_RSRC2:SCRATCH_EN: 0
; COMPUTE_PGM_RSRC2:USER_SGPR: 2
; COMPUTE_PGM_RSRC2:TRAP_HANDLER: 0
; COMPUTE_PGM_RSRC2:TGID_X_EN: 1
; COMPUTE_PGM_RSRC2:TGID_Y_EN: 0
; COMPUTE_PGM_RSRC2:TGID_Z_EN: 0
; COMPUTE_PGM_RSRC2:TIDIG_COMP_CNT: 0
	.section	.text._ZN7rocprim17ROCPRIM_400000_NS6detail17trampoline_kernelINS0_14default_configENS1_20scan_config_selectorIiEEZZNS1_9scan_implILNS1_25lookback_scan_determinismE0ELb0ELb0ES3_N6thrust23THRUST_200600_302600_NS6detail15normal_iteratorINS9_10device_ptrIiEEEESE_iNS9_4plusIvEEiEEDaPvRmT3_T4_T5_mT6_P12ihipStream_tbENKUlT_T0_E_clISt17integral_constantIbLb0EESU_EEDaSP_SQ_EUlSP_E_NS1_11comp_targetILNS1_3genE5ELNS1_11target_archE942ELNS1_3gpuE9ELNS1_3repE0EEENS1_30default_config_static_selectorELNS0_4arch9wavefront6targetE0EEEvT1_,"axG",@progbits,_ZN7rocprim17ROCPRIM_400000_NS6detail17trampoline_kernelINS0_14default_configENS1_20scan_config_selectorIiEEZZNS1_9scan_implILNS1_25lookback_scan_determinismE0ELb0ELb0ES3_N6thrust23THRUST_200600_302600_NS6detail15normal_iteratorINS9_10device_ptrIiEEEESE_iNS9_4plusIvEEiEEDaPvRmT3_T4_T5_mT6_P12ihipStream_tbENKUlT_T0_E_clISt17integral_constantIbLb0EESU_EEDaSP_SQ_EUlSP_E_NS1_11comp_targetILNS1_3genE5ELNS1_11target_archE942ELNS1_3gpuE9ELNS1_3repE0EEENS1_30default_config_static_selectorELNS0_4arch9wavefront6targetE0EEEvT1_,comdat
	.protected	_ZN7rocprim17ROCPRIM_400000_NS6detail17trampoline_kernelINS0_14default_configENS1_20scan_config_selectorIiEEZZNS1_9scan_implILNS1_25lookback_scan_determinismE0ELb0ELb0ES3_N6thrust23THRUST_200600_302600_NS6detail15normal_iteratorINS9_10device_ptrIiEEEESE_iNS9_4plusIvEEiEEDaPvRmT3_T4_T5_mT6_P12ihipStream_tbENKUlT_T0_E_clISt17integral_constantIbLb0EESU_EEDaSP_SQ_EUlSP_E_NS1_11comp_targetILNS1_3genE5ELNS1_11target_archE942ELNS1_3gpuE9ELNS1_3repE0EEENS1_30default_config_static_selectorELNS0_4arch9wavefront6targetE0EEEvT1_ ; -- Begin function _ZN7rocprim17ROCPRIM_400000_NS6detail17trampoline_kernelINS0_14default_configENS1_20scan_config_selectorIiEEZZNS1_9scan_implILNS1_25lookback_scan_determinismE0ELb0ELb0ES3_N6thrust23THRUST_200600_302600_NS6detail15normal_iteratorINS9_10device_ptrIiEEEESE_iNS9_4plusIvEEiEEDaPvRmT3_T4_T5_mT6_P12ihipStream_tbENKUlT_T0_E_clISt17integral_constantIbLb0EESU_EEDaSP_SQ_EUlSP_E_NS1_11comp_targetILNS1_3genE5ELNS1_11target_archE942ELNS1_3gpuE9ELNS1_3repE0EEENS1_30default_config_static_selectorELNS0_4arch9wavefront6targetE0EEEvT1_
	.globl	_ZN7rocprim17ROCPRIM_400000_NS6detail17trampoline_kernelINS0_14default_configENS1_20scan_config_selectorIiEEZZNS1_9scan_implILNS1_25lookback_scan_determinismE0ELb0ELb0ES3_N6thrust23THRUST_200600_302600_NS6detail15normal_iteratorINS9_10device_ptrIiEEEESE_iNS9_4plusIvEEiEEDaPvRmT3_T4_T5_mT6_P12ihipStream_tbENKUlT_T0_E_clISt17integral_constantIbLb0EESU_EEDaSP_SQ_EUlSP_E_NS1_11comp_targetILNS1_3genE5ELNS1_11target_archE942ELNS1_3gpuE9ELNS1_3repE0EEENS1_30default_config_static_selectorELNS0_4arch9wavefront6targetE0EEEvT1_
	.p2align	8
	.type	_ZN7rocprim17ROCPRIM_400000_NS6detail17trampoline_kernelINS0_14default_configENS1_20scan_config_selectorIiEEZZNS1_9scan_implILNS1_25lookback_scan_determinismE0ELb0ELb0ES3_N6thrust23THRUST_200600_302600_NS6detail15normal_iteratorINS9_10device_ptrIiEEEESE_iNS9_4plusIvEEiEEDaPvRmT3_T4_T5_mT6_P12ihipStream_tbENKUlT_T0_E_clISt17integral_constantIbLb0EESU_EEDaSP_SQ_EUlSP_E_NS1_11comp_targetILNS1_3genE5ELNS1_11target_archE942ELNS1_3gpuE9ELNS1_3repE0EEENS1_30default_config_static_selectorELNS0_4arch9wavefront6targetE0EEEvT1_,@function
_ZN7rocprim17ROCPRIM_400000_NS6detail17trampoline_kernelINS0_14default_configENS1_20scan_config_selectorIiEEZZNS1_9scan_implILNS1_25lookback_scan_determinismE0ELb0ELb0ES3_N6thrust23THRUST_200600_302600_NS6detail15normal_iteratorINS9_10device_ptrIiEEEESE_iNS9_4plusIvEEiEEDaPvRmT3_T4_T5_mT6_P12ihipStream_tbENKUlT_T0_E_clISt17integral_constantIbLb0EESU_EEDaSP_SQ_EUlSP_E_NS1_11comp_targetILNS1_3genE5ELNS1_11target_archE942ELNS1_3gpuE9ELNS1_3repE0EEENS1_30default_config_static_selectorELNS0_4arch9wavefront6targetE0EEEvT1_: ; @_ZN7rocprim17ROCPRIM_400000_NS6detail17trampoline_kernelINS0_14default_configENS1_20scan_config_selectorIiEEZZNS1_9scan_implILNS1_25lookback_scan_determinismE0ELb0ELb0ES3_N6thrust23THRUST_200600_302600_NS6detail15normal_iteratorINS9_10device_ptrIiEEEESE_iNS9_4plusIvEEiEEDaPvRmT3_T4_T5_mT6_P12ihipStream_tbENKUlT_T0_E_clISt17integral_constantIbLb0EESU_EEDaSP_SQ_EUlSP_E_NS1_11comp_targetILNS1_3genE5ELNS1_11target_archE942ELNS1_3gpuE9ELNS1_3repE0EEENS1_30default_config_static_selectorELNS0_4arch9wavefront6targetE0EEEvT1_
; %bb.0:
	.section	.rodata,"a",@progbits
	.p2align	6, 0x0
	.amdhsa_kernel _ZN7rocprim17ROCPRIM_400000_NS6detail17trampoline_kernelINS0_14default_configENS1_20scan_config_selectorIiEEZZNS1_9scan_implILNS1_25lookback_scan_determinismE0ELb0ELb0ES3_N6thrust23THRUST_200600_302600_NS6detail15normal_iteratorINS9_10device_ptrIiEEEESE_iNS9_4plusIvEEiEEDaPvRmT3_T4_T5_mT6_P12ihipStream_tbENKUlT_T0_E_clISt17integral_constantIbLb0EESU_EEDaSP_SQ_EUlSP_E_NS1_11comp_targetILNS1_3genE5ELNS1_11target_archE942ELNS1_3gpuE9ELNS1_3repE0EEENS1_30default_config_static_selectorELNS0_4arch9wavefront6targetE0EEEvT1_
		.amdhsa_group_segment_fixed_size 0
		.amdhsa_private_segment_fixed_size 0
		.amdhsa_kernarg_size 96
		.amdhsa_user_sgpr_count 2
		.amdhsa_user_sgpr_dispatch_ptr 0
		.amdhsa_user_sgpr_queue_ptr 0
		.amdhsa_user_sgpr_kernarg_segment_ptr 1
		.amdhsa_user_sgpr_dispatch_id 0
		.amdhsa_user_sgpr_kernarg_preload_length 0
		.amdhsa_user_sgpr_kernarg_preload_offset 0
		.amdhsa_user_sgpr_private_segment_size 0
		.amdhsa_wavefront_size32 1
		.amdhsa_uses_dynamic_stack 0
		.amdhsa_enable_private_segment 0
		.amdhsa_system_sgpr_workgroup_id_x 1
		.amdhsa_system_sgpr_workgroup_id_y 0
		.amdhsa_system_sgpr_workgroup_id_z 0
		.amdhsa_system_sgpr_workgroup_info 0
		.amdhsa_system_vgpr_workitem_id 0
		.amdhsa_next_free_vgpr 1
		.amdhsa_next_free_sgpr 1
		.amdhsa_named_barrier_count 0
		.amdhsa_reserve_vcc 0
		.amdhsa_float_round_mode_32 0
		.amdhsa_float_round_mode_16_64 0
		.amdhsa_float_denorm_mode_32 3
		.amdhsa_float_denorm_mode_16_64 3
		.amdhsa_fp16_overflow 0
		.amdhsa_memory_ordered 1
		.amdhsa_forward_progress 1
		.amdhsa_inst_pref_size 0
		.amdhsa_round_robin_scheduling 0
		.amdhsa_exception_fp_ieee_invalid_op 0
		.amdhsa_exception_fp_denorm_src 0
		.amdhsa_exception_fp_ieee_div_zero 0
		.amdhsa_exception_fp_ieee_overflow 0
		.amdhsa_exception_fp_ieee_underflow 0
		.amdhsa_exception_fp_ieee_inexact 0
		.amdhsa_exception_int_div_zero 0
	.end_amdhsa_kernel
	.section	.text._ZN7rocprim17ROCPRIM_400000_NS6detail17trampoline_kernelINS0_14default_configENS1_20scan_config_selectorIiEEZZNS1_9scan_implILNS1_25lookback_scan_determinismE0ELb0ELb0ES3_N6thrust23THRUST_200600_302600_NS6detail15normal_iteratorINS9_10device_ptrIiEEEESE_iNS9_4plusIvEEiEEDaPvRmT3_T4_T5_mT6_P12ihipStream_tbENKUlT_T0_E_clISt17integral_constantIbLb0EESU_EEDaSP_SQ_EUlSP_E_NS1_11comp_targetILNS1_3genE5ELNS1_11target_archE942ELNS1_3gpuE9ELNS1_3repE0EEENS1_30default_config_static_selectorELNS0_4arch9wavefront6targetE0EEEvT1_,"axG",@progbits,_ZN7rocprim17ROCPRIM_400000_NS6detail17trampoline_kernelINS0_14default_configENS1_20scan_config_selectorIiEEZZNS1_9scan_implILNS1_25lookback_scan_determinismE0ELb0ELb0ES3_N6thrust23THRUST_200600_302600_NS6detail15normal_iteratorINS9_10device_ptrIiEEEESE_iNS9_4plusIvEEiEEDaPvRmT3_T4_T5_mT6_P12ihipStream_tbENKUlT_T0_E_clISt17integral_constantIbLb0EESU_EEDaSP_SQ_EUlSP_E_NS1_11comp_targetILNS1_3genE5ELNS1_11target_archE942ELNS1_3gpuE9ELNS1_3repE0EEENS1_30default_config_static_selectorELNS0_4arch9wavefront6targetE0EEEvT1_,comdat
.Lfunc_end2:
	.size	_ZN7rocprim17ROCPRIM_400000_NS6detail17trampoline_kernelINS0_14default_configENS1_20scan_config_selectorIiEEZZNS1_9scan_implILNS1_25lookback_scan_determinismE0ELb0ELb0ES3_N6thrust23THRUST_200600_302600_NS6detail15normal_iteratorINS9_10device_ptrIiEEEESE_iNS9_4plusIvEEiEEDaPvRmT3_T4_T5_mT6_P12ihipStream_tbENKUlT_T0_E_clISt17integral_constantIbLb0EESU_EEDaSP_SQ_EUlSP_E_NS1_11comp_targetILNS1_3genE5ELNS1_11target_archE942ELNS1_3gpuE9ELNS1_3repE0EEENS1_30default_config_static_selectorELNS0_4arch9wavefront6targetE0EEEvT1_, .Lfunc_end2-_ZN7rocprim17ROCPRIM_400000_NS6detail17trampoline_kernelINS0_14default_configENS1_20scan_config_selectorIiEEZZNS1_9scan_implILNS1_25lookback_scan_determinismE0ELb0ELb0ES3_N6thrust23THRUST_200600_302600_NS6detail15normal_iteratorINS9_10device_ptrIiEEEESE_iNS9_4plusIvEEiEEDaPvRmT3_T4_T5_mT6_P12ihipStream_tbENKUlT_T0_E_clISt17integral_constantIbLb0EESU_EEDaSP_SQ_EUlSP_E_NS1_11comp_targetILNS1_3genE5ELNS1_11target_archE942ELNS1_3gpuE9ELNS1_3repE0EEENS1_30default_config_static_selectorELNS0_4arch9wavefront6targetE0EEEvT1_
                                        ; -- End function
	.set _ZN7rocprim17ROCPRIM_400000_NS6detail17trampoline_kernelINS0_14default_configENS1_20scan_config_selectorIiEEZZNS1_9scan_implILNS1_25lookback_scan_determinismE0ELb0ELb0ES3_N6thrust23THRUST_200600_302600_NS6detail15normal_iteratorINS9_10device_ptrIiEEEESE_iNS9_4plusIvEEiEEDaPvRmT3_T4_T5_mT6_P12ihipStream_tbENKUlT_T0_E_clISt17integral_constantIbLb0EESU_EEDaSP_SQ_EUlSP_E_NS1_11comp_targetILNS1_3genE5ELNS1_11target_archE942ELNS1_3gpuE9ELNS1_3repE0EEENS1_30default_config_static_selectorELNS0_4arch9wavefront6targetE0EEEvT1_.num_vgpr, 0
	.set _ZN7rocprim17ROCPRIM_400000_NS6detail17trampoline_kernelINS0_14default_configENS1_20scan_config_selectorIiEEZZNS1_9scan_implILNS1_25lookback_scan_determinismE0ELb0ELb0ES3_N6thrust23THRUST_200600_302600_NS6detail15normal_iteratorINS9_10device_ptrIiEEEESE_iNS9_4plusIvEEiEEDaPvRmT3_T4_T5_mT6_P12ihipStream_tbENKUlT_T0_E_clISt17integral_constantIbLb0EESU_EEDaSP_SQ_EUlSP_E_NS1_11comp_targetILNS1_3genE5ELNS1_11target_archE942ELNS1_3gpuE9ELNS1_3repE0EEENS1_30default_config_static_selectorELNS0_4arch9wavefront6targetE0EEEvT1_.num_agpr, 0
	.set _ZN7rocprim17ROCPRIM_400000_NS6detail17trampoline_kernelINS0_14default_configENS1_20scan_config_selectorIiEEZZNS1_9scan_implILNS1_25lookback_scan_determinismE0ELb0ELb0ES3_N6thrust23THRUST_200600_302600_NS6detail15normal_iteratorINS9_10device_ptrIiEEEESE_iNS9_4plusIvEEiEEDaPvRmT3_T4_T5_mT6_P12ihipStream_tbENKUlT_T0_E_clISt17integral_constantIbLb0EESU_EEDaSP_SQ_EUlSP_E_NS1_11comp_targetILNS1_3genE5ELNS1_11target_archE942ELNS1_3gpuE9ELNS1_3repE0EEENS1_30default_config_static_selectorELNS0_4arch9wavefront6targetE0EEEvT1_.numbered_sgpr, 0
	.set _ZN7rocprim17ROCPRIM_400000_NS6detail17trampoline_kernelINS0_14default_configENS1_20scan_config_selectorIiEEZZNS1_9scan_implILNS1_25lookback_scan_determinismE0ELb0ELb0ES3_N6thrust23THRUST_200600_302600_NS6detail15normal_iteratorINS9_10device_ptrIiEEEESE_iNS9_4plusIvEEiEEDaPvRmT3_T4_T5_mT6_P12ihipStream_tbENKUlT_T0_E_clISt17integral_constantIbLb0EESU_EEDaSP_SQ_EUlSP_E_NS1_11comp_targetILNS1_3genE5ELNS1_11target_archE942ELNS1_3gpuE9ELNS1_3repE0EEENS1_30default_config_static_selectorELNS0_4arch9wavefront6targetE0EEEvT1_.num_named_barrier, 0
	.set _ZN7rocprim17ROCPRIM_400000_NS6detail17trampoline_kernelINS0_14default_configENS1_20scan_config_selectorIiEEZZNS1_9scan_implILNS1_25lookback_scan_determinismE0ELb0ELb0ES3_N6thrust23THRUST_200600_302600_NS6detail15normal_iteratorINS9_10device_ptrIiEEEESE_iNS9_4plusIvEEiEEDaPvRmT3_T4_T5_mT6_P12ihipStream_tbENKUlT_T0_E_clISt17integral_constantIbLb0EESU_EEDaSP_SQ_EUlSP_E_NS1_11comp_targetILNS1_3genE5ELNS1_11target_archE942ELNS1_3gpuE9ELNS1_3repE0EEENS1_30default_config_static_selectorELNS0_4arch9wavefront6targetE0EEEvT1_.private_seg_size, 0
	.set _ZN7rocprim17ROCPRIM_400000_NS6detail17trampoline_kernelINS0_14default_configENS1_20scan_config_selectorIiEEZZNS1_9scan_implILNS1_25lookback_scan_determinismE0ELb0ELb0ES3_N6thrust23THRUST_200600_302600_NS6detail15normal_iteratorINS9_10device_ptrIiEEEESE_iNS9_4plusIvEEiEEDaPvRmT3_T4_T5_mT6_P12ihipStream_tbENKUlT_T0_E_clISt17integral_constantIbLb0EESU_EEDaSP_SQ_EUlSP_E_NS1_11comp_targetILNS1_3genE5ELNS1_11target_archE942ELNS1_3gpuE9ELNS1_3repE0EEENS1_30default_config_static_selectorELNS0_4arch9wavefront6targetE0EEEvT1_.uses_vcc, 0
	.set _ZN7rocprim17ROCPRIM_400000_NS6detail17trampoline_kernelINS0_14default_configENS1_20scan_config_selectorIiEEZZNS1_9scan_implILNS1_25lookback_scan_determinismE0ELb0ELb0ES3_N6thrust23THRUST_200600_302600_NS6detail15normal_iteratorINS9_10device_ptrIiEEEESE_iNS9_4plusIvEEiEEDaPvRmT3_T4_T5_mT6_P12ihipStream_tbENKUlT_T0_E_clISt17integral_constantIbLb0EESU_EEDaSP_SQ_EUlSP_E_NS1_11comp_targetILNS1_3genE5ELNS1_11target_archE942ELNS1_3gpuE9ELNS1_3repE0EEENS1_30default_config_static_selectorELNS0_4arch9wavefront6targetE0EEEvT1_.uses_flat_scratch, 0
	.set _ZN7rocprim17ROCPRIM_400000_NS6detail17trampoline_kernelINS0_14default_configENS1_20scan_config_selectorIiEEZZNS1_9scan_implILNS1_25lookback_scan_determinismE0ELb0ELb0ES3_N6thrust23THRUST_200600_302600_NS6detail15normal_iteratorINS9_10device_ptrIiEEEESE_iNS9_4plusIvEEiEEDaPvRmT3_T4_T5_mT6_P12ihipStream_tbENKUlT_T0_E_clISt17integral_constantIbLb0EESU_EEDaSP_SQ_EUlSP_E_NS1_11comp_targetILNS1_3genE5ELNS1_11target_archE942ELNS1_3gpuE9ELNS1_3repE0EEENS1_30default_config_static_selectorELNS0_4arch9wavefront6targetE0EEEvT1_.has_dyn_sized_stack, 0
	.set _ZN7rocprim17ROCPRIM_400000_NS6detail17trampoline_kernelINS0_14default_configENS1_20scan_config_selectorIiEEZZNS1_9scan_implILNS1_25lookback_scan_determinismE0ELb0ELb0ES3_N6thrust23THRUST_200600_302600_NS6detail15normal_iteratorINS9_10device_ptrIiEEEESE_iNS9_4plusIvEEiEEDaPvRmT3_T4_T5_mT6_P12ihipStream_tbENKUlT_T0_E_clISt17integral_constantIbLb0EESU_EEDaSP_SQ_EUlSP_E_NS1_11comp_targetILNS1_3genE5ELNS1_11target_archE942ELNS1_3gpuE9ELNS1_3repE0EEENS1_30default_config_static_selectorELNS0_4arch9wavefront6targetE0EEEvT1_.has_recursion, 0
	.set _ZN7rocprim17ROCPRIM_400000_NS6detail17trampoline_kernelINS0_14default_configENS1_20scan_config_selectorIiEEZZNS1_9scan_implILNS1_25lookback_scan_determinismE0ELb0ELb0ES3_N6thrust23THRUST_200600_302600_NS6detail15normal_iteratorINS9_10device_ptrIiEEEESE_iNS9_4plusIvEEiEEDaPvRmT3_T4_T5_mT6_P12ihipStream_tbENKUlT_T0_E_clISt17integral_constantIbLb0EESU_EEDaSP_SQ_EUlSP_E_NS1_11comp_targetILNS1_3genE5ELNS1_11target_archE942ELNS1_3gpuE9ELNS1_3repE0EEENS1_30default_config_static_selectorELNS0_4arch9wavefront6targetE0EEEvT1_.has_indirect_call, 0
	.section	.AMDGPU.csdata,"",@progbits
; Kernel info:
; codeLenInByte = 0
; TotalNumSgprs: 0
; NumVgprs: 0
; ScratchSize: 0
; MemoryBound: 0
; FloatMode: 240
; IeeeMode: 1
; LDSByteSize: 0 bytes/workgroup (compile time only)
; SGPRBlocks: 0
; VGPRBlocks: 0
; NumSGPRsForWavesPerEU: 1
; NumVGPRsForWavesPerEU: 1
; NamedBarCnt: 0
; Occupancy: 16
; WaveLimiterHint : 0
; COMPUTE_PGM_RSRC2:SCRATCH_EN: 0
; COMPUTE_PGM_RSRC2:USER_SGPR: 2
; COMPUTE_PGM_RSRC2:TRAP_HANDLER: 0
; COMPUTE_PGM_RSRC2:TGID_X_EN: 1
; COMPUTE_PGM_RSRC2:TGID_Y_EN: 0
; COMPUTE_PGM_RSRC2:TGID_Z_EN: 0
; COMPUTE_PGM_RSRC2:TIDIG_COMP_CNT: 0
	.section	.text._ZN7rocprim17ROCPRIM_400000_NS6detail17trampoline_kernelINS0_14default_configENS1_20scan_config_selectorIiEEZZNS1_9scan_implILNS1_25lookback_scan_determinismE0ELb0ELb0ES3_N6thrust23THRUST_200600_302600_NS6detail15normal_iteratorINS9_10device_ptrIiEEEESE_iNS9_4plusIvEEiEEDaPvRmT3_T4_T5_mT6_P12ihipStream_tbENKUlT_T0_E_clISt17integral_constantIbLb0EESU_EEDaSP_SQ_EUlSP_E_NS1_11comp_targetILNS1_3genE4ELNS1_11target_archE910ELNS1_3gpuE8ELNS1_3repE0EEENS1_30default_config_static_selectorELNS0_4arch9wavefront6targetE0EEEvT1_,"axG",@progbits,_ZN7rocprim17ROCPRIM_400000_NS6detail17trampoline_kernelINS0_14default_configENS1_20scan_config_selectorIiEEZZNS1_9scan_implILNS1_25lookback_scan_determinismE0ELb0ELb0ES3_N6thrust23THRUST_200600_302600_NS6detail15normal_iteratorINS9_10device_ptrIiEEEESE_iNS9_4plusIvEEiEEDaPvRmT3_T4_T5_mT6_P12ihipStream_tbENKUlT_T0_E_clISt17integral_constantIbLb0EESU_EEDaSP_SQ_EUlSP_E_NS1_11comp_targetILNS1_3genE4ELNS1_11target_archE910ELNS1_3gpuE8ELNS1_3repE0EEENS1_30default_config_static_selectorELNS0_4arch9wavefront6targetE0EEEvT1_,comdat
	.protected	_ZN7rocprim17ROCPRIM_400000_NS6detail17trampoline_kernelINS0_14default_configENS1_20scan_config_selectorIiEEZZNS1_9scan_implILNS1_25lookback_scan_determinismE0ELb0ELb0ES3_N6thrust23THRUST_200600_302600_NS6detail15normal_iteratorINS9_10device_ptrIiEEEESE_iNS9_4plusIvEEiEEDaPvRmT3_T4_T5_mT6_P12ihipStream_tbENKUlT_T0_E_clISt17integral_constantIbLb0EESU_EEDaSP_SQ_EUlSP_E_NS1_11comp_targetILNS1_3genE4ELNS1_11target_archE910ELNS1_3gpuE8ELNS1_3repE0EEENS1_30default_config_static_selectorELNS0_4arch9wavefront6targetE0EEEvT1_ ; -- Begin function _ZN7rocprim17ROCPRIM_400000_NS6detail17trampoline_kernelINS0_14default_configENS1_20scan_config_selectorIiEEZZNS1_9scan_implILNS1_25lookback_scan_determinismE0ELb0ELb0ES3_N6thrust23THRUST_200600_302600_NS6detail15normal_iteratorINS9_10device_ptrIiEEEESE_iNS9_4plusIvEEiEEDaPvRmT3_T4_T5_mT6_P12ihipStream_tbENKUlT_T0_E_clISt17integral_constantIbLb0EESU_EEDaSP_SQ_EUlSP_E_NS1_11comp_targetILNS1_3genE4ELNS1_11target_archE910ELNS1_3gpuE8ELNS1_3repE0EEENS1_30default_config_static_selectorELNS0_4arch9wavefront6targetE0EEEvT1_
	.globl	_ZN7rocprim17ROCPRIM_400000_NS6detail17trampoline_kernelINS0_14default_configENS1_20scan_config_selectorIiEEZZNS1_9scan_implILNS1_25lookback_scan_determinismE0ELb0ELb0ES3_N6thrust23THRUST_200600_302600_NS6detail15normal_iteratorINS9_10device_ptrIiEEEESE_iNS9_4plusIvEEiEEDaPvRmT3_T4_T5_mT6_P12ihipStream_tbENKUlT_T0_E_clISt17integral_constantIbLb0EESU_EEDaSP_SQ_EUlSP_E_NS1_11comp_targetILNS1_3genE4ELNS1_11target_archE910ELNS1_3gpuE8ELNS1_3repE0EEENS1_30default_config_static_selectorELNS0_4arch9wavefront6targetE0EEEvT1_
	.p2align	8
	.type	_ZN7rocprim17ROCPRIM_400000_NS6detail17trampoline_kernelINS0_14default_configENS1_20scan_config_selectorIiEEZZNS1_9scan_implILNS1_25lookback_scan_determinismE0ELb0ELb0ES3_N6thrust23THRUST_200600_302600_NS6detail15normal_iteratorINS9_10device_ptrIiEEEESE_iNS9_4plusIvEEiEEDaPvRmT3_T4_T5_mT6_P12ihipStream_tbENKUlT_T0_E_clISt17integral_constantIbLb0EESU_EEDaSP_SQ_EUlSP_E_NS1_11comp_targetILNS1_3genE4ELNS1_11target_archE910ELNS1_3gpuE8ELNS1_3repE0EEENS1_30default_config_static_selectorELNS0_4arch9wavefront6targetE0EEEvT1_,@function
_ZN7rocprim17ROCPRIM_400000_NS6detail17trampoline_kernelINS0_14default_configENS1_20scan_config_selectorIiEEZZNS1_9scan_implILNS1_25lookback_scan_determinismE0ELb0ELb0ES3_N6thrust23THRUST_200600_302600_NS6detail15normal_iteratorINS9_10device_ptrIiEEEESE_iNS9_4plusIvEEiEEDaPvRmT3_T4_T5_mT6_P12ihipStream_tbENKUlT_T0_E_clISt17integral_constantIbLb0EESU_EEDaSP_SQ_EUlSP_E_NS1_11comp_targetILNS1_3genE4ELNS1_11target_archE910ELNS1_3gpuE8ELNS1_3repE0EEENS1_30default_config_static_selectorELNS0_4arch9wavefront6targetE0EEEvT1_: ; @_ZN7rocprim17ROCPRIM_400000_NS6detail17trampoline_kernelINS0_14default_configENS1_20scan_config_selectorIiEEZZNS1_9scan_implILNS1_25lookback_scan_determinismE0ELb0ELb0ES3_N6thrust23THRUST_200600_302600_NS6detail15normal_iteratorINS9_10device_ptrIiEEEESE_iNS9_4plusIvEEiEEDaPvRmT3_T4_T5_mT6_P12ihipStream_tbENKUlT_T0_E_clISt17integral_constantIbLb0EESU_EEDaSP_SQ_EUlSP_E_NS1_11comp_targetILNS1_3genE4ELNS1_11target_archE910ELNS1_3gpuE8ELNS1_3repE0EEENS1_30default_config_static_selectorELNS0_4arch9wavefront6targetE0EEEvT1_
; %bb.0:
	.section	.rodata,"a",@progbits
	.p2align	6, 0x0
	.amdhsa_kernel _ZN7rocprim17ROCPRIM_400000_NS6detail17trampoline_kernelINS0_14default_configENS1_20scan_config_selectorIiEEZZNS1_9scan_implILNS1_25lookback_scan_determinismE0ELb0ELb0ES3_N6thrust23THRUST_200600_302600_NS6detail15normal_iteratorINS9_10device_ptrIiEEEESE_iNS9_4plusIvEEiEEDaPvRmT3_T4_T5_mT6_P12ihipStream_tbENKUlT_T0_E_clISt17integral_constantIbLb0EESU_EEDaSP_SQ_EUlSP_E_NS1_11comp_targetILNS1_3genE4ELNS1_11target_archE910ELNS1_3gpuE8ELNS1_3repE0EEENS1_30default_config_static_selectorELNS0_4arch9wavefront6targetE0EEEvT1_
		.amdhsa_group_segment_fixed_size 0
		.amdhsa_private_segment_fixed_size 0
		.amdhsa_kernarg_size 96
		.amdhsa_user_sgpr_count 2
		.amdhsa_user_sgpr_dispatch_ptr 0
		.amdhsa_user_sgpr_queue_ptr 0
		.amdhsa_user_sgpr_kernarg_segment_ptr 1
		.amdhsa_user_sgpr_dispatch_id 0
		.amdhsa_user_sgpr_kernarg_preload_length 0
		.amdhsa_user_sgpr_kernarg_preload_offset 0
		.amdhsa_user_sgpr_private_segment_size 0
		.amdhsa_wavefront_size32 1
		.amdhsa_uses_dynamic_stack 0
		.amdhsa_enable_private_segment 0
		.amdhsa_system_sgpr_workgroup_id_x 1
		.amdhsa_system_sgpr_workgroup_id_y 0
		.amdhsa_system_sgpr_workgroup_id_z 0
		.amdhsa_system_sgpr_workgroup_info 0
		.amdhsa_system_vgpr_workitem_id 0
		.amdhsa_next_free_vgpr 1
		.amdhsa_next_free_sgpr 1
		.amdhsa_named_barrier_count 0
		.amdhsa_reserve_vcc 0
		.amdhsa_float_round_mode_32 0
		.amdhsa_float_round_mode_16_64 0
		.amdhsa_float_denorm_mode_32 3
		.amdhsa_float_denorm_mode_16_64 3
		.amdhsa_fp16_overflow 0
		.amdhsa_memory_ordered 1
		.amdhsa_forward_progress 1
		.amdhsa_inst_pref_size 0
		.amdhsa_round_robin_scheduling 0
		.amdhsa_exception_fp_ieee_invalid_op 0
		.amdhsa_exception_fp_denorm_src 0
		.amdhsa_exception_fp_ieee_div_zero 0
		.amdhsa_exception_fp_ieee_overflow 0
		.amdhsa_exception_fp_ieee_underflow 0
		.amdhsa_exception_fp_ieee_inexact 0
		.amdhsa_exception_int_div_zero 0
	.end_amdhsa_kernel
	.section	.text._ZN7rocprim17ROCPRIM_400000_NS6detail17trampoline_kernelINS0_14default_configENS1_20scan_config_selectorIiEEZZNS1_9scan_implILNS1_25lookback_scan_determinismE0ELb0ELb0ES3_N6thrust23THRUST_200600_302600_NS6detail15normal_iteratorINS9_10device_ptrIiEEEESE_iNS9_4plusIvEEiEEDaPvRmT3_T4_T5_mT6_P12ihipStream_tbENKUlT_T0_E_clISt17integral_constantIbLb0EESU_EEDaSP_SQ_EUlSP_E_NS1_11comp_targetILNS1_3genE4ELNS1_11target_archE910ELNS1_3gpuE8ELNS1_3repE0EEENS1_30default_config_static_selectorELNS0_4arch9wavefront6targetE0EEEvT1_,"axG",@progbits,_ZN7rocprim17ROCPRIM_400000_NS6detail17trampoline_kernelINS0_14default_configENS1_20scan_config_selectorIiEEZZNS1_9scan_implILNS1_25lookback_scan_determinismE0ELb0ELb0ES3_N6thrust23THRUST_200600_302600_NS6detail15normal_iteratorINS9_10device_ptrIiEEEESE_iNS9_4plusIvEEiEEDaPvRmT3_T4_T5_mT6_P12ihipStream_tbENKUlT_T0_E_clISt17integral_constantIbLb0EESU_EEDaSP_SQ_EUlSP_E_NS1_11comp_targetILNS1_3genE4ELNS1_11target_archE910ELNS1_3gpuE8ELNS1_3repE0EEENS1_30default_config_static_selectorELNS0_4arch9wavefront6targetE0EEEvT1_,comdat
.Lfunc_end3:
	.size	_ZN7rocprim17ROCPRIM_400000_NS6detail17trampoline_kernelINS0_14default_configENS1_20scan_config_selectorIiEEZZNS1_9scan_implILNS1_25lookback_scan_determinismE0ELb0ELb0ES3_N6thrust23THRUST_200600_302600_NS6detail15normal_iteratorINS9_10device_ptrIiEEEESE_iNS9_4plusIvEEiEEDaPvRmT3_T4_T5_mT6_P12ihipStream_tbENKUlT_T0_E_clISt17integral_constantIbLb0EESU_EEDaSP_SQ_EUlSP_E_NS1_11comp_targetILNS1_3genE4ELNS1_11target_archE910ELNS1_3gpuE8ELNS1_3repE0EEENS1_30default_config_static_selectorELNS0_4arch9wavefront6targetE0EEEvT1_, .Lfunc_end3-_ZN7rocprim17ROCPRIM_400000_NS6detail17trampoline_kernelINS0_14default_configENS1_20scan_config_selectorIiEEZZNS1_9scan_implILNS1_25lookback_scan_determinismE0ELb0ELb0ES3_N6thrust23THRUST_200600_302600_NS6detail15normal_iteratorINS9_10device_ptrIiEEEESE_iNS9_4plusIvEEiEEDaPvRmT3_T4_T5_mT6_P12ihipStream_tbENKUlT_T0_E_clISt17integral_constantIbLb0EESU_EEDaSP_SQ_EUlSP_E_NS1_11comp_targetILNS1_3genE4ELNS1_11target_archE910ELNS1_3gpuE8ELNS1_3repE0EEENS1_30default_config_static_selectorELNS0_4arch9wavefront6targetE0EEEvT1_
                                        ; -- End function
	.set _ZN7rocprim17ROCPRIM_400000_NS6detail17trampoline_kernelINS0_14default_configENS1_20scan_config_selectorIiEEZZNS1_9scan_implILNS1_25lookback_scan_determinismE0ELb0ELb0ES3_N6thrust23THRUST_200600_302600_NS6detail15normal_iteratorINS9_10device_ptrIiEEEESE_iNS9_4plusIvEEiEEDaPvRmT3_T4_T5_mT6_P12ihipStream_tbENKUlT_T0_E_clISt17integral_constantIbLb0EESU_EEDaSP_SQ_EUlSP_E_NS1_11comp_targetILNS1_3genE4ELNS1_11target_archE910ELNS1_3gpuE8ELNS1_3repE0EEENS1_30default_config_static_selectorELNS0_4arch9wavefront6targetE0EEEvT1_.num_vgpr, 0
	.set _ZN7rocprim17ROCPRIM_400000_NS6detail17trampoline_kernelINS0_14default_configENS1_20scan_config_selectorIiEEZZNS1_9scan_implILNS1_25lookback_scan_determinismE0ELb0ELb0ES3_N6thrust23THRUST_200600_302600_NS6detail15normal_iteratorINS9_10device_ptrIiEEEESE_iNS9_4plusIvEEiEEDaPvRmT3_T4_T5_mT6_P12ihipStream_tbENKUlT_T0_E_clISt17integral_constantIbLb0EESU_EEDaSP_SQ_EUlSP_E_NS1_11comp_targetILNS1_3genE4ELNS1_11target_archE910ELNS1_3gpuE8ELNS1_3repE0EEENS1_30default_config_static_selectorELNS0_4arch9wavefront6targetE0EEEvT1_.num_agpr, 0
	.set _ZN7rocprim17ROCPRIM_400000_NS6detail17trampoline_kernelINS0_14default_configENS1_20scan_config_selectorIiEEZZNS1_9scan_implILNS1_25lookback_scan_determinismE0ELb0ELb0ES3_N6thrust23THRUST_200600_302600_NS6detail15normal_iteratorINS9_10device_ptrIiEEEESE_iNS9_4plusIvEEiEEDaPvRmT3_T4_T5_mT6_P12ihipStream_tbENKUlT_T0_E_clISt17integral_constantIbLb0EESU_EEDaSP_SQ_EUlSP_E_NS1_11comp_targetILNS1_3genE4ELNS1_11target_archE910ELNS1_3gpuE8ELNS1_3repE0EEENS1_30default_config_static_selectorELNS0_4arch9wavefront6targetE0EEEvT1_.numbered_sgpr, 0
	.set _ZN7rocprim17ROCPRIM_400000_NS6detail17trampoline_kernelINS0_14default_configENS1_20scan_config_selectorIiEEZZNS1_9scan_implILNS1_25lookback_scan_determinismE0ELb0ELb0ES3_N6thrust23THRUST_200600_302600_NS6detail15normal_iteratorINS9_10device_ptrIiEEEESE_iNS9_4plusIvEEiEEDaPvRmT3_T4_T5_mT6_P12ihipStream_tbENKUlT_T0_E_clISt17integral_constantIbLb0EESU_EEDaSP_SQ_EUlSP_E_NS1_11comp_targetILNS1_3genE4ELNS1_11target_archE910ELNS1_3gpuE8ELNS1_3repE0EEENS1_30default_config_static_selectorELNS0_4arch9wavefront6targetE0EEEvT1_.num_named_barrier, 0
	.set _ZN7rocprim17ROCPRIM_400000_NS6detail17trampoline_kernelINS0_14default_configENS1_20scan_config_selectorIiEEZZNS1_9scan_implILNS1_25lookback_scan_determinismE0ELb0ELb0ES3_N6thrust23THRUST_200600_302600_NS6detail15normal_iteratorINS9_10device_ptrIiEEEESE_iNS9_4plusIvEEiEEDaPvRmT3_T4_T5_mT6_P12ihipStream_tbENKUlT_T0_E_clISt17integral_constantIbLb0EESU_EEDaSP_SQ_EUlSP_E_NS1_11comp_targetILNS1_3genE4ELNS1_11target_archE910ELNS1_3gpuE8ELNS1_3repE0EEENS1_30default_config_static_selectorELNS0_4arch9wavefront6targetE0EEEvT1_.private_seg_size, 0
	.set _ZN7rocprim17ROCPRIM_400000_NS6detail17trampoline_kernelINS0_14default_configENS1_20scan_config_selectorIiEEZZNS1_9scan_implILNS1_25lookback_scan_determinismE0ELb0ELb0ES3_N6thrust23THRUST_200600_302600_NS6detail15normal_iteratorINS9_10device_ptrIiEEEESE_iNS9_4plusIvEEiEEDaPvRmT3_T4_T5_mT6_P12ihipStream_tbENKUlT_T0_E_clISt17integral_constantIbLb0EESU_EEDaSP_SQ_EUlSP_E_NS1_11comp_targetILNS1_3genE4ELNS1_11target_archE910ELNS1_3gpuE8ELNS1_3repE0EEENS1_30default_config_static_selectorELNS0_4arch9wavefront6targetE0EEEvT1_.uses_vcc, 0
	.set _ZN7rocprim17ROCPRIM_400000_NS6detail17trampoline_kernelINS0_14default_configENS1_20scan_config_selectorIiEEZZNS1_9scan_implILNS1_25lookback_scan_determinismE0ELb0ELb0ES3_N6thrust23THRUST_200600_302600_NS6detail15normal_iteratorINS9_10device_ptrIiEEEESE_iNS9_4plusIvEEiEEDaPvRmT3_T4_T5_mT6_P12ihipStream_tbENKUlT_T0_E_clISt17integral_constantIbLb0EESU_EEDaSP_SQ_EUlSP_E_NS1_11comp_targetILNS1_3genE4ELNS1_11target_archE910ELNS1_3gpuE8ELNS1_3repE0EEENS1_30default_config_static_selectorELNS0_4arch9wavefront6targetE0EEEvT1_.uses_flat_scratch, 0
	.set _ZN7rocprim17ROCPRIM_400000_NS6detail17trampoline_kernelINS0_14default_configENS1_20scan_config_selectorIiEEZZNS1_9scan_implILNS1_25lookback_scan_determinismE0ELb0ELb0ES3_N6thrust23THRUST_200600_302600_NS6detail15normal_iteratorINS9_10device_ptrIiEEEESE_iNS9_4plusIvEEiEEDaPvRmT3_T4_T5_mT6_P12ihipStream_tbENKUlT_T0_E_clISt17integral_constantIbLb0EESU_EEDaSP_SQ_EUlSP_E_NS1_11comp_targetILNS1_3genE4ELNS1_11target_archE910ELNS1_3gpuE8ELNS1_3repE0EEENS1_30default_config_static_selectorELNS0_4arch9wavefront6targetE0EEEvT1_.has_dyn_sized_stack, 0
	.set _ZN7rocprim17ROCPRIM_400000_NS6detail17trampoline_kernelINS0_14default_configENS1_20scan_config_selectorIiEEZZNS1_9scan_implILNS1_25lookback_scan_determinismE0ELb0ELb0ES3_N6thrust23THRUST_200600_302600_NS6detail15normal_iteratorINS9_10device_ptrIiEEEESE_iNS9_4plusIvEEiEEDaPvRmT3_T4_T5_mT6_P12ihipStream_tbENKUlT_T0_E_clISt17integral_constantIbLb0EESU_EEDaSP_SQ_EUlSP_E_NS1_11comp_targetILNS1_3genE4ELNS1_11target_archE910ELNS1_3gpuE8ELNS1_3repE0EEENS1_30default_config_static_selectorELNS0_4arch9wavefront6targetE0EEEvT1_.has_recursion, 0
	.set _ZN7rocprim17ROCPRIM_400000_NS6detail17trampoline_kernelINS0_14default_configENS1_20scan_config_selectorIiEEZZNS1_9scan_implILNS1_25lookback_scan_determinismE0ELb0ELb0ES3_N6thrust23THRUST_200600_302600_NS6detail15normal_iteratorINS9_10device_ptrIiEEEESE_iNS9_4plusIvEEiEEDaPvRmT3_T4_T5_mT6_P12ihipStream_tbENKUlT_T0_E_clISt17integral_constantIbLb0EESU_EEDaSP_SQ_EUlSP_E_NS1_11comp_targetILNS1_3genE4ELNS1_11target_archE910ELNS1_3gpuE8ELNS1_3repE0EEENS1_30default_config_static_selectorELNS0_4arch9wavefront6targetE0EEEvT1_.has_indirect_call, 0
	.section	.AMDGPU.csdata,"",@progbits
; Kernel info:
; codeLenInByte = 0
; TotalNumSgprs: 0
; NumVgprs: 0
; ScratchSize: 0
; MemoryBound: 0
; FloatMode: 240
; IeeeMode: 1
; LDSByteSize: 0 bytes/workgroup (compile time only)
; SGPRBlocks: 0
; VGPRBlocks: 0
; NumSGPRsForWavesPerEU: 1
; NumVGPRsForWavesPerEU: 1
; NamedBarCnt: 0
; Occupancy: 16
; WaveLimiterHint : 0
; COMPUTE_PGM_RSRC2:SCRATCH_EN: 0
; COMPUTE_PGM_RSRC2:USER_SGPR: 2
; COMPUTE_PGM_RSRC2:TRAP_HANDLER: 0
; COMPUTE_PGM_RSRC2:TGID_X_EN: 1
; COMPUTE_PGM_RSRC2:TGID_Y_EN: 0
; COMPUTE_PGM_RSRC2:TGID_Z_EN: 0
; COMPUTE_PGM_RSRC2:TIDIG_COMP_CNT: 0
	.section	.text._ZN7rocprim17ROCPRIM_400000_NS6detail17trampoline_kernelINS0_14default_configENS1_20scan_config_selectorIiEEZZNS1_9scan_implILNS1_25lookback_scan_determinismE0ELb0ELb0ES3_N6thrust23THRUST_200600_302600_NS6detail15normal_iteratorINS9_10device_ptrIiEEEESE_iNS9_4plusIvEEiEEDaPvRmT3_T4_T5_mT6_P12ihipStream_tbENKUlT_T0_E_clISt17integral_constantIbLb0EESU_EEDaSP_SQ_EUlSP_E_NS1_11comp_targetILNS1_3genE3ELNS1_11target_archE908ELNS1_3gpuE7ELNS1_3repE0EEENS1_30default_config_static_selectorELNS0_4arch9wavefront6targetE0EEEvT1_,"axG",@progbits,_ZN7rocprim17ROCPRIM_400000_NS6detail17trampoline_kernelINS0_14default_configENS1_20scan_config_selectorIiEEZZNS1_9scan_implILNS1_25lookback_scan_determinismE0ELb0ELb0ES3_N6thrust23THRUST_200600_302600_NS6detail15normal_iteratorINS9_10device_ptrIiEEEESE_iNS9_4plusIvEEiEEDaPvRmT3_T4_T5_mT6_P12ihipStream_tbENKUlT_T0_E_clISt17integral_constantIbLb0EESU_EEDaSP_SQ_EUlSP_E_NS1_11comp_targetILNS1_3genE3ELNS1_11target_archE908ELNS1_3gpuE7ELNS1_3repE0EEENS1_30default_config_static_selectorELNS0_4arch9wavefront6targetE0EEEvT1_,comdat
	.protected	_ZN7rocprim17ROCPRIM_400000_NS6detail17trampoline_kernelINS0_14default_configENS1_20scan_config_selectorIiEEZZNS1_9scan_implILNS1_25lookback_scan_determinismE0ELb0ELb0ES3_N6thrust23THRUST_200600_302600_NS6detail15normal_iteratorINS9_10device_ptrIiEEEESE_iNS9_4plusIvEEiEEDaPvRmT3_T4_T5_mT6_P12ihipStream_tbENKUlT_T0_E_clISt17integral_constantIbLb0EESU_EEDaSP_SQ_EUlSP_E_NS1_11comp_targetILNS1_3genE3ELNS1_11target_archE908ELNS1_3gpuE7ELNS1_3repE0EEENS1_30default_config_static_selectorELNS0_4arch9wavefront6targetE0EEEvT1_ ; -- Begin function _ZN7rocprim17ROCPRIM_400000_NS6detail17trampoline_kernelINS0_14default_configENS1_20scan_config_selectorIiEEZZNS1_9scan_implILNS1_25lookback_scan_determinismE0ELb0ELb0ES3_N6thrust23THRUST_200600_302600_NS6detail15normal_iteratorINS9_10device_ptrIiEEEESE_iNS9_4plusIvEEiEEDaPvRmT3_T4_T5_mT6_P12ihipStream_tbENKUlT_T0_E_clISt17integral_constantIbLb0EESU_EEDaSP_SQ_EUlSP_E_NS1_11comp_targetILNS1_3genE3ELNS1_11target_archE908ELNS1_3gpuE7ELNS1_3repE0EEENS1_30default_config_static_selectorELNS0_4arch9wavefront6targetE0EEEvT1_
	.globl	_ZN7rocprim17ROCPRIM_400000_NS6detail17trampoline_kernelINS0_14default_configENS1_20scan_config_selectorIiEEZZNS1_9scan_implILNS1_25lookback_scan_determinismE0ELb0ELb0ES3_N6thrust23THRUST_200600_302600_NS6detail15normal_iteratorINS9_10device_ptrIiEEEESE_iNS9_4plusIvEEiEEDaPvRmT3_T4_T5_mT6_P12ihipStream_tbENKUlT_T0_E_clISt17integral_constantIbLb0EESU_EEDaSP_SQ_EUlSP_E_NS1_11comp_targetILNS1_3genE3ELNS1_11target_archE908ELNS1_3gpuE7ELNS1_3repE0EEENS1_30default_config_static_selectorELNS0_4arch9wavefront6targetE0EEEvT1_
	.p2align	8
	.type	_ZN7rocprim17ROCPRIM_400000_NS6detail17trampoline_kernelINS0_14default_configENS1_20scan_config_selectorIiEEZZNS1_9scan_implILNS1_25lookback_scan_determinismE0ELb0ELb0ES3_N6thrust23THRUST_200600_302600_NS6detail15normal_iteratorINS9_10device_ptrIiEEEESE_iNS9_4plusIvEEiEEDaPvRmT3_T4_T5_mT6_P12ihipStream_tbENKUlT_T0_E_clISt17integral_constantIbLb0EESU_EEDaSP_SQ_EUlSP_E_NS1_11comp_targetILNS1_3genE3ELNS1_11target_archE908ELNS1_3gpuE7ELNS1_3repE0EEENS1_30default_config_static_selectorELNS0_4arch9wavefront6targetE0EEEvT1_,@function
_ZN7rocprim17ROCPRIM_400000_NS6detail17trampoline_kernelINS0_14default_configENS1_20scan_config_selectorIiEEZZNS1_9scan_implILNS1_25lookback_scan_determinismE0ELb0ELb0ES3_N6thrust23THRUST_200600_302600_NS6detail15normal_iteratorINS9_10device_ptrIiEEEESE_iNS9_4plusIvEEiEEDaPvRmT3_T4_T5_mT6_P12ihipStream_tbENKUlT_T0_E_clISt17integral_constantIbLb0EESU_EEDaSP_SQ_EUlSP_E_NS1_11comp_targetILNS1_3genE3ELNS1_11target_archE908ELNS1_3gpuE7ELNS1_3repE0EEENS1_30default_config_static_selectorELNS0_4arch9wavefront6targetE0EEEvT1_: ; @_ZN7rocprim17ROCPRIM_400000_NS6detail17trampoline_kernelINS0_14default_configENS1_20scan_config_selectorIiEEZZNS1_9scan_implILNS1_25lookback_scan_determinismE0ELb0ELb0ES3_N6thrust23THRUST_200600_302600_NS6detail15normal_iteratorINS9_10device_ptrIiEEEESE_iNS9_4plusIvEEiEEDaPvRmT3_T4_T5_mT6_P12ihipStream_tbENKUlT_T0_E_clISt17integral_constantIbLb0EESU_EEDaSP_SQ_EUlSP_E_NS1_11comp_targetILNS1_3genE3ELNS1_11target_archE908ELNS1_3gpuE7ELNS1_3repE0EEENS1_30default_config_static_selectorELNS0_4arch9wavefront6targetE0EEEvT1_
; %bb.0:
	.section	.rodata,"a",@progbits
	.p2align	6, 0x0
	.amdhsa_kernel _ZN7rocprim17ROCPRIM_400000_NS6detail17trampoline_kernelINS0_14default_configENS1_20scan_config_selectorIiEEZZNS1_9scan_implILNS1_25lookback_scan_determinismE0ELb0ELb0ES3_N6thrust23THRUST_200600_302600_NS6detail15normal_iteratorINS9_10device_ptrIiEEEESE_iNS9_4plusIvEEiEEDaPvRmT3_T4_T5_mT6_P12ihipStream_tbENKUlT_T0_E_clISt17integral_constantIbLb0EESU_EEDaSP_SQ_EUlSP_E_NS1_11comp_targetILNS1_3genE3ELNS1_11target_archE908ELNS1_3gpuE7ELNS1_3repE0EEENS1_30default_config_static_selectorELNS0_4arch9wavefront6targetE0EEEvT1_
		.amdhsa_group_segment_fixed_size 0
		.amdhsa_private_segment_fixed_size 0
		.amdhsa_kernarg_size 96
		.amdhsa_user_sgpr_count 2
		.amdhsa_user_sgpr_dispatch_ptr 0
		.amdhsa_user_sgpr_queue_ptr 0
		.amdhsa_user_sgpr_kernarg_segment_ptr 1
		.amdhsa_user_sgpr_dispatch_id 0
		.amdhsa_user_sgpr_kernarg_preload_length 0
		.amdhsa_user_sgpr_kernarg_preload_offset 0
		.amdhsa_user_sgpr_private_segment_size 0
		.amdhsa_wavefront_size32 1
		.amdhsa_uses_dynamic_stack 0
		.amdhsa_enable_private_segment 0
		.amdhsa_system_sgpr_workgroup_id_x 1
		.amdhsa_system_sgpr_workgroup_id_y 0
		.amdhsa_system_sgpr_workgroup_id_z 0
		.amdhsa_system_sgpr_workgroup_info 0
		.amdhsa_system_vgpr_workitem_id 0
		.amdhsa_next_free_vgpr 1
		.amdhsa_next_free_sgpr 1
		.amdhsa_named_barrier_count 0
		.amdhsa_reserve_vcc 0
		.amdhsa_float_round_mode_32 0
		.amdhsa_float_round_mode_16_64 0
		.amdhsa_float_denorm_mode_32 3
		.amdhsa_float_denorm_mode_16_64 3
		.amdhsa_fp16_overflow 0
		.amdhsa_memory_ordered 1
		.amdhsa_forward_progress 1
		.amdhsa_inst_pref_size 0
		.amdhsa_round_robin_scheduling 0
		.amdhsa_exception_fp_ieee_invalid_op 0
		.amdhsa_exception_fp_denorm_src 0
		.amdhsa_exception_fp_ieee_div_zero 0
		.amdhsa_exception_fp_ieee_overflow 0
		.amdhsa_exception_fp_ieee_underflow 0
		.amdhsa_exception_fp_ieee_inexact 0
		.amdhsa_exception_int_div_zero 0
	.end_amdhsa_kernel
	.section	.text._ZN7rocprim17ROCPRIM_400000_NS6detail17trampoline_kernelINS0_14default_configENS1_20scan_config_selectorIiEEZZNS1_9scan_implILNS1_25lookback_scan_determinismE0ELb0ELb0ES3_N6thrust23THRUST_200600_302600_NS6detail15normal_iteratorINS9_10device_ptrIiEEEESE_iNS9_4plusIvEEiEEDaPvRmT3_T4_T5_mT6_P12ihipStream_tbENKUlT_T0_E_clISt17integral_constantIbLb0EESU_EEDaSP_SQ_EUlSP_E_NS1_11comp_targetILNS1_3genE3ELNS1_11target_archE908ELNS1_3gpuE7ELNS1_3repE0EEENS1_30default_config_static_selectorELNS0_4arch9wavefront6targetE0EEEvT1_,"axG",@progbits,_ZN7rocprim17ROCPRIM_400000_NS6detail17trampoline_kernelINS0_14default_configENS1_20scan_config_selectorIiEEZZNS1_9scan_implILNS1_25lookback_scan_determinismE0ELb0ELb0ES3_N6thrust23THRUST_200600_302600_NS6detail15normal_iteratorINS9_10device_ptrIiEEEESE_iNS9_4plusIvEEiEEDaPvRmT3_T4_T5_mT6_P12ihipStream_tbENKUlT_T0_E_clISt17integral_constantIbLb0EESU_EEDaSP_SQ_EUlSP_E_NS1_11comp_targetILNS1_3genE3ELNS1_11target_archE908ELNS1_3gpuE7ELNS1_3repE0EEENS1_30default_config_static_selectorELNS0_4arch9wavefront6targetE0EEEvT1_,comdat
.Lfunc_end4:
	.size	_ZN7rocprim17ROCPRIM_400000_NS6detail17trampoline_kernelINS0_14default_configENS1_20scan_config_selectorIiEEZZNS1_9scan_implILNS1_25lookback_scan_determinismE0ELb0ELb0ES3_N6thrust23THRUST_200600_302600_NS6detail15normal_iteratorINS9_10device_ptrIiEEEESE_iNS9_4plusIvEEiEEDaPvRmT3_T4_T5_mT6_P12ihipStream_tbENKUlT_T0_E_clISt17integral_constantIbLb0EESU_EEDaSP_SQ_EUlSP_E_NS1_11comp_targetILNS1_3genE3ELNS1_11target_archE908ELNS1_3gpuE7ELNS1_3repE0EEENS1_30default_config_static_selectorELNS0_4arch9wavefront6targetE0EEEvT1_, .Lfunc_end4-_ZN7rocprim17ROCPRIM_400000_NS6detail17trampoline_kernelINS0_14default_configENS1_20scan_config_selectorIiEEZZNS1_9scan_implILNS1_25lookback_scan_determinismE0ELb0ELb0ES3_N6thrust23THRUST_200600_302600_NS6detail15normal_iteratorINS9_10device_ptrIiEEEESE_iNS9_4plusIvEEiEEDaPvRmT3_T4_T5_mT6_P12ihipStream_tbENKUlT_T0_E_clISt17integral_constantIbLb0EESU_EEDaSP_SQ_EUlSP_E_NS1_11comp_targetILNS1_3genE3ELNS1_11target_archE908ELNS1_3gpuE7ELNS1_3repE0EEENS1_30default_config_static_selectorELNS0_4arch9wavefront6targetE0EEEvT1_
                                        ; -- End function
	.set _ZN7rocprim17ROCPRIM_400000_NS6detail17trampoline_kernelINS0_14default_configENS1_20scan_config_selectorIiEEZZNS1_9scan_implILNS1_25lookback_scan_determinismE0ELb0ELb0ES3_N6thrust23THRUST_200600_302600_NS6detail15normal_iteratorINS9_10device_ptrIiEEEESE_iNS9_4plusIvEEiEEDaPvRmT3_T4_T5_mT6_P12ihipStream_tbENKUlT_T0_E_clISt17integral_constantIbLb0EESU_EEDaSP_SQ_EUlSP_E_NS1_11comp_targetILNS1_3genE3ELNS1_11target_archE908ELNS1_3gpuE7ELNS1_3repE0EEENS1_30default_config_static_selectorELNS0_4arch9wavefront6targetE0EEEvT1_.num_vgpr, 0
	.set _ZN7rocprim17ROCPRIM_400000_NS6detail17trampoline_kernelINS0_14default_configENS1_20scan_config_selectorIiEEZZNS1_9scan_implILNS1_25lookback_scan_determinismE0ELb0ELb0ES3_N6thrust23THRUST_200600_302600_NS6detail15normal_iteratorINS9_10device_ptrIiEEEESE_iNS9_4plusIvEEiEEDaPvRmT3_T4_T5_mT6_P12ihipStream_tbENKUlT_T0_E_clISt17integral_constantIbLb0EESU_EEDaSP_SQ_EUlSP_E_NS1_11comp_targetILNS1_3genE3ELNS1_11target_archE908ELNS1_3gpuE7ELNS1_3repE0EEENS1_30default_config_static_selectorELNS0_4arch9wavefront6targetE0EEEvT1_.num_agpr, 0
	.set _ZN7rocprim17ROCPRIM_400000_NS6detail17trampoline_kernelINS0_14default_configENS1_20scan_config_selectorIiEEZZNS1_9scan_implILNS1_25lookback_scan_determinismE0ELb0ELb0ES3_N6thrust23THRUST_200600_302600_NS6detail15normal_iteratorINS9_10device_ptrIiEEEESE_iNS9_4plusIvEEiEEDaPvRmT3_T4_T5_mT6_P12ihipStream_tbENKUlT_T0_E_clISt17integral_constantIbLb0EESU_EEDaSP_SQ_EUlSP_E_NS1_11comp_targetILNS1_3genE3ELNS1_11target_archE908ELNS1_3gpuE7ELNS1_3repE0EEENS1_30default_config_static_selectorELNS0_4arch9wavefront6targetE0EEEvT1_.numbered_sgpr, 0
	.set _ZN7rocprim17ROCPRIM_400000_NS6detail17trampoline_kernelINS0_14default_configENS1_20scan_config_selectorIiEEZZNS1_9scan_implILNS1_25lookback_scan_determinismE0ELb0ELb0ES3_N6thrust23THRUST_200600_302600_NS6detail15normal_iteratorINS9_10device_ptrIiEEEESE_iNS9_4plusIvEEiEEDaPvRmT3_T4_T5_mT6_P12ihipStream_tbENKUlT_T0_E_clISt17integral_constantIbLb0EESU_EEDaSP_SQ_EUlSP_E_NS1_11comp_targetILNS1_3genE3ELNS1_11target_archE908ELNS1_3gpuE7ELNS1_3repE0EEENS1_30default_config_static_selectorELNS0_4arch9wavefront6targetE0EEEvT1_.num_named_barrier, 0
	.set _ZN7rocprim17ROCPRIM_400000_NS6detail17trampoline_kernelINS0_14default_configENS1_20scan_config_selectorIiEEZZNS1_9scan_implILNS1_25lookback_scan_determinismE0ELb0ELb0ES3_N6thrust23THRUST_200600_302600_NS6detail15normal_iteratorINS9_10device_ptrIiEEEESE_iNS9_4plusIvEEiEEDaPvRmT3_T4_T5_mT6_P12ihipStream_tbENKUlT_T0_E_clISt17integral_constantIbLb0EESU_EEDaSP_SQ_EUlSP_E_NS1_11comp_targetILNS1_3genE3ELNS1_11target_archE908ELNS1_3gpuE7ELNS1_3repE0EEENS1_30default_config_static_selectorELNS0_4arch9wavefront6targetE0EEEvT1_.private_seg_size, 0
	.set _ZN7rocprim17ROCPRIM_400000_NS6detail17trampoline_kernelINS0_14default_configENS1_20scan_config_selectorIiEEZZNS1_9scan_implILNS1_25lookback_scan_determinismE0ELb0ELb0ES3_N6thrust23THRUST_200600_302600_NS6detail15normal_iteratorINS9_10device_ptrIiEEEESE_iNS9_4plusIvEEiEEDaPvRmT3_T4_T5_mT6_P12ihipStream_tbENKUlT_T0_E_clISt17integral_constantIbLb0EESU_EEDaSP_SQ_EUlSP_E_NS1_11comp_targetILNS1_3genE3ELNS1_11target_archE908ELNS1_3gpuE7ELNS1_3repE0EEENS1_30default_config_static_selectorELNS0_4arch9wavefront6targetE0EEEvT1_.uses_vcc, 0
	.set _ZN7rocprim17ROCPRIM_400000_NS6detail17trampoline_kernelINS0_14default_configENS1_20scan_config_selectorIiEEZZNS1_9scan_implILNS1_25lookback_scan_determinismE0ELb0ELb0ES3_N6thrust23THRUST_200600_302600_NS6detail15normal_iteratorINS9_10device_ptrIiEEEESE_iNS9_4plusIvEEiEEDaPvRmT3_T4_T5_mT6_P12ihipStream_tbENKUlT_T0_E_clISt17integral_constantIbLb0EESU_EEDaSP_SQ_EUlSP_E_NS1_11comp_targetILNS1_3genE3ELNS1_11target_archE908ELNS1_3gpuE7ELNS1_3repE0EEENS1_30default_config_static_selectorELNS0_4arch9wavefront6targetE0EEEvT1_.uses_flat_scratch, 0
	.set _ZN7rocprim17ROCPRIM_400000_NS6detail17trampoline_kernelINS0_14default_configENS1_20scan_config_selectorIiEEZZNS1_9scan_implILNS1_25lookback_scan_determinismE0ELb0ELb0ES3_N6thrust23THRUST_200600_302600_NS6detail15normal_iteratorINS9_10device_ptrIiEEEESE_iNS9_4plusIvEEiEEDaPvRmT3_T4_T5_mT6_P12ihipStream_tbENKUlT_T0_E_clISt17integral_constantIbLb0EESU_EEDaSP_SQ_EUlSP_E_NS1_11comp_targetILNS1_3genE3ELNS1_11target_archE908ELNS1_3gpuE7ELNS1_3repE0EEENS1_30default_config_static_selectorELNS0_4arch9wavefront6targetE0EEEvT1_.has_dyn_sized_stack, 0
	.set _ZN7rocprim17ROCPRIM_400000_NS6detail17trampoline_kernelINS0_14default_configENS1_20scan_config_selectorIiEEZZNS1_9scan_implILNS1_25lookback_scan_determinismE0ELb0ELb0ES3_N6thrust23THRUST_200600_302600_NS6detail15normal_iteratorINS9_10device_ptrIiEEEESE_iNS9_4plusIvEEiEEDaPvRmT3_T4_T5_mT6_P12ihipStream_tbENKUlT_T0_E_clISt17integral_constantIbLb0EESU_EEDaSP_SQ_EUlSP_E_NS1_11comp_targetILNS1_3genE3ELNS1_11target_archE908ELNS1_3gpuE7ELNS1_3repE0EEENS1_30default_config_static_selectorELNS0_4arch9wavefront6targetE0EEEvT1_.has_recursion, 0
	.set _ZN7rocprim17ROCPRIM_400000_NS6detail17trampoline_kernelINS0_14default_configENS1_20scan_config_selectorIiEEZZNS1_9scan_implILNS1_25lookback_scan_determinismE0ELb0ELb0ES3_N6thrust23THRUST_200600_302600_NS6detail15normal_iteratorINS9_10device_ptrIiEEEESE_iNS9_4plusIvEEiEEDaPvRmT3_T4_T5_mT6_P12ihipStream_tbENKUlT_T0_E_clISt17integral_constantIbLb0EESU_EEDaSP_SQ_EUlSP_E_NS1_11comp_targetILNS1_3genE3ELNS1_11target_archE908ELNS1_3gpuE7ELNS1_3repE0EEENS1_30default_config_static_selectorELNS0_4arch9wavefront6targetE0EEEvT1_.has_indirect_call, 0
	.section	.AMDGPU.csdata,"",@progbits
; Kernel info:
; codeLenInByte = 0
; TotalNumSgprs: 0
; NumVgprs: 0
; ScratchSize: 0
; MemoryBound: 0
; FloatMode: 240
; IeeeMode: 1
; LDSByteSize: 0 bytes/workgroup (compile time only)
; SGPRBlocks: 0
; VGPRBlocks: 0
; NumSGPRsForWavesPerEU: 1
; NumVGPRsForWavesPerEU: 1
; NamedBarCnt: 0
; Occupancy: 16
; WaveLimiterHint : 0
; COMPUTE_PGM_RSRC2:SCRATCH_EN: 0
; COMPUTE_PGM_RSRC2:USER_SGPR: 2
; COMPUTE_PGM_RSRC2:TRAP_HANDLER: 0
; COMPUTE_PGM_RSRC2:TGID_X_EN: 1
; COMPUTE_PGM_RSRC2:TGID_Y_EN: 0
; COMPUTE_PGM_RSRC2:TGID_Z_EN: 0
; COMPUTE_PGM_RSRC2:TIDIG_COMP_CNT: 0
	.section	.text._ZN7rocprim17ROCPRIM_400000_NS6detail17trampoline_kernelINS0_14default_configENS1_20scan_config_selectorIiEEZZNS1_9scan_implILNS1_25lookback_scan_determinismE0ELb0ELb0ES3_N6thrust23THRUST_200600_302600_NS6detail15normal_iteratorINS9_10device_ptrIiEEEESE_iNS9_4plusIvEEiEEDaPvRmT3_T4_T5_mT6_P12ihipStream_tbENKUlT_T0_E_clISt17integral_constantIbLb0EESU_EEDaSP_SQ_EUlSP_E_NS1_11comp_targetILNS1_3genE2ELNS1_11target_archE906ELNS1_3gpuE6ELNS1_3repE0EEENS1_30default_config_static_selectorELNS0_4arch9wavefront6targetE0EEEvT1_,"axG",@progbits,_ZN7rocprim17ROCPRIM_400000_NS6detail17trampoline_kernelINS0_14default_configENS1_20scan_config_selectorIiEEZZNS1_9scan_implILNS1_25lookback_scan_determinismE0ELb0ELb0ES3_N6thrust23THRUST_200600_302600_NS6detail15normal_iteratorINS9_10device_ptrIiEEEESE_iNS9_4plusIvEEiEEDaPvRmT3_T4_T5_mT6_P12ihipStream_tbENKUlT_T0_E_clISt17integral_constantIbLb0EESU_EEDaSP_SQ_EUlSP_E_NS1_11comp_targetILNS1_3genE2ELNS1_11target_archE906ELNS1_3gpuE6ELNS1_3repE0EEENS1_30default_config_static_selectorELNS0_4arch9wavefront6targetE0EEEvT1_,comdat
	.protected	_ZN7rocprim17ROCPRIM_400000_NS6detail17trampoline_kernelINS0_14default_configENS1_20scan_config_selectorIiEEZZNS1_9scan_implILNS1_25lookback_scan_determinismE0ELb0ELb0ES3_N6thrust23THRUST_200600_302600_NS6detail15normal_iteratorINS9_10device_ptrIiEEEESE_iNS9_4plusIvEEiEEDaPvRmT3_T4_T5_mT6_P12ihipStream_tbENKUlT_T0_E_clISt17integral_constantIbLb0EESU_EEDaSP_SQ_EUlSP_E_NS1_11comp_targetILNS1_3genE2ELNS1_11target_archE906ELNS1_3gpuE6ELNS1_3repE0EEENS1_30default_config_static_selectorELNS0_4arch9wavefront6targetE0EEEvT1_ ; -- Begin function _ZN7rocprim17ROCPRIM_400000_NS6detail17trampoline_kernelINS0_14default_configENS1_20scan_config_selectorIiEEZZNS1_9scan_implILNS1_25lookback_scan_determinismE0ELb0ELb0ES3_N6thrust23THRUST_200600_302600_NS6detail15normal_iteratorINS9_10device_ptrIiEEEESE_iNS9_4plusIvEEiEEDaPvRmT3_T4_T5_mT6_P12ihipStream_tbENKUlT_T0_E_clISt17integral_constantIbLb0EESU_EEDaSP_SQ_EUlSP_E_NS1_11comp_targetILNS1_3genE2ELNS1_11target_archE906ELNS1_3gpuE6ELNS1_3repE0EEENS1_30default_config_static_selectorELNS0_4arch9wavefront6targetE0EEEvT1_
	.globl	_ZN7rocprim17ROCPRIM_400000_NS6detail17trampoline_kernelINS0_14default_configENS1_20scan_config_selectorIiEEZZNS1_9scan_implILNS1_25lookback_scan_determinismE0ELb0ELb0ES3_N6thrust23THRUST_200600_302600_NS6detail15normal_iteratorINS9_10device_ptrIiEEEESE_iNS9_4plusIvEEiEEDaPvRmT3_T4_T5_mT6_P12ihipStream_tbENKUlT_T0_E_clISt17integral_constantIbLb0EESU_EEDaSP_SQ_EUlSP_E_NS1_11comp_targetILNS1_3genE2ELNS1_11target_archE906ELNS1_3gpuE6ELNS1_3repE0EEENS1_30default_config_static_selectorELNS0_4arch9wavefront6targetE0EEEvT1_
	.p2align	8
	.type	_ZN7rocprim17ROCPRIM_400000_NS6detail17trampoline_kernelINS0_14default_configENS1_20scan_config_selectorIiEEZZNS1_9scan_implILNS1_25lookback_scan_determinismE0ELb0ELb0ES3_N6thrust23THRUST_200600_302600_NS6detail15normal_iteratorINS9_10device_ptrIiEEEESE_iNS9_4plusIvEEiEEDaPvRmT3_T4_T5_mT6_P12ihipStream_tbENKUlT_T0_E_clISt17integral_constantIbLb0EESU_EEDaSP_SQ_EUlSP_E_NS1_11comp_targetILNS1_3genE2ELNS1_11target_archE906ELNS1_3gpuE6ELNS1_3repE0EEENS1_30default_config_static_selectorELNS0_4arch9wavefront6targetE0EEEvT1_,@function
_ZN7rocprim17ROCPRIM_400000_NS6detail17trampoline_kernelINS0_14default_configENS1_20scan_config_selectorIiEEZZNS1_9scan_implILNS1_25lookback_scan_determinismE0ELb0ELb0ES3_N6thrust23THRUST_200600_302600_NS6detail15normal_iteratorINS9_10device_ptrIiEEEESE_iNS9_4plusIvEEiEEDaPvRmT3_T4_T5_mT6_P12ihipStream_tbENKUlT_T0_E_clISt17integral_constantIbLb0EESU_EEDaSP_SQ_EUlSP_E_NS1_11comp_targetILNS1_3genE2ELNS1_11target_archE906ELNS1_3gpuE6ELNS1_3repE0EEENS1_30default_config_static_selectorELNS0_4arch9wavefront6targetE0EEEvT1_: ; @_ZN7rocprim17ROCPRIM_400000_NS6detail17trampoline_kernelINS0_14default_configENS1_20scan_config_selectorIiEEZZNS1_9scan_implILNS1_25lookback_scan_determinismE0ELb0ELb0ES3_N6thrust23THRUST_200600_302600_NS6detail15normal_iteratorINS9_10device_ptrIiEEEESE_iNS9_4plusIvEEiEEDaPvRmT3_T4_T5_mT6_P12ihipStream_tbENKUlT_T0_E_clISt17integral_constantIbLb0EESU_EEDaSP_SQ_EUlSP_E_NS1_11comp_targetILNS1_3genE2ELNS1_11target_archE906ELNS1_3gpuE6ELNS1_3repE0EEENS1_30default_config_static_selectorELNS0_4arch9wavefront6targetE0EEEvT1_
; %bb.0:
	.section	.rodata,"a",@progbits
	.p2align	6, 0x0
	.amdhsa_kernel _ZN7rocprim17ROCPRIM_400000_NS6detail17trampoline_kernelINS0_14default_configENS1_20scan_config_selectorIiEEZZNS1_9scan_implILNS1_25lookback_scan_determinismE0ELb0ELb0ES3_N6thrust23THRUST_200600_302600_NS6detail15normal_iteratorINS9_10device_ptrIiEEEESE_iNS9_4plusIvEEiEEDaPvRmT3_T4_T5_mT6_P12ihipStream_tbENKUlT_T0_E_clISt17integral_constantIbLb0EESU_EEDaSP_SQ_EUlSP_E_NS1_11comp_targetILNS1_3genE2ELNS1_11target_archE906ELNS1_3gpuE6ELNS1_3repE0EEENS1_30default_config_static_selectorELNS0_4arch9wavefront6targetE0EEEvT1_
		.amdhsa_group_segment_fixed_size 0
		.amdhsa_private_segment_fixed_size 0
		.amdhsa_kernarg_size 96
		.amdhsa_user_sgpr_count 2
		.amdhsa_user_sgpr_dispatch_ptr 0
		.amdhsa_user_sgpr_queue_ptr 0
		.amdhsa_user_sgpr_kernarg_segment_ptr 1
		.amdhsa_user_sgpr_dispatch_id 0
		.amdhsa_user_sgpr_kernarg_preload_length 0
		.amdhsa_user_sgpr_kernarg_preload_offset 0
		.amdhsa_user_sgpr_private_segment_size 0
		.amdhsa_wavefront_size32 1
		.amdhsa_uses_dynamic_stack 0
		.amdhsa_enable_private_segment 0
		.amdhsa_system_sgpr_workgroup_id_x 1
		.amdhsa_system_sgpr_workgroup_id_y 0
		.amdhsa_system_sgpr_workgroup_id_z 0
		.amdhsa_system_sgpr_workgroup_info 0
		.amdhsa_system_vgpr_workitem_id 0
		.amdhsa_next_free_vgpr 1
		.amdhsa_next_free_sgpr 1
		.amdhsa_named_barrier_count 0
		.amdhsa_reserve_vcc 0
		.amdhsa_float_round_mode_32 0
		.amdhsa_float_round_mode_16_64 0
		.amdhsa_float_denorm_mode_32 3
		.amdhsa_float_denorm_mode_16_64 3
		.amdhsa_fp16_overflow 0
		.amdhsa_memory_ordered 1
		.amdhsa_forward_progress 1
		.amdhsa_inst_pref_size 0
		.amdhsa_round_robin_scheduling 0
		.amdhsa_exception_fp_ieee_invalid_op 0
		.amdhsa_exception_fp_denorm_src 0
		.amdhsa_exception_fp_ieee_div_zero 0
		.amdhsa_exception_fp_ieee_overflow 0
		.amdhsa_exception_fp_ieee_underflow 0
		.amdhsa_exception_fp_ieee_inexact 0
		.amdhsa_exception_int_div_zero 0
	.end_amdhsa_kernel
	.section	.text._ZN7rocprim17ROCPRIM_400000_NS6detail17trampoline_kernelINS0_14default_configENS1_20scan_config_selectorIiEEZZNS1_9scan_implILNS1_25lookback_scan_determinismE0ELb0ELb0ES3_N6thrust23THRUST_200600_302600_NS6detail15normal_iteratorINS9_10device_ptrIiEEEESE_iNS9_4plusIvEEiEEDaPvRmT3_T4_T5_mT6_P12ihipStream_tbENKUlT_T0_E_clISt17integral_constantIbLb0EESU_EEDaSP_SQ_EUlSP_E_NS1_11comp_targetILNS1_3genE2ELNS1_11target_archE906ELNS1_3gpuE6ELNS1_3repE0EEENS1_30default_config_static_selectorELNS0_4arch9wavefront6targetE0EEEvT1_,"axG",@progbits,_ZN7rocprim17ROCPRIM_400000_NS6detail17trampoline_kernelINS0_14default_configENS1_20scan_config_selectorIiEEZZNS1_9scan_implILNS1_25lookback_scan_determinismE0ELb0ELb0ES3_N6thrust23THRUST_200600_302600_NS6detail15normal_iteratorINS9_10device_ptrIiEEEESE_iNS9_4plusIvEEiEEDaPvRmT3_T4_T5_mT6_P12ihipStream_tbENKUlT_T0_E_clISt17integral_constantIbLb0EESU_EEDaSP_SQ_EUlSP_E_NS1_11comp_targetILNS1_3genE2ELNS1_11target_archE906ELNS1_3gpuE6ELNS1_3repE0EEENS1_30default_config_static_selectorELNS0_4arch9wavefront6targetE0EEEvT1_,comdat
.Lfunc_end5:
	.size	_ZN7rocprim17ROCPRIM_400000_NS6detail17trampoline_kernelINS0_14default_configENS1_20scan_config_selectorIiEEZZNS1_9scan_implILNS1_25lookback_scan_determinismE0ELb0ELb0ES3_N6thrust23THRUST_200600_302600_NS6detail15normal_iteratorINS9_10device_ptrIiEEEESE_iNS9_4plusIvEEiEEDaPvRmT3_T4_T5_mT6_P12ihipStream_tbENKUlT_T0_E_clISt17integral_constantIbLb0EESU_EEDaSP_SQ_EUlSP_E_NS1_11comp_targetILNS1_3genE2ELNS1_11target_archE906ELNS1_3gpuE6ELNS1_3repE0EEENS1_30default_config_static_selectorELNS0_4arch9wavefront6targetE0EEEvT1_, .Lfunc_end5-_ZN7rocprim17ROCPRIM_400000_NS6detail17trampoline_kernelINS0_14default_configENS1_20scan_config_selectorIiEEZZNS1_9scan_implILNS1_25lookback_scan_determinismE0ELb0ELb0ES3_N6thrust23THRUST_200600_302600_NS6detail15normal_iteratorINS9_10device_ptrIiEEEESE_iNS9_4plusIvEEiEEDaPvRmT3_T4_T5_mT6_P12ihipStream_tbENKUlT_T0_E_clISt17integral_constantIbLb0EESU_EEDaSP_SQ_EUlSP_E_NS1_11comp_targetILNS1_3genE2ELNS1_11target_archE906ELNS1_3gpuE6ELNS1_3repE0EEENS1_30default_config_static_selectorELNS0_4arch9wavefront6targetE0EEEvT1_
                                        ; -- End function
	.set _ZN7rocprim17ROCPRIM_400000_NS6detail17trampoline_kernelINS0_14default_configENS1_20scan_config_selectorIiEEZZNS1_9scan_implILNS1_25lookback_scan_determinismE0ELb0ELb0ES3_N6thrust23THRUST_200600_302600_NS6detail15normal_iteratorINS9_10device_ptrIiEEEESE_iNS9_4plusIvEEiEEDaPvRmT3_T4_T5_mT6_P12ihipStream_tbENKUlT_T0_E_clISt17integral_constantIbLb0EESU_EEDaSP_SQ_EUlSP_E_NS1_11comp_targetILNS1_3genE2ELNS1_11target_archE906ELNS1_3gpuE6ELNS1_3repE0EEENS1_30default_config_static_selectorELNS0_4arch9wavefront6targetE0EEEvT1_.num_vgpr, 0
	.set _ZN7rocprim17ROCPRIM_400000_NS6detail17trampoline_kernelINS0_14default_configENS1_20scan_config_selectorIiEEZZNS1_9scan_implILNS1_25lookback_scan_determinismE0ELb0ELb0ES3_N6thrust23THRUST_200600_302600_NS6detail15normal_iteratorINS9_10device_ptrIiEEEESE_iNS9_4plusIvEEiEEDaPvRmT3_T4_T5_mT6_P12ihipStream_tbENKUlT_T0_E_clISt17integral_constantIbLb0EESU_EEDaSP_SQ_EUlSP_E_NS1_11comp_targetILNS1_3genE2ELNS1_11target_archE906ELNS1_3gpuE6ELNS1_3repE0EEENS1_30default_config_static_selectorELNS0_4arch9wavefront6targetE0EEEvT1_.num_agpr, 0
	.set _ZN7rocprim17ROCPRIM_400000_NS6detail17trampoline_kernelINS0_14default_configENS1_20scan_config_selectorIiEEZZNS1_9scan_implILNS1_25lookback_scan_determinismE0ELb0ELb0ES3_N6thrust23THRUST_200600_302600_NS6detail15normal_iteratorINS9_10device_ptrIiEEEESE_iNS9_4plusIvEEiEEDaPvRmT3_T4_T5_mT6_P12ihipStream_tbENKUlT_T0_E_clISt17integral_constantIbLb0EESU_EEDaSP_SQ_EUlSP_E_NS1_11comp_targetILNS1_3genE2ELNS1_11target_archE906ELNS1_3gpuE6ELNS1_3repE0EEENS1_30default_config_static_selectorELNS0_4arch9wavefront6targetE0EEEvT1_.numbered_sgpr, 0
	.set _ZN7rocprim17ROCPRIM_400000_NS6detail17trampoline_kernelINS0_14default_configENS1_20scan_config_selectorIiEEZZNS1_9scan_implILNS1_25lookback_scan_determinismE0ELb0ELb0ES3_N6thrust23THRUST_200600_302600_NS6detail15normal_iteratorINS9_10device_ptrIiEEEESE_iNS9_4plusIvEEiEEDaPvRmT3_T4_T5_mT6_P12ihipStream_tbENKUlT_T0_E_clISt17integral_constantIbLb0EESU_EEDaSP_SQ_EUlSP_E_NS1_11comp_targetILNS1_3genE2ELNS1_11target_archE906ELNS1_3gpuE6ELNS1_3repE0EEENS1_30default_config_static_selectorELNS0_4arch9wavefront6targetE0EEEvT1_.num_named_barrier, 0
	.set _ZN7rocprim17ROCPRIM_400000_NS6detail17trampoline_kernelINS0_14default_configENS1_20scan_config_selectorIiEEZZNS1_9scan_implILNS1_25lookback_scan_determinismE0ELb0ELb0ES3_N6thrust23THRUST_200600_302600_NS6detail15normal_iteratorINS9_10device_ptrIiEEEESE_iNS9_4plusIvEEiEEDaPvRmT3_T4_T5_mT6_P12ihipStream_tbENKUlT_T0_E_clISt17integral_constantIbLb0EESU_EEDaSP_SQ_EUlSP_E_NS1_11comp_targetILNS1_3genE2ELNS1_11target_archE906ELNS1_3gpuE6ELNS1_3repE0EEENS1_30default_config_static_selectorELNS0_4arch9wavefront6targetE0EEEvT1_.private_seg_size, 0
	.set _ZN7rocprim17ROCPRIM_400000_NS6detail17trampoline_kernelINS0_14default_configENS1_20scan_config_selectorIiEEZZNS1_9scan_implILNS1_25lookback_scan_determinismE0ELb0ELb0ES3_N6thrust23THRUST_200600_302600_NS6detail15normal_iteratorINS9_10device_ptrIiEEEESE_iNS9_4plusIvEEiEEDaPvRmT3_T4_T5_mT6_P12ihipStream_tbENKUlT_T0_E_clISt17integral_constantIbLb0EESU_EEDaSP_SQ_EUlSP_E_NS1_11comp_targetILNS1_3genE2ELNS1_11target_archE906ELNS1_3gpuE6ELNS1_3repE0EEENS1_30default_config_static_selectorELNS0_4arch9wavefront6targetE0EEEvT1_.uses_vcc, 0
	.set _ZN7rocprim17ROCPRIM_400000_NS6detail17trampoline_kernelINS0_14default_configENS1_20scan_config_selectorIiEEZZNS1_9scan_implILNS1_25lookback_scan_determinismE0ELb0ELb0ES3_N6thrust23THRUST_200600_302600_NS6detail15normal_iteratorINS9_10device_ptrIiEEEESE_iNS9_4plusIvEEiEEDaPvRmT3_T4_T5_mT6_P12ihipStream_tbENKUlT_T0_E_clISt17integral_constantIbLb0EESU_EEDaSP_SQ_EUlSP_E_NS1_11comp_targetILNS1_3genE2ELNS1_11target_archE906ELNS1_3gpuE6ELNS1_3repE0EEENS1_30default_config_static_selectorELNS0_4arch9wavefront6targetE0EEEvT1_.uses_flat_scratch, 0
	.set _ZN7rocprim17ROCPRIM_400000_NS6detail17trampoline_kernelINS0_14default_configENS1_20scan_config_selectorIiEEZZNS1_9scan_implILNS1_25lookback_scan_determinismE0ELb0ELb0ES3_N6thrust23THRUST_200600_302600_NS6detail15normal_iteratorINS9_10device_ptrIiEEEESE_iNS9_4plusIvEEiEEDaPvRmT3_T4_T5_mT6_P12ihipStream_tbENKUlT_T0_E_clISt17integral_constantIbLb0EESU_EEDaSP_SQ_EUlSP_E_NS1_11comp_targetILNS1_3genE2ELNS1_11target_archE906ELNS1_3gpuE6ELNS1_3repE0EEENS1_30default_config_static_selectorELNS0_4arch9wavefront6targetE0EEEvT1_.has_dyn_sized_stack, 0
	.set _ZN7rocprim17ROCPRIM_400000_NS6detail17trampoline_kernelINS0_14default_configENS1_20scan_config_selectorIiEEZZNS1_9scan_implILNS1_25lookback_scan_determinismE0ELb0ELb0ES3_N6thrust23THRUST_200600_302600_NS6detail15normal_iteratorINS9_10device_ptrIiEEEESE_iNS9_4plusIvEEiEEDaPvRmT3_T4_T5_mT6_P12ihipStream_tbENKUlT_T0_E_clISt17integral_constantIbLb0EESU_EEDaSP_SQ_EUlSP_E_NS1_11comp_targetILNS1_3genE2ELNS1_11target_archE906ELNS1_3gpuE6ELNS1_3repE0EEENS1_30default_config_static_selectorELNS0_4arch9wavefront6targetE0EEEvT1_.has_recursion, 0
	.set _ZN7rocprim17ROCPRIM_400000_NS6detail17trampoline_kernelINS0_14default_configENS1_20scan_config_selectorIiEEZZNS1_9scan_implILNS1_25lookback_scan_determinismE0ELb0ELb0ES3_N6thrust23THRUST_200600_302600_NS6detail15normal_iteratorINS9_10device_ptrIiEEEESE_iNS9_4plusIvEEiEEDaPvRmT3_T4_T5_mT6_P12ihipStream_tbENKUlT_T0_E_clISt17integral_constantIbLb0EESU_EEDaSP_SQ_EUlSP_E_NS1_11comp_targetILNS1_3genE2ELNS1_11target_archE906ELNS1_3gpuE6ELNS1_3repE0EEENS1_30default_config_static_selectorELNS0_4arch9wavefront6targetE0EEEvT1_.has_indirect_call, 0
	.section	.AMDGPU.csdata,"",@progbits
; Kernel info:
; codeLenInByte = 0
; TotalNumSgprs: 0
; NumVgprs: 0
; ScratchSize: 0
; MemoryBound: 0
; FloatMode: 240
; IeeeMode: 1
; LDSByteSize: 0 bytes/workgroup (compile time only)
; SGPRBlocks: 0
; VGPRBlocks: 0
; NumSGPRsForWavesPerEU: 1
; NumVGPRsForWavesPerEU: 1
; NamedBarCnt: 0
; Occupancy: 16
; WaveLimiterHint : 0
; COMPUTE_PGM_RSRC2:SCRATCH_EN: 0
; COMPUTE_PGM_RSRC2:USER_SGPR: 2
; COMPUTE_PGM_RSRC2:TRAP_HANDLER: 0
; COMPUTE_PGM_RSRC2:TGID_X_EN: 1
; COMPUTE_PGM_RSRC2:TGID_Y_EN: 0
; COMPUTE_PGM_RSRC2:TGID_Z_EN: 0
; COMPUTE_PGM_RSRC2:TIDIG_COMP_CNT: 0
	.section	.text._ZN7rocprim17ROCPRIM_400000_NS6detail17trampoline_kernelINS0_14default_configENS1_20scan_config_selectorIiEEZZNS1_9scan_implILNS1_25lookback_scan_determinismE0ELb0ELb0ES3_N6thrust23THRUST_200600_302600_NS6detail15normal_iteratorINS9_10device_ptrIiEEEESE_iNS9_4plusIvEEiEEDaPvRmT3_T4_T5_mT6_P12ihipStream_tbENKUlT_T0_E_clISt17integral_constantIbLb0EESU_EEDaSP_SQ_EUlSP_E_NS1_11comp_targetILNS1_3genE10ELNS1_11target_archE1201ELNS1_3gpuE5ELNS1_3repE0EEENS1_30default_config_static_selectorELNS0_4arch9wavefront6targetE0EEEvT1_,"axG",@progbits,_ZN7rocprim17ROCPRIM_400000_NS6detail17trampoline_kernelINS0_14default_configENS1_20scan_config_selectorIiEEZZNS1_9scan_implILNS1_25lookback_scan_determinismE0ELb0ELb0ES3_N6thrust23THRUST_200600_302600_NS6detail15normal_iteratorINS9_10device_ptrIiEEEESE_iNS9_4plusIvEEiEEDaPvRmT3_T4_T5_mT6_P12ihipStream_tbENKUlT_T0_E_clISt17integral_constantIbLb0EESU_EEDaSP_SQ_EUlSP_E_NS1_11comp_targetILNS1_3genE10ELNS1_11target_archE1201ELNS1_3gpuE5ELNS1_3repE0EEENS1_30default_config_static_selectorELNS0_4arch9wavefront6targetE0EEEvT1_,comdat
	.protected	_ZN7rocprim17ROCPRIM_400000_NS6detail17trampoline_kernelINS0_14default_configENS1_20scan_config_selectorIiEEZZNS1_9scan_implILNS1_25lookback_scan_determinismE0ELb0ELb0ES3_N6thrust23THRUST_200600_302600_NS6detail15normal_iteratorINS9_10device_ptrIiEEEESE_iNS9_4plusIvEEiEEDaPvRmT3_T4_T5_mT6_P12ihipStream_tbENKUlT_T0_E_clISt17integral_constantIbLb0EESU_EEDaSP_SQ_EUlSP_E_NS1_11comp_targetILNS1_3genE10ELNS1_11target_archE1201ELNS1_3gpuE5ELNS1_3repE0EEENS1_30default_config_static_selectorELNS0_4arch9wavefront6targetE0EEEvT1_ ; -- Begin function _ZN7rocprim17ROCPRIM_400000_NS6detail17trampoline_kernelINS0_14default_configENS1_20scan_config_selectorIiEEZZNS1_9scan_implILNS1_25lookback_scan_determinismE0ELb0ELb0ES3_N6thrust23THRUST_200600_302600_NS6detail15normal_iteratorINS9_10device_ptrIiEEEESE_iNS9_4plusIvEEiEEDaPvRmT3_T4_T5_mT6_P12ihipStream_tbENKUlT_T0_E_clISt17integral_constantIbLb0EESU_EEDaSP_SQ_EUlSP_E_NS1_11comp_targetILNS1_3genE10ELNS1_11target_archE1201ELNS1_3gpuE5ELNS1_3repE0EEENS1_30default_config_static_selectorELNS0_4arch9wavefront6targetE0EEEvT1_
	.globl	_ZN7rocprim17ROCPRIM_400000_NS6detail17trampoline_kernelINS0_14default_configENS1_20scan_config_selectorIiEEZZNS1_9scan_implILNS1_25lookback_scan_determinismE0ELb0ELb0ES3_N6thrust23THRUST_200600_302600_NS6detail15normal_iteratorINS9_10device_ptrIiEEEESE_iNS9_4plusIvEEiEEDaPvRmT3_T4_T5_mT6_P12ihipStream_tbENKUlT_T0_E_clISt17integral_constantIbLb0EESU_EEDaSP_SQ_EUlSP_E_NS1_11comp_targetILNS1_3genE10ELNS1_11target_archE1201ELNS1_3gpuE5ELNS1_3repE0EEENS1_30default_config_static_selectorELNS0_4arch9wavefront6targetE0EEEvT1_
	.p2align	8
	.type	_ZN7rocprim17ROCPRIM_400000_NS6detail17trampoline_kernelINS0_14default_configENS1_20scan_config_selectorIiEEZZNS1_9scan_implILNS1_25lookback_scan_determinismE0ELb0ELb0ES3_N6thrust23THRUST_200600_302600_NS6detail15normal_iteratorINS9_10device_ptrIiEEEESE_iNS9_4plusIvEEiEEDaPvRmT3_T4_T5_mT6_P12ihipStream_tbENKUlT_T0_E_clISt17integral_constantIbLb0EESU_EEDaSP_SQ_EUlSP_E_NS1_11comp_targetILNS1_3genE10ELNS1_11target_archE1201ELNS1_3gpuE5ELNS1_3repE0EEENS1_30default_config_static_selectorELNS0_4arch9wavefront6targetE0EEEvT1_,@function
_ZN7rocprim17ROCPRIM_400000_NS6detail17trampoline_kernelINS0_14default_configENS1_20scan_config_selectorIiEEZZNS1_9scan_implILNS1_25lookback_scan_determinismE0ELb0ELb0ES3_N6thrust23THRUST_200600_302600_NS6detail15normal_iteratorINS9_10device_ptrIiEEEESE_iNS9_4plusIvEEiEEDaPvRmT3_T4_T5_mT6_P12ihipStream_tbENKUlT_T0_E_clISt17integral_constantIbLb0EESU_EEDaSP_SQ_EUlSP_E_NS1_11comp_targetILNS1_3genE10ELNS1_11target_archE1201ELNS1_3gpuE5ELNS1_3repE0EEENS1_30default_config_static_selectorELNS0_4arch9wavefront6targetE0EEEvT1_: ; @_ZN7rocprim17ROCPRIM_400000_NS6detail17trampoline_kernelINS0_14default_configENS1_20scan_config_selectorIiEEZZNS1_9scan_implILNS1_25lookback_scan_determinismE0ELb0ELb0ES3_N6thrust23THRUST_200600_302600_NS6detail15normal_iteratorINS9_10device_ptrIiEEEESE_iNS9_4plusIvEEiEEDaPvRmT3_T4_T5_mT6_P12ihipStream_tbENKUlT_T0_E_clISt17integral_constantIbLb0EESU_EEDaSP_SQ_EUlSP_E_NS1_11comp_targetILNS1_3genE10ELNS1_11target_archE1201ELNS1_3gpuE5ELNS1_3repE0EEENS1_30default_config_static_selectorELNS0_4arch9wavefront6targetE0EEEvT1_
; %bb.0:
	.section	.rodata,"a",@progbits
	.p2align	6, 0x0
	.amdhsa_kernel _ZN7rocprim17ROCPRIM_400000_NS6detail17trampoline_kernelINS0_14default_configENS1_20scan_config_selectorIiEEZZNS1_9scan_implILNS1_25lookback_scan_determinismE0ELb0ELb0ES3_N6thrust23THRUST_200600_302600_NS6detail15normal_iteratorINS9_10device_ptrIiEEEESE_iNS9_4plusIvEEiEEDaPvRmT3_T4_T5_mT6_P12ihipStream_tbENKUlT_T0_E_clISt17integral_constantIbLb0EESU_EEDaSP_SQ_EUlSP_E_NS1_11comp_targetILNS1_3genE10ELNS1_11target_archE1201ELNS1_3gpuE5ELNS1_3repE0EEENS1_30default_config_static_selectorELNS0_4arch9wavefront6targetE0EEEvT1_
		.amdhsa_group_segment_fixed_size 0
		.amdhsa_private_segment_fixed_size 0
		.amdhsa_kernarg_size 96
		.amdhsa_user_sgpr_count 2
		.amdhsa_user_sgpr_dispatch_ptr 0
		.amdhsa_user_sgpr_queue_ptr 0
		.amdhsa_user_sgpr_kernarg_segment_ptr 1
		.amdhsa_user_sgpr_dispatch_id 0
		.amdhsa_user_sgpr_kernarg_preload_length 0
		.amdhsa_user_sgpr_kernarg_preload_offset 0
		.amdhsa_user_sgpr_private_segment_size 0
		.amdhsa_wavefront_size32 1
		.amdhsa_uses_dynamic_stack 0
		.amdhsa_enable_private_segment 0
		.amdhsa_system_sgpr_workgroup_id_x 1
		.amdhsa_system_sgpr_workgroup_id_y 0
		.amdhsa_system_sgpr_workgroup_id_z 0
		.amdhsa_system_sgpr_workgroup_info 0
		.amdhsa_system_vgpr_workitem_id 0
		.amdhsa_next_free_vgpr 1
		.amdhsa_next_free_sgpr 1
		.amdhsa_named_barrier_count 0
		.amdhsa_reserve_vcc 0
		.amdhsa_float_round_mode_32 0
		.amdhsa_float_round_mode_16_64 0
		.amdhsa_float_denorm_mode_32 3
		.amdhsa_float_denorm_mode_16_64 3
		.amdhsa_fp16_overflow 0
		.amdhsa_memory_ordered 1
		.amdhsa_forward_progress 1
		.amdhsa_inst_pref_size 0
		.amdhsa_round_robin_scheduling 0
		.amdhsa_exception_fp_ieee_invalid_op 0
		.amdhsa_exception_fp_denorm_src 0
		.amdhsa_exception_fp_ieee_div_zero 0
		.amdhsa_exception_fp_ieee_overflow 0
		.amdhsa_exception_fp_ieee_underflow 0
		.amdhsa_exception_fp_ieee_inexact 0
		.amdhsa_exception_int_div_zero 0
	.end_amdhsa_kernel
	.section	.text._ZN7rocprim17ROCPRIM_400000_NS6detail17trampoline_kernelINS0_14default_configENS1_20scan_config_selectorIiEEZZNS1_9scan_implILNS1_25lookback_scan_determinismE0ELb0ELb0ES3_N6thrust23THRUST_200600_302600_NS6detail15normal_iteratorINS9_10device_ptrIiEEEESE_iNS9_4plusIvEEiEEDaPvRmT3_T4_T5_mT6_P12ihipStream_tbENKUlT_T0_E_clISt17integral_constantIbLb0EESU_EEDaSP_SQ_EUlSP_E_NS1_11comp_targetILNS1_3genE10ELNS1_11target_archE1201ELNS1_3gpuE5ELNS1_3repE0EEENS1_30default_config_static_selectorELNS0_4arch9wavefront6targetE0EEEvT1_,"axG",@progbits,_ZN7rocprim17ROCPRIM_400000_NS6detail17trampoline_kernelINS0_14default_configENS1_20scan_config_selectorIiEEZZNS1_9scan_implILNS1_25lookback_scan_determinismE0ELb0ELb0ES3_N6thrust23THRUST_200600_302600_NS6detail15normal_iteratorINS9_10device_ptrIiEEEESE_iNS9_4plusIvEEiEEDaPvRmT3_T4_T5_mT6_P12ihipStream_tbENKUlT_T0_E_clISt17integral_constantIbLb0EESU_EEDaSP_SQ_EUlSP_E_NS1_11comp_targetILNS1_3genE10ELNS1_11target_archE1201ELNS1_3gpuE5ELNS1_3repE0EEENS1_30default_config_static_selectorELNS0_4arch9wavefront6targetE0EEEvT1_,comdat
.Lfunc_end6:
	.size	_ZN7rocprim17ROCPRIM_400000_NS6detail17trampoline_kernelINS0_14default_configENS1_20scan_config_selectorIiEEZZNS1_9scan_implILNS1_25lookback_scan_determinismE0ELb0ELb0ES3_N6thrust23THRUST_200600_302600_NS6detail15normal_iteratorINS9_10device_ptrIiEEEESE_iNS9_4plusIvEEiEEDaPvRmT3_T4_T5_mT6_P12ihipStream_tbENKUlT_T0_E_clISt17integral_constantIbLb0EESU_EEDaSP_SQ_EUlSP_E_NS1_11comp_targetILNS1_3genE10ELNS1_11target_archE1201ELNS1_3gpuE5ELNS1_3repE0EEENS1_30default_config_static_selectorELNS0_4arch9wavefront6targetE0EEEvT1_, .Lfunc_end6-_ZN7rocprim17ROCPRIM_400000_NS6detail17trampoline_kernelINS0_14default_configENS1_20scan_config_selectorIiEEZZNS1_9scan_implILNS1_25lookback_scan_determinismE0ELb0ELb0ES3_N6thrust23THRUST_200600_302600_NS6detail15normal_iteratorINS9_10device_ptrIiEEEESE_iNS9_4plusIvEEiEEDaPvRmT3_T4_T5_mT6_P12ihipStream_tbENKUlT_T0_E_clISt17integral_constantIbLb0EESU_EEDaSP_SQ_EUlSP_E_NS1_11comp_targetILNS1_3genE10ELNS1_11target_archE1201ELNS1_3gpuE5ELNS1_3repE0EEENS1_30default_config_static_selectorELNS0_4arch9wavefront6targetE0EEEvT1_
                                        ; -- End function
	.set _ZN7rocprim17ROCPRIM_400000_NS6detail17trampoline_kernelINS0_14default_configENS1_20scan_config_selectorIiEEZZNS1_9scan_implILNS1_25lookback_scan_determinismE0ELb0ELb0ES3_N6thrust23THRUST_200600_302600_NS6detail15normal_iteratorINS9_10device_ptrIiEEEESE_iNS9_4plusIvEEiEEDaPvRmT3_T4_T5_mT6_P12ihipStream_tbENKUlT_T0_E_clISt17integral_constantIbLb0EESU_EEDaSP_SQ_EUlSP_E_NS1_11comp_targetILNS1_3genE10ELNS1_11target_archE1201ELNS1_3gpuE5ELNS1_3repE0EEENS1_30default_config_static_selectorELNS0_4arch9wavefront6targetE0EEEvT1_.num_vgpr, 0
	.set _ZN7rocprim17ROCPRIM_400000_NS6detail17trampoline_kernelINS0_14default_configENS1_20scan_config_selectorIiEEZZNS1_9scan_implILNS1_25lookback_scan_determinismE0ELb0ELb0ES3_N6thrust23THRUST_200600_302600_NS6detail15normal_iteratorINS9_10device_ptrIiEEEESE_iNS9_4plusIvEEiEEDaPvRmT3_T4_T5_mT6_P12ihipStream_tbENKUlT_T0_E_clISt17integral_constantIbLb0EESU_EEDaSP_SQ_EUlSP_E_NS1_11comp_targetILNS1_3genE10ELNS1_11target_archE1201ELNS1_3gpuE5ELNS1_3repE0EEENS1_30default_config_static_selectorELNS0_4arch9wavefront6targetE0EEEvT1_.num_agpr, 0
	.set _ZN7rocprim17ROCPRIM_400000_NS6detail17trampoline_kernelINS0_14default_configENS1_20scan_config_selectorIiEEZZNS1_9scan_implILNS1_25lookback_scan_determinismE0ELb0ELb0ES3_N6thrust23THRUST_200600_302600_NS6detail15normal_iteratorINS9_10device_ptrIiEEEESE_iNS9_4plusIvEEiEEDaPvRmT3_T4_T5_mT6_P12ihipStream_tbENKUlT_T0_E_clISt17integral_constantIbLb0EESU_EEDaSP_SQ_EUlSP_E_NS1_11comp_targetILNS1_3genE10ELNS1_11target_archE1201ELNS1_3gpuE5ELNS1_3repE0EEENS1_30default_config_static_selectorELNS0_4arch9wavefront6targetE0EEEvT1_.numbered_sgpr, 0
	.set _ZN7rocprim17ROCPRIM_400000_NS6detail17trampoline_kernelINS0_14default_configENS1_20scan_config_selectorIiEEZZNS1_9scan_implILNS1_25lookback_scan_determinismE0ELb0ELb0ES3_N6thrust23THRUST_200600_302600_NS6detail15normal_iteratorINS9_10device_ptrIiEEEESE_iNS9_4plusIvEEiEEDaPvRmT3_T4_T5_mT6_P12ihipStream_tbENKUlT_T0_E_clISt17integral_constantIbLb0EESU_EEDaSP_SQ_EUlSP_E_NS1_11comp_targetILNS1_3genE10ELNS1_11target_archE1201ELNS1_3gpuE5ELNS1_3repE0EEENS1_30default_config_static_selectorELNS0_4arch9wavefront6targetE0EEEvT1_.num_named_barrier, 0
	.set _ZN7rocprim17ROCPRIM_400000_NS6detail17trampoline_kernelINS0_14default_configENS1_20scan_config_selectorIiEEZZNS1_9scan_implILNS1_25lookback_scan_determinismE0ELb0ELb0ES3_N6thrust23THRUST_200600_302600_NS6detail15normal_iteratorINS9_10device_ptrIiEEEESE_iNS9_4plusIvEEiEEDaPvRmT3_T4_T5_mT6_P12ihipStream_tbENKUlT_T0_E_clISt17integral_constantIbLb0EESU_EEDaSP_SQ_EUlSP_E_NS1_11comp_targetILNS1_3genE10ELNS1_11target_archE1201ELNS1_3gpuE5ELNS1_3repE0EEENS1_30default_config_static_selectorELNS0_4arch9wavefront6targetE0EEEvT1_.private_seg_size, 0
	.set _ZN7rocprim17ROCPRIM_400000_NS6detail17trampoline_kernelINS0_14default_configENS1_20scan_config_selectorIiEEZZNS1_9scan_implILNS1_25lookback_scan_determinismE0ELb0ELb0ES3_N6thrust23THRUST_200600_302600_NS6detail15normal_iteratorINS9_10device_ptrIiEEEESE_iNS9_4plusIvEEiEEDaPvRmT3_T4_T5_mT6_P12ihipStream_tbENKUlT_T0_E_clISt17integral_constantIbLb0EESU_EEDaSP_SQ_EUlSP_E_NS1_11comp_targetILNS1_3genE10ELNS1_11target_archE1201ELNS1_3gpuE5ELNS1_3repE0EEENS1_30default_config_static_selectorELNS0_4arch9wavefront6targetE0EEEvT1_.uses_vcc, 0
	.set _ZN7rocprim17ROCPRIM_400000_NS6detail17trampoline_kernelINS0_14default_configENS1_20scan_config_selectorIiEEZZNS1_9scan_implILNS1_25lookback_scan_determinismE0ELb0ELb0ES3_N6thrust23THRUST_200600_302600_NS6detail15normal_iteratorINS9_10device_ptrIiEEEESE_iNS9_4plusIvEEiEEDaPvRmT3_T4_T5_mT6_P12ihipStream_tbENKUlT_T0_E_clISt17integral_constantIbLb0EESU_EEDaSP_SQ_EUlSP_E_NS1_11comp_targetILNS1_3genE10ELNS1_11target_archE1201ELNS1_3gpuE5ELNS1_3repE0EEENS1_30default_config_static_selectorELNS0_4arch9wavefront6targetE0EEEvT1_.uses_flat_scratch, 0
	.set _ZN7rocprim17ROCPRIM_400000_NS6detail17trampoline_kernelINS0_14default_configENS1_20scan_config_selectorIiEEZZNS1_9scan_implILNS1_25lookback_scan_determinismE0ELb0ELb0ES3_N6thrust23THRUST_200600_302600_NS6detail15normal_iteratorINS9_10device_ptrIiEEEESE_iNS9_4plusIvEEiEEDaPvRmT3_T4_T5_mT6_P12ihipStream_tbENKUlT_T0_E_clISt17integral_constantIbLb0EESU_EEDaSP_SQ_EUlSP_E_NS1_11comp_targetILNS1_3genE10ELNS1_11target_archE1201ELNS1_3gpuE5ELNS1_3repE0EEENS1_30default_config_static_selectorELNS0_4arch9wavefront6targetE0EEEvT1_.has_dyn_sized_stack, 0
	.set _ZN7rocprim17ROCPRIM_400000_NS6detail17trampoline_kernelINS0_14default_configENS1_20scan_config_selectorIiEEZZNS1_9scan_implILNS1_25lookback_scan_determinismE0ELb0ELb0ES3_N6thrust23THRUST_200600_302600_NS6detail15normal_iteratorINS9_10device_ptrIiEEEESE_iNS9_4plusIvEEiEEDaPvRmT3_T4_T5_mT6_P12ihipStream_tbENKUlT_T0_E_clISt17integral_constantIbLb0EESU_EEDaSP_SQ_EUlSP_E_NS1_11comp_targetILNS1_3genE10ELNS1_11target_archE1201ELNS1_3gpuE5ELNS1_3repE0EEENS1_30default_config_static_selectorELNS0_4arch9wavefront6targetE0EEEvT1_.has_recursion, 0
	.set _ZN7rocprim17ROCPRIM_400000_NS6detail17trampoline_kernelINS0_14default_configENS1_20scan_config_selectorIiEEZZNS1_9scan_implILNS1_25lookback_scan_determinismE0ELb0ELb0ES3_N6thrust23THRUST_200600_302600_NS6detail15normal_iteratorINS9_10device_ptrIiEEEESE_iNS9_4plusIvEEiEEDaPvRmT3_T4_T5_mT6_P12ihipStream_tbENKUlT_T0_E_clISt17integral_constantIbLb0EESU_EEDaSP_SQ_EUlSP_E_NS1_11comp_targetILNS1_3genE10ELNS1_11target_archE1201ELNS1_3gpuE5ELNS1_3repE0EEENS1_30default_config_static_selectorELNS0_4arch9wavefront6targetE0EEEvT1_.has_indirect_call, 0
	.section	.AMDGPU.csdata,"",@progbits
; Kernel info:
; codeLenInByte = 0
; TotalNumSgprs: 0
; NumVgprs: 0
; ScratchSize: 0
; MemoryBound: 0
; FloatMode: 240
; IeeeMode: 1
; LDSByteSize: 0 bytes/workgroup (compile time only)
; SGPRBlocks: 0
; VGPRBlocks: 0
; NumSGPRsForWavesPerEU: 1
; NumVGPRsForWavesPerEU: 1
; NamedBarCnt: 0
; Occupancy: 16
; WaveLimiterHint : 0
; COMPUTE_PGM_RSRC2:SCRATCH_EN: 0
; COMPUTE_PGM_RSRC2:USER_SGPR: 2
; COMPUTE_PGM_RSRC2:TRAP_HANDLER: 0
; COMPUTE_PGM_RSRC2:TGID_X_EN: 1
; COMPUTE_PGM_RSRC2:TGID_Y_EN: 0
; COMPUTE_PGM_RSRC2:TGID_Z_EN: 0
; COMPUTE_PGM_RSRC2:TIDIG_COMP_CNT: 0
	.section	.text._ZN7rocprim17ROCPRIM_400000_NS6detail17trampoline_kernelINS0_14default_configENS1_20scan_config_selectorIiEEZZNS1_9scan_implILNS1_25lookback_scan_determinismE0ELb0ELb0ES3_N6thrust23THRUST_200600_302600_NS6detail15normal_iteratorINS9_10device_ptrIiEEEESE_iNS9_4plusIvEEiEEDaPvRmT3_T4_T5_mT6_P12ihipStream_tbENKUlT_T0_E_clISt17integral_constantIbLb0EESU_EEDaSP_SQ_EUlSP_E_NS1_11comp_targetILNS1_3genE10ELNS1_11target_archE1200ELNS1_3gpuE4ELNS1_3repE0EEENS1_30default_config_static_selectorELNS0_4arch9wavefront6targetE0EEEvT1_,"axG",@progbits,_ZN7rocprim17ROCPRIM_400000_NS6detail17trampoline_kernelINS0_14default_configENS1_20scan_config_selectorIiEEZZNS1_9scan_implILNS1_25lookback_scan_determinismE0ELb0ELb0ES3_N6thrust23THRUST_200600_302600_NS6detail15normal_iteratorINS9_10device_ptrIiEEEESE_iNS9_4plusIvEEiEEDaPvRmT3_T4_T5_mT6_P12ihipStream_tbENKUlT_T0_E_clISt17integral_constantIbLb0EESU_EEDaSP_SQ_EUlSP_E_NS1_11comp_targetILNS1_3genE10ELNS1_11target_archE1200ELNS1_3gpuE4ELNS1_3repE0EEENS1_30default_config_static_selectorELNS0_4arch9wavefront6targetE0EEEvT1_,comdat
	.protected	_ZN7rocprim17ROCPRIM_400000_NS6detail17trampoline_kernelINS0_14default_configENS1_20scan_config_selectorIiEEZZNS1_9scan_implILNS1_25lookback_scan_determinismE0ELb0ELb0ES3_N6thrust23THRUST_200600_302600_NS6detail15normal_iteratorINS9_10device_ptrIiEEEESE_iNS9_4plusIvEEiEEDaPvRmT3_T4_T5_mT6_P12ihipStream_tbENKUlT_T0_E_clISt17integral_constantIbLb0EESU_EEDaSP_SQ_EUlSP_E_NS1_11comp_targetILNS1_3genE10ELNS1_11target_archE1200ELNS1_3gpuE4ELNS1_3repE0EEENS1_30default_config_static_selectorELNS0_4arch9wavefront6targetE0EEEvT1_ ; -- Begin function _ZN7rocprim17ROCPRIM_400000_NS6detail17trampoline_kernelINS0_14default_configENS1_20scan_config_selectorIiEEZZNS1_9scan_implILNS1_25lookback_scan_determinismE0ELb0ELb0ES3_N6thrust23THRUST_200600_302600_NS6detail15normal_iteratorINS9_10device_ptrIiEEEESE_iNS9_4plusIvEEiEEDaPvRmT3_T4_T5_mT6_P12ihipStream_tbENKUlT_T0_E_clISt17integral_constantIbLb0EESU_EEDaSP_SQ_EUlSP_E_NS1_11comp_targetILNS1_3genE10ELNS1_11target_archE1200ELNS1_3gpuE4ELNS1_3repE0EEENS1_30default_config_static_selectorELNS0_4arch9wavefront6targetE0EEEvT1_
	.globl	_ZN7rocprim17ROCPRIM_400000_NS6detail17trampoline_kernelINS0_14default_configENS1_20scan_config_selectorIiEEZZNS1_9scan_implILNS1_25lookback_scan_determinismE0ELb0ELb0ES3_N6thrust23THRUST_200600_302600_NS6detail15normal_iteratorINS9_10device_ptrIiEEEESE_iNS9_4plusIvEEiEEDaPvRmT3_T4_T5_mT6_P12ihipStream_tbENKUlT_T0_E_clISt17integral_constantIbLb0EESU_EEDaSP_SQ_EUlSP_E_NS1_11comp_targetILNS1_3genE10ELNS1_11target_archE1200ELNS1_3gpuE4ELNS1_3repE0EEENS1_30default_config_static_selectorELNS0_4arch9wavefront6targetE0EEEvT1_
	.p2align	8
	.type	_ZN7rocprim17ROCPRIM_400000_NS6detail17trampoline_kernelINS0_14default_configENS1_20scan_config_selectorIiEEZZNS1_9scan_implILNS1_25lookback_scan_determinismE0ELb0ELb0ES3_N6thrust23THRUST_200600_302600_NS6detail15normal_iteratorINS9_10device_ptrIiEEEESE_iNS9_4plusIvEEiEEDaPvRmT3_T4_T5_mT6_P12ihipStream_tbENKUlT_T0_E_clISt17integral_constantIbLb0EESU_EEDaSP_SQ_EUlSP_E_NS1_11comp_targetILNS1_3genE10ELNS1_11target_archE1200ELNS1_3gpuE4ELNS1_3repE0EEENS1_30default_config_static_selectorELNS0_4arch9wavefront6targetE0EEEvT1_,@function
_ZN7rocprim17ROCPRIM_400000_NS6detail17trampoline_kernelINS0_14default_configENS1_20scan_config_selectorIiEEZZNS1_9scan_implILNS1_25lookback_scan_determinismE0ELb0ELb0ES3_N6thrust23THRUST_200600_302600_NS6detail15normal_iteratorINS9_10device_ptrIiEEEESE_iNS9_4plusIvEEiEEDaPvRmT3_T4_T5_mT6_P12ihipStream_tbENKUlT_T0_E_clISt17integral_constantIbLb0EESU_EEDaSP_SQ_EUlSP_E_NS1_11comp_targetILNS1_3genE10ELNS1_11target_archE1200ELNS1_3gpuE4ELNS1_3repE0EEENS1_30default_config_static_selectorELNS0_4arch9wavefront6targetE0EEEvT1_: ; @_ZN7rocprim17ROCPRIM_400000_NS6detail17trampoline_kernelINS0_14default_configENS1_20scan_config_selectorIiEEZZNS1_9scan_implILNS1_25lookback_scan_determinismE0ELb0ELb0ES3_N6thrust23THRUST_200600_302600_NS6detail15normal_iteratorINS9_10device_ptrIiEEEESE_iNS9_4plusIvEEiEEDaPvRmT3_T4_T5_mT6_P12ihipStream_tbENKUlT_T0_E_clISt17integral_constantIbLb0EESU_EEDaSP_SQ_EUlSP_E_NS1_11comp_targetILNS1_3genE10ELNS1_11target_archE1200ELNS1_3gpuE4ELNS1_3repE0EEENS1_30default_config_static_selectorELNS0_4arch9wavefront6targetE0EEEvT1_
; %bb.0:
	.section	.rodata,"a",@progbits
	.p2align	6, 0x0
	.amdhsa_kernel _ZN7rocprim17ROCPRIM_400000_NS6detail17trampoline_kernelINS0_14default_configENS1_20scan_config_selectorIiEEZZNS1_9scan_implILNS1_25lookback_scan_determinismE0ELb0ELb0ES3_N6thrust23THRUST_200600_302600_NS6detail15normal_iteratorINS9_10device_ptrIiEEEESE_iNS9_4plusIvEEiEEDaPvRmT3_T4_T5_mT6_P12ihipStream_tbENKUlT_T0_E_clISt17integral_constantIbLb0EESU_EEDaSP_SQ_EUlSP_E_NS1_11comp_targetILNS1_3genE10ELNS1_11target_archE1200ELNS1_3gpuE4ELNS1_3repE0EEENS1_30default_config_static_selectorELNS0_4arch9wavefront6targetE0EEEvT1_
		.amdhsa_group_segment_fixed_size 0
		.amdhsa_private_segment_fixed_size 0
		.amdhsa_kernarg_size 96
		.amdhsa_user_sgpr_count 2
		.amdhsa_user_sgpr_dispatch_ptr 0
		.amdhsa_user_sgpr_queue_ptr 0
		.amdhsa_user_sgpr_kernarg_segment_ptr 1
		.amdhsa_user_sgpr_dispatch_id 0
		.amdhsa_user_sgpr_kernarg_preload_length 0
		.amdhsa_user_sgpr_kernarg_preload_offset 0
		.amdhsa_user_sgpr_private_segment_size 0
		.amdhsa_wavefront_size32 1
		.amdhsa_uses_dynamic_stack 0
		.amdhsa_enable_private_segment 0
		.amdhsa_system_sgpr_workgroup_id_x 1
		.amdhsa_system_sgpr_workgroup_id_y 0
		.amdhsa_system_sgpr_workgroup_id_z 0
		.amdhsa_system_sgpr_workgroup_info 0
		.amdhsa_system_vgpr_workitem_id 0
		.amdhsa_next_free_vgpr 1
		.amdhsa_next_free_sgpr 1
		.amdhsa_named_barrier_count 0
		.amdhsa_reserve_vcc 0
		.amdhsa_float_round_mode_32 0
		.amdhsa_float_round_mode_16_64 0
		.amdhsa_float_denorm_mode_32 3
		.amdhsa_float_denorm_mode_16_64 3
		.amdhsa_fp16_overflow 0
		.amdhsa_memory_ordered 1
		.amdhsa_forward_progress 1
		.amdhsa_inst_pref_size 0
		.amdhsa_round_robin_scheduling 0
		.amdhsa_exception_fp_ieee_invalid_op 0
		.amdhsa_exception_fp_denorm_src 0
		.amdhsa_exception_fp_ieee_div_zero 0
		.amdhsa_exception_fp_ieee_overflow 0
		.amdhsa_exception_fp_ieee_underflow 0
		.amdhsa_exception_fp_ieee_inexact 0
		.amdhsa_exception_int_div_zero 0
	.end_amdhsa_kernel
	.section	.text._ZN7rocprim17ROCPRIM_400000_NS6detail17trampoline_kernelINS0_14default_configENS1_20scan_config_selectorIiEEZZNS1_9scan_implILNS1_25lookback_scan_determinismE0ELb0ELb0ES3_N6thrust23THRUST_200600_302600_NS6detail15normal_iteratorINS9_10device_ptrIiEEEESE_iNS9_4plusIvEEiEEDaPvRmT3_T4_T5_mT6_P12ihipStream_tbENKUlT_T0_E_clISt17integral_constantIbLb0EESU_EEDaSP_SQ_EUlSP_E_NS1_11comp_targetILNS1_3genE10ELNS1_11target_archE1200ELNS1_3gpuE4ELNS1_3repE0EEENS1_30default_config_static_selectorELNS0_4arch9wavefront6targetE0EEEvT1_,"axG",@progbits,_ZN7rocprim17ROCPRIM_400000_NS6detail17trampoline_kernelINS0_14default_configENS1_20scan_config_selectorIiEEZZNS1_9scan_implILNS1_25lookback_scan_determinismE0ELb0ELb0ES3_N6thrust23THRUST_200600_302600_NS6detail15normal_iteratorINS9_10device_ptrIiEEEESE_iNS9_4plusIvEEiEEDaPvRmT3_T4_T5_mT6_P12ihipStream_tbENKUlT_T0_E_clISt17integral_constantIbLb0EESU_EEDaSP_SQ_EUlSP_E_NS1_11comp_targetILNS1_3genE10ELNS1_11target_archE1200ELNS1_3gpuE4ELNS1_3repE0EEENS1_30default_config_static_selectorELNS0_4arch9wavefront6targetE0EEEvT1_,comdat
.Lfunc_end7:
	.size	_ZN7rocprim17ROCPRIM_400000_NS6detail17trampoline_kernelINS0_14default_configENS1_20scan_config_selectorIiEEZZNS1_9scan_implILNS1_25lookback_scan_determinismE0ELb0ELb0ES3_N6thrust23THRUST_200600_302600_NS6detail15normal_iteratorINS9_10device_ptrIiEEEESE_iNS9_4plusIvEEiEEDaPvRmT3_T4_T5_mT6_P12ihipStream_tbENKUlT_T0_E_clISt17integral_constantIbLb0EESU_EEDaSP_SQ_EUlSP_E_NS1_11comp_targetILNS1_3genE10ELNS1_11target_archE1200ELNS1_3gpuE4ELNS1_3repE0EEENS1_30default_config_static_selectorELNS0_4arch9wavefront6targetE0EEEvT1_, .Lfunc_end7-_ZN7rocprim17ROCPRIM_400000_NS6detail17trampoline_kernelINS0_14default_configENS1_20scan_config_selectorIiEEZZNS1_9scan_implILNS1_25lookback_scan_determinismE0ELb0ELb0ES3_N6thrust23THRUST_200600_302600_NS6detail15normal_iteratorINS9_10device_ptrIiEEEESE_iNS9_4plusIvEEiEEDaPvRmT3_T4_T5_mT6_P12ihipStream_tbENKUlT_T0_E_clISt17integral_constantIbLb0EESU_EEDaSP_SQ_EUlSP_E_NS1_11comp_targetILNS1_3genE10ELNS1_11target_archE1200ELNS1_3gpuE4ELNS1_3repE0EEENS1_30default_config_static_selectorELNS0_4arch9wavefront6targetE0EEEvT1_
                                        ; -- End function
	.set _ZN7rocprim17ROCPRIM_400000_NS6detail17trampoline_kernelINS0_14default_configENS1_20scan_config_selectorIiEEZZNS1_9scan_implILNS1_25lookback_scan_determinismE0ELb0ELb0ES3_N6thrust23THRUST_200600_302600_NS6detail15normal_iteratorINS9_10device_ptrIiEEEESE_iNS9_4plusIvEEiEEDaPvRmT3_T4_T5_mT6_P12ihipStream_tbENKUlT_T0_E_clISt17integral_constantIbLb0EESU_EEDaSP_SQ_EUlSP_E_NS1_11comp_targetILNS1_3genE10ELNS1_11target_archE1200ELNS1_3gpuE4ELNS1_3repE0EEENS1_30default_config_static_selectorELNS0_4arch9wavefront6targetE0EEEvT1_.num_vgpr, 0
	.set _ZN7rocprim17ROCPRIM_400000_NS6detail17trampoline_kernelINS0_14default_configENS1_20scan_config_selectorIiEEZZNS1_9scan_implILNS1_25lookback_scan_determinismE0ELb0ELb0ES3_N6thrust23THRUST_200600_302600_NS6detail15normal_iteratorINS9_10device_ptrIiEEEESE_iNS9_4plusIvEEiEEDaPvRmT3_T4_T5_mT6_P12ihipStream_tbENKUlT_T0_E_clISt17integral_constantIbLb0EESU_EEDaSP_SQ_EUlSP_E_NS1_11comp_targetILNS1_3genE10ELNS1_11target_archE1200ELNS1_3gpuE4ELNS1_3repE0EEENS1_30default_config_static_selectorELNS0_4arch9wavefront6targetE0EEEvT1_.num_agpr, 0
	.set _ZN7rocprim17ROCPRIM_400000_NS6detail17trampoline_kernelINS0_14default_configENS1_20scan_config_selectorIiEEZZNS1_9scan_implILNS1_25lookback_scan_determinismE0ELb0ELb0ES3_N6thrust23THRUST_200600_302600_NS6detail15normal_iteratorINS9_10device_ptrIiEEEESE_iNS9_4plusIvEEiEEDaPvRmT3_T4_T5_mT6_P12ihipStream_tbENKUlT_T0_E_clISt17integral_constantIbLb0EESU_EEDaSP_SQ_EUlSP_E_NS1_11comp_targetILNS1_3genE10ELNS1_11target_archE1200ELNS1_3gpuE4ELNS1_3repE0EEENS1_30default_config_static_selectorELNS0_4arch9wavefront6targetE0EEEvT1_.numbered_sgpr, 0
	.set _ZN7rocprim17ROCPRIM_400000_NS6detail17trampoline_kernelINS0_14default_configENS1_20scan_config_selectorIiEEZZNS1_9scan_implILNS1_25lookback_scan_determinismE0ELb0ELb0ES3_N6thrust23THRUST_200600_302600_NS6detail15normal_iteratorINS9_10device_ptrIiEEEESE_iNS9_4plusIvEEiEEDaPvRmT3_T4_T5_mT6_P12ihipStream_tbENKUlT_T0_E_clISt17integral_constantIbLb0EESU_EEDaSP_SQ_EUlSP_E_NS1_11comp_targetILNS1_3genE10ELNS1_11target_archE1200ELNS1_3gpuE4ELNS1_3repE0EEENS1_30default_config_static_selectorELNS0_4arch9wavefront6targetE0EEEvT1_.num_named_barrier, 0
	.set _ZN7rocprim17ROCPRIM_400000_NS6detail17trampoline_kernelINS0_14default_configENS1_20scan_config_selectorIiEEZZNS1_9scan_implILNS1_25lookback_scan_determinismE0ELb0ELb0ES3_N6thrust23THRUST_200600_302600_NS6detail15normal_iteratorINS9_10device_ptrIiEEEESE_iNS9_4plusIvEEiEEDaPvRmT3_T4_T5_mT6_P12ihipStream_tbENKUlT_T0_E_clISt17integral_constantIbLb0EESU_EEDaSP_SQ_EUlSP_E_NS1_11comp_targetILNS1_3genE10ELNS1_11target_archE1200ELNS1_3gpuE4ELNS1_3repE0EEENS1_30default_config_static_selectorELNS0_4arch9wavefront6targetE0EEEvT1_.private_seg_size, 0
	.set _ZN7rocprim17ROCPRIM_400000_NS6detail17trampoline_kernelINS0_14default_configENS1_20scan_config_selectorIiEEZZNS1_9scan_implILNS1_25lookback_scan_determinismE0ELb0ELb0ES3_N6thrust23THRUST_200600_302600_NS6detail15normal_iteratorINS9_10device_ptrIiEEEESE_iNS9_4plusIvEEiEEDaPvRmT3_T4_T5_mT6_P12ihipStream_tbENKUlT_T0_E_clISt17integral_constantIbLb0EESU_EEDaSP_SQ_EUlSP_E_NS1_11comp_targetILNS1_3genE10ELNS1_11target_archE1200ELNS1_3gpuE4ELNS1_3repE0EEENS1_30default_config_static_selectorELNS0_4arch9wavefront6targetE0EEEvT1_.uses_vcc, 0
	.set _ZN7rocprim17ROCPRIM_400000_NS6detail17trampoline_kernelINS0_14default_configENS1_20scan_config_selectorIiEEZZNS1_9scan_implILNS1_25lookback_scan_determinismE0ELb0ELb0ES3_N6thrust23THRUST_200600_302600_NS6detail15normal_iteratorINS9_10device_ptrIiEEEESE_iNS9_4plusIvEEiEEDaPvRmT3_T4_T5_mT6_P12ihipStream_tbENKUlT_T0_E_clISt17integral_constantIbLb0EESU_EEDaSP_SQ_EUlSP_E_NS1_11comp_targetILNS1_3genE10ELNS1_11target_archE1200ELNS1_3gpuE4ELNS1_3repE0EEENS1_30default_config_static_selectorELNS0_4arch9wavefront6targetE0EEEvT1_.uses_flat_scratch, 0
	.set _ZN7rocprim17ROCPRIM_400000_NS6detail17trampoline_kernelINS0_14default_configENS1_20scan_config_selectorIiEEZZNS1_9scan_implILNS1_25lookback_scan_determinismE0ELb0ELb0ES3_N6thrust23THRUST_200600_302600_NS6detail15normal_iteratorINS9_10device_ptrIiEEEESE_iNS9_4plusIvEEiEEDaPvRmT3_T4_T5_mT6_P12ihipStream_tbENKUlT_T0_E_clISt17integral_constantIbLb0EESU_EEDaSP_SQ_EUlSP_E_NS1_11comp_targetILNS1_3genE10ELNS1_11target_archE1200ELNS1_3gpuE4ELNS1_3repE0EEENS1_30default_config_static_selectorELNS0_4arch9wavefront6targetE0EEEvT1_.has_dyn_sized_stack, 0
	.set _ZN7rocprim17ROCPRIM_400000_NS6detail17trampoline_kernelINS0_14default_configENS1_20scan_config_selectorIiEEZZNS1_9scan_implILNS1_25lookback_scan_determinismE0ELb0ELb0ES3_N6thrust23THRUST_200600_302600_NS6detail15normal_iteratorINS9_10device_ptrIiEEEESE_iNS9_4plusIvEEiEEDaPvRmT3_T4_T5_mT6_P12ihipStream_tbENKUlT_T0_E_clISt17integral_constantIbLb0EESU_EEDaSP_SQ_EUlSP_E_NS1_11comp_targetILNS1_3genE10ELNS1_11target_archE1200ELNS1_3gpuE4ELNS1_3repE0EEENS1_30default_config_static_selectorELNS0_4arch9wavefront6targetE0EEEvT1_.has_recursion, 0
	.set _ZN7rocprim17ROCPRIM_400000_NS6detail17trampoline_kernelINS0_14default_configENS1_20scan_config_selectorIiEEZZNS1_9scan_implILNS1_25lookback_scan_determinismE0ELb0ELb0ES3_N6thrust23THRUST_200600_302600_NS6detail15normal_iteratorINS9_10device_ptrIiEEEESE_iNS9_4plusIvEEiEEDaPvRmT3_T4_T5_mT6_P12ihipStream_tbENKUlT_T0_E_clISt17integral_constantIbLb0EESU_EEDaSP_SQ_EUlSP_E_NS1_11comp_targetILNS1_3genE10ELNS1_11target_archE1200ELNS1_3gpuE4ELNS1_3repE0EEENS1_30default_config_static_selectorELNS0_4arch9wavefront6targetE0EEEvT1_.has_indirect_call, 0
	.section	.AMDGPU.csdata,"",@progbits
; Kernel info:
; codeLenInByte = 0
; TotalNumSgprs: 0
; NumVgprs: 0
; ScratchSize: 0
; MemoryBound: 0
; FloatMode: 240
; IeeeMode: 1
; LDSByteSize: 0 bytes/workgroup (compile time only)
; SGPRBlocks: 0
; VGPRBlocks: 0
; NumSGPRsForWavesPerEU: 1
; NumVGPRsForWavesPerEU: 1
; NamedBarCnt: 0
; Occupancy: 16
; WaveLimiterHint : 0
; COMPUTE_PGM_RSRC2:SCRATCH_EN: 0
; COMPUTE_PGM_RSRC2:USER_SGPR: 2
; COMPUTE_PGM_RSRC2:TRAP_HANDLER: 0
; COMPUTE_PGM_RSRC2:TGID_X_EN: 1
; COMPUTE_PGM_RSRC2:TGID_Y_EN: 0
; COMPUTE_PGM_RSRC2:TGID_Z_EN: 0
; COMPUTE_PGM_RSRC2:TIDIG_COMP_CNT: 0
	.section	.text._ZN7rocprim17ROCPRIM_400000_NS6detail17trampoline_kernelINS0_14default_configENS1_20scan_config_selectorIiEEZZNS1_9scan_implILNS1_25lookback_scan_determinismE0ELb0ELb0ES3_N6thrust23THRUST_200600_302600_NS6detail15normal_iteratorINS9_10device_ptrIiEEEESE_iNS9_4plusIvEEiEEDaPvRmT3_T4_T5_mT6_P12ihipStream_tbENKUlT_T0_E_clISt17integral_constantIbLb0EESU_EEDaSP_SQ_EUlSP_E_NS1_11comp_targetILNS1_3genE9ELNS1_11target_archE1100ELNS1_3gpuE3ELNS1_3repE0EEENS1_30default_config_static_selectorELNS0_4arch9wavefront6targetE0EEEvT1_,"axG",@progbits,_ZN7rocprim17ROCPRIM_400000_NS6detail17trampoline_kernelINS0_14default_configENS1_20scan_config_selectorIiEEZZNS1_9scan_implILNS1_25lookback_scan_determinismE0ELb0ELb0ES3_N6thrust23THRUST_200600_302600_NS6detail15normal_iteratorINS9_10device_ptrIiEEEESE_iNS9_4plusIvEEiEEDaPvRmT3_T4_T5_mT6_P12ihipStream_tbENKUlT_T0_E_clISt17integral_constantIbLb0EESU_EEDaSP_SQ_EUlSP_E_NS1_11comp_targetILNS1_3genE9ELNS1_11target_archE1100ELNS1_3gpuE3ELNS1_3repE0EEENS1_30default_config_static_selectorELNS0_4arch9wavefront6targetE0EEEvT1_,comdat
	.protected	_ZN7rocprim17ROCPRIM_400000_NS6detail17trampoline_kernelINS0_14default_configENS1_20scan_config_selectorIiEEZZNS1_9scan_implILNS1_25lookback_scan_determinismE0ELb0ELb0ES3_N6thrust23THRUST_200600_302600_NS6detail15normal_iteratorINS9_10device_ptrIiEEEESE_iNS9_4plusIvEEiEEDaPvRmT3_T4_T5_mT6_P12ihipStream_tbENKUlT_T0_E_clISt17integral_constantIbLb0EESU_EEDaSP_SQ_EUlSP_E_NS1_11comp_targetILNS1_3genE9ELNS1_11target_archE1100ELNS1_3gpuE3ELNS1_3repE0EEENS1_30default_config_static_selectorELNS0_4arch9wavefront6targetE0EEEvT1_ ; -- Begin function _ZN7rocprim17ROCPRIM_400000_NS6detail17trampoline_kernelINS0_14default_configENS1_20scan_config_selectorIiEEZZNS1_9scan_implILNS1_25lookback_scan_determinismE0ELb0ELb0ES3_N6thrust23THRUST_200600_302600_NS6detail15normal_iteratorINS9_10device_ptrIiEEEESE_iNS9_4plusIvEEiEEDaPvRmT3_T4_T5_mT6_P12ihipStream_tbENKUlT_T0_E_clISt17integral_constantIbLb0EESU_EEDaSP_SQ_EUlSP_E_NS1_11comp_targetILNS1_3genE9ELNS1_11target_archE1100ELNS1_3gpuE3ELNS1_3repE0EEENS1_30default_config_static_selectorELNS0_4arch9wavefront6targetE0EEEvT1_
	.globl	_ZN7rocprim17ROCPRIM_400000_NS6detail17trampoline_kernelINS0_14default_configENS1_20scan_config_selectorIiEEZZNS1_9scan_implILNS1_25lookback_scan_determinismE0ELb0ELb0ES3_N6thrust23THRUST_200600_302600_NS6detail15normal_iteratorINS9_10device_ptrIiEEEESE_iNS9_4plusIvEEiEEDaPvRmT3_T4_T5_mT6_P12ihipStream_tbENKUlT_T0_E_clISt17integral_constantIbLb0EESU_EEDaSP_SQ_EUlSP_E_NS1_11comp_targetILNS1_3genE9ELNS1_11target_archE1100ELNS1_3gpuE3ELNS1_3repE0EEENS1_30default_config_static_selectorELNS0_4arch9wavefront6targetE0EEEvT1_
	.p2align	8
	.type	_ZN7rocprim17ROCPRIM_400000_NS6detail17trampoline_kernelINS0_14default_configENS1_20scan_config_selectorIiEEZZNS1_9scan_implILNS1_25lookback_scan_determinismE0ELb0ELb0ES3_N6thrust23THRUST_200600_302600_NS6detail15normal_iteratorINS9_10device_ptrIiEEEESE_iNS9_4plusIvEEiEEDaPvRmT3_T4_T5_mT6_P12ihipStream_tbENKUlT_T0_E_clISt17integral_constantIbLb0EESU_EEDaSP_SQ_EUlSP_E_NS1_11comp_targetILNS1_3genE9ELNS1_11target_archE1100ELNS1_3gpuE3ELNS1_3repE0EEENS1_30default_config_static_selectorELNS0_4arch9wavefront6targetE0EEEvT1_,@function
_ZN7rocprim17ROCPRIM_400000_NS6detail17trampoline_kernelINS0_14default_configENS1_20scan_config_selectorIiEEZZNS1_9scan_implILNS1_25lookback_scan_determinismE0ELb0ELb0ES3_N6thrust23THRUST_200600_302600_NS6detail15normal_iteratorINS9_10device_ptrIiEEEESE_iNS9_4plusIvEEiEEDaPvRmT3_T4_T5_mT6_P12ihipStream_tbENKUlT_T0_E_clISt17integral_constantIbLb0EESU_EEDaSP_SQ_EUlSP_E_NS1_11comp_targetILNS1_3genE9ELNS1_11target_archE1100ELNS1_3gpuE3ELNS1_3repE0EEENS1_30default_config_static_selectorELNS0_4arch9wavefront6targetE0EEEvT1_: ; @_ZN7rocprim17ROCPRIM_400000_NS6detail17trampoline_kernelINS0_14default_configENS1_20scan_config_selectorIiEEZZNS1_9scan_implILNS1_25lookback_scan_determinismE0ELb0ELb0ES3_N6thrust23THRUST_200600_302600_NS6detail15normal_iteratorINS9_10device_ptrIiEEEESE_iNS9_4plusIvEEiEEDaPvRmT3_T4_T5_mT6_P12ihipStream_tbENKUlT_T0_E_clISt17integral_constantIbLb0EESU_EEDaSP_SQ_EUlSP_E_NS1_11comp_targetILNS1_3genE9ELNS1_11target_archE1100ELNS1_3gpuE3ELNS1_3repE0EEENS1_30default_config_static_selectorELNS0_4arch9wavefront6targetE0EEEvT1_
; %bb.0:
	.section	.rodata,"a",@progbits
	.p2align	6, 0x0
	.amdhsa_kernel _ZN7rocprim17ROCPRIM_400000_NS6detail17trampoline_kernelINS0_14default_configENS1_20scan_config_selectorIiEEZZNS1_9scan_implILNS1_25lookback_scan_determinismE0ELb0ELb0ES3_N6thrust23THRUST_200600_302600_NS6detail15normal_iteratorINS9_10device_ptrIiEEEESE_iNS9_4plusIvEEiEEDaPvRmT3_T4_T5_mT6_P12ihipStream_tbENKUlT_T0_E_clISt17integral_constantIbLb0EESU_EEDaSP_SQ_EUlSP_E_NS1_11comp_targetILNS1_3genE9ELNS1_11target_archE1100ELNS1_3gpuE3ELNS1_3repE0EEENS1_30default_config_static_selectorELNS0_4arch9wavefront6targetE0EEEvT1_
		.amdhsa_group_segment_fixed_size 0
		.amdhsa_private_segment_fixed_size 0
		.amdhsa_kernarg_size 96
		.amdhsa_user_sgpr_count 2
		.amdhsa_user_sgpr_dispatch_ptr 0
		.amdhsa_user_sgpr_queue_ptr 0
		.amdhsa_user_sgpr_kernarg_segment_ptr 1
		.amdhsa_user_sgpr_dispatch_id 0
		.amdhsa_user_sgpr_kernarg_preload_length 0
		.amdhsa_user_sgpr_kernarg_preload_offset 0
		.amdhsa_user_sgpr_private_segment_size 0
		.amdhsa_wavefront_size32 1
		.amdhsa_uses_dynamic_stack 0
		.amdhsa_enable_private_segment 0
		.amdhsa_system_sgpr_workgroup_id_x 1
		.amdhsa_system_sgpr_workgroup_id_y 0
		.amdhsa_system_sgpr_workgroup_id_z 0
		.amdhsa_system_sgpr_workgroup_info 0
		.amdhsa_system_vgpr_workitem_id 0
		.amdhsa_next_free_vgpr 1
		.amdhsa_next_free_sgpr 1
		.amdhsa_named_barrier_count 0
		.amdhsa_reserve_vcc 0
		.amdhsa_float_round_mode_32 0
		.amdhsa_float_round_mode_16_64 0
		.amdhsa_float_denorm_mode_32 3
		.amdhsa_float_denorm_mode_16_64 3
		.amdhsa_fp16_overflow 0
		.amdhsa_memory_ordered 1
		.amdhsa_forward_progress 1
		.amdhsa_inst_pref_size 0
		.amdhsa_round_robin_scheduling 0
		.amdhsa_exception_fp_ieee_invalid_op 0
		.amdhsa_exception_fp_denorm_src 0
		.amdhsa_exception_fp_ieee_div_zero 0
		.amdhsa_exception_fp_ieee_overflow 0
		.amdhsa_exception_fp_ieee_underflow 0
		.amdhsa_exception_fp_ieee_inexact 0
		.amdhsa_exception_int_div_zero 0
	.end_amdhsa_kernel
	.section	.text._ZN7rocprim17ROCPRIM_400000_NS6detail17trampoline_kernelINS0_14default_configENS1_20scan_config_selectorIiEEZZNS1_9scan_implILNS1_25lookback_scan_determinismE0ELb0ELb0ES3_N6thrust23THRUST_200600_302600_NS6detail15normal_iteratorINS9_10device_ptrIiEEEESE_iNS9_4plusIvEEiEEDaPvRmT3_T4_T5_mT6_P12ihipStream_tbENKUlT_T0_E_clISt17integral_constantIbLb0EESU_EEDaSP_SQ_EUlSP_E_NS1_11comp_targetILNS1_3genE9ELNS1_11target_archE1100ELNS1_3gpuE3ELNS1_3repE0EEENS1_30default_config_static_selectorELNS0_4arch9wavefront6targetE0EEEvT1_,"axG",@progbits,_ZN7rocprim17ROCPRIM_400000_NS6detail17trampoline_kernelINS0_14default_configENS1_20scan_config_selectorIiEEZZNS1_9scan_implILNS1_25lookback_scan_determinismE0ELb0ELb0ES3_N6thrust23THRUST_200600_302600_NS6detail15normal_iteratorINS9_10device_ptrIiEEEESE_iNS9_4plusIvEEiEEDaPvRmT3_T4_T5_mT6_P12ihipStream_tbENKUlT_T0_E_clISt17integral_constantIbLb0EESU_EEDaSP_SQ_EUlSP_E_NS1_11comp_targetILNS1_3genE9ELNS1_11target_archE1100ELNS1_3gpuE3ELNS1_3repE0EEENS1_30default_config_static_selectorELNS0_4arch9wavefront6targetE0EEEvT1_,comdat
.Lfunc_end8:
	.size	_ZN7rocprim17ROCPRIM_400000_NS6detail17trampoline_kernelINS0_14default_configENS1_20scan_config_selectorIiEEZZNS1_9scan_implILNS1_25lookback_scan_determinismE0ELb0ELb0ES3_N6thrust23THRUST_200600_302600_NS6detail15normal_iteratorINS9_10device_ptrIiEEEESE_iNS9_4plusIvEEiEEDaPvRmT3_T4_T5_mT6_P12ihipStream_tbENKUlT_T0_E_clISt17integral_constantIbLb0EESU_EEDaSP_SQ_EUlSP_E_NS1_11comp_targetILNS1_3genE9ELNS1_11target_archE1100ELNS1_3gpuE3ELNS1_3repE0EEENS1_30default_config_static_selectorELNS0_4arch9wavefront6targetE0EEEvT1_, .Lfunc_end8-_ZN7rocprim17ROCPRIM_400000_NS6detail17trampoline_kernelINS0_14default_configENS1_20scan_config_selectorIiEEZZNS1_9scan_implILNS1_25lookback_scan_determinismE0ELb0ELb0ES3_N6thrust23THRUST_200600_302600_NS6detail15normal_iteratorINS9_10device_ptrIiEEEESE_iNS9_4plusIvEEiEEDaPvRmT3_T4_T5_mT6_P12ihipStream_tbENKUlT_T0_E_clISt17integral_constantIbLb0EESU_EEDaSP_SQ_EUlSP_E_NS1_11comp_targetILNS1_3genE9ELNS1_11target_archE1100ELNS1_3gpuE3ELNS1_3repE0EEENS1_30default_config_static_selectorELNS0_4arch9wavefront6targetE0EEEvT1_
                                        ; -- End function
	.set _ZN7rocprim17ROCPRIM_400000_NS6detail17trampoline_kernelINS0_14default_configENS1_20scan_config_selectorIiEEZZNS1_9scan_implILNS1_25lookback_scan_determinismE0ELb0ELb0ES3_N6thrust23THRUST_200600_302600_NS6detail15normal_iteratorINS9_10device_ptrIiEEEESE_iNS9_4plusIvEEiEEDaPvRmT3_T4_T5_mT6_P12ihipStream_tbENKUlT_T0_E_clISt17integral_constantIbLb0EESU_EEDaSP_SQ_EUlSP_E_NS1_11comp_targetILNS1_3genE9ELNS1_11target_archE1100ELNS1_3gpuE3ELNS1_3repE0EEENS1_30default_config_static_selectorELNS0_4arch9wavefront6targetE0EEEvT1_.num_vgpr, 0
	.set _ZN7rocprim17ROCPRIM_400000_NS6detail17trampoline_kernelINS0_14default_configENS1_20scan_config_selectorIiEEZZNS1_9scan_implILNS1_25lookback_scan_determinismE0ELb0ELb0ES3_N6thrust23THRUST_200600_302600_NS6detail15normal_iteratorINS9_10device_ptrIiEEEESE_iNS9_4plusIvEEiEEDaPvRmT3_T4_T5_mT6_P12ihipStream_tbENKUlT_T0_E_clISt17integral_constantIbLb0EESU_EEDaSP_SQ_EUlSP_E_NS1_11comp_targetILNS1_3genE9ELNS1_11target_archE1100ELNS1_3gpuE3ELNS1_3repE0EEENS1_30default_config_static_selectorELNS0_4arch9wavefront6targetE0EEEvT1_.num_agpr, 0
	.set _ZN7rocprim17ROCPRIM_400000_NS6detail17trampoline_kernelINS0_14default_configENS1_20scan_config_selectorIiEEZZNS1_9scan_implILNS1_25lookback_scan_determinismE0ELb0ELb0ES3_N6thrust23THRUST_200600_302600_NS6detail15normal_iteratorINS9_10device_ptrIiEEEESE_iNS9_4plusIvEEiEEDaPvRmT3_T4_T5_mT6_P12ihipStream_tbENKUlT_T0_E_clISt17integral_constantIbLb0EESU_EEDaSP_SQ_EUlSP_E_NS1_11comp_targetILNS1_3genE9ELNS1_11target_archE1100ELNS1_3gpuE3ELNS1_3repE0EEENS1_30default_config_static_selectorELNS0_4arch9wavefront6targetE0EEEvT1_.numbered_sgpr, 0
	.set _ZN7rocprim17ROCPRIM_400000_NS6detail17trampoline_kernelINS0_14default_configENS1_20scan_config_selectorIiEEZZNS1_9scan_implILNS1_25lookback_scan_determinismE0ELb0ELb0ES3_N6thrust23THRUST_200600_302600_NS6detail15normal_iteratorINS9_10device_ptrIiEEEESE_iNS9_4plusIvEEiEEDaPvRmT3_T4_T5_mT6_P12ihipStream_tbENKUlT_T0_E_clISt17integral_constantIbLb0EESU_EEDaSP_SQ_EUlSP_E_NS1_11comp_targetILNS1_3genE9ELNS1_11target_archE1100ELNS1_3gpuE3ELNS1_3repE0EEENS1_30default_config_static_selectorELNS0_4arch9wavefront6targetE0EEEvT1_.num_named_barrier, 0
	.set _ZN7rocprim17ROCPRIM_400000_NS6detail17trampoline_kernelINS0_14default_configENS1_20scan_config_selectorIiEEZZNS1_9scan_implILNS1_25lookback_scan_determinismE0ELb0ELb0ES3_N6thrust23THRUST_200600_302600_NS6detail15normal_iteratorINS9_10device_ptrIiEEEESE_iNS9_4plusIvEEiEEDaPvRmT3_T4_T5_mT6_P12ihipStream_tbENKUlT_T0_E_clISt17integral_constantIbLb0EESU_EEDaSP_SQ_EUlSP_E_NS1_11comp_targetILNS1_3genE9ELNS1_11target_archE1100ELNS1_3gpuE3ELNS1_3repE0EEENS1_30default_config_static_selectorELNS0_4arch9wavefront6targetE0EEEvT1_.private_seg_size, 0
	.set _ZN7rocprim17ROCPRIM_400000_NS6detail17trampoline_kernelINS0_14default_configENS1_20scan_config_selectorIiEEZZNS1_9scan_implILNS1_25lookback_scan_determinismE0ELb0ELb0ES3_N6thrust23THRUST_200600_302600_NS6detail15normal_iteratorINS9_10device_ptrIiEEEESE_iNS9_4plusIvEEiEEDaPvRmT3_T4_T5_mT6_P12ihipStream_tbENKUlT_T0_E_clISt17integral_constantIbLb0EESU_EEDaSP_SQ_EUlSP_E_NS1_11comp_targetILNS1_3genE9ELNS1_11target_archE1100ELNS1_3gpuE3ELNS1_3repE0EEENS1_30default_config_static_selectorELNS0_4arch9wavefront6targetE0EEEvT1_.uses_vcc, 0
	.set _ZN7rocprim17ROCPRIM_400000_NS6detail17trampoline_kernelINS0_14default_configENS1_20scan_config_selectorIiEEZZNS1_9scan_implILNS1_25lookback_scan_determinismE0ELb0ELb0ES3_N6thrust23THRUST_200600_302600_NS6detail15normal_iteratorINS9_10device_ptrIiEEEESE_iNS9_4plusIvEEiEEDaPvRmT3_T4_T5_mT6_P12ihipStream_tbENKUlT_T0_E_clISt17integral_constantIbLb0EESU_EEDaSP_SQ_EUlSP_E_NS1_11comp_targetILNS1_3genE9ELNS1_11target_archE1100ELNS1_3gpuE3ELNS1_3repE0EEENS1_30default_config_static_selectorELNS0_4arch9wavefront6targetE0EEEvT1_.uses_flat_scratch, 0
	.set _ZN7rocprim17ROCPRIM_400000_NS6detail17trampoline_kernelINS0_14default_configENS1_20scan_config_selectorIiEEZZNS1_9scan_implILNS1_25lookback_scan_determinismE0ELb0ELb0ES3_N6thrust23THRUST_200600_302600_NS6detail15normal_iteratorINS9_10device_ptrIiEEEESE_iNS9_4plusIvEEiEEDaPvRmT3_T4_T5_mT6_P12ihipStream_tbENKUlT_T0_E_clISt17integral_constantIbLb0EESU_EEDaSP_SQ_EUlSP_E_NS1_11comp_targetILNS1_3genE9ELNS1_11target_archE1100ELNS1_3gpuE3ELNS1_3repE0EEENS1_30default_config_static_selectorELNS0_4arch9wavefront6targetE0EEEvT1_.has_dyn_sized_stack, 0
	.set _ZN7rocprim17ROCPRIM_400000_NS6detail17trampoline_kernelINS0_14default_configENS1_20scan_config_selectorIiEEZZNS1_9scan_implILNS1_25lookback_scan_determinismE0ELb0ELb0ES3_N6thrust23THRUST_200600_302600_NS6detail15normal_iteratorINS9_10device_ptrIiEEEESE_iNS9_4plusIvEEiEEDaPvRmT3_T4_T5_mT6_P12ihipStream_tbENKUlT_T0_E_clISt17integral_constantIbLb0EESU_EEDaSP_SQ_EUlSP_E_NS1_11comp_targetILNS1_3genE9ELNS1_11target_archE1100ELNS1_3gpuE3ELNS1_3repE0EEENS1_30default_config_static_selectorELNS0_4arch9wavefront6targetE0EEEvT1_.has_recursion, 0
	.set _ZN7rocprim17ROCPRIM_400000_NS6detail17trampoline_kernelINS0_14default_configENS1_20scan_config_selectorIiEEZZNS1_9scan_implILNS1_25lookback_scan_determinismE0ELb0ELb0ES3_N6thrust23THRUST_200600_302600_NS6detail15normal_iteratorINS9_10device_ptrIiEEEESE_iNS9_4plusIvEEiEEDaPvRmT3_T4_T5_mT6_P12ihipStream_tbENKUlT_T0_E_clISt17integral_constantIbLb0EESU_EEDaSP_SQ_EUlSP_E_NS1_11comp_targetILNS1_3genE9ELNS1_11target_archE1100ELNS1_3gpuE3ELNS1_3repE0EEENS1_30default_config_static_selectorELNS0_4arch9wavefront6targetE0EEEvT1_.has_indirect_call, 0
	.section	.AMDGPU.csdata,"",@progbits
; Kernel info:
; codeLenInByte = 0
; TotalNumSgprs: 0
; NumVgprs: 0
; ScratchSize: 0
; MemoryBound: 0
; FloatMode: 240
; IeeeMode: 1
; LDSByteSize: 0 bytes/workgroup (compile time only)
; SGPRBlocks: 0
; VGPRBlocks: 0
; NumSGPRsForWavesPerEU: 1
; NumVGPRsForWavesPerEU: 1
; NamedBarCnt: 0
; Occupancy: 16
; WaveLimiterHint : 0
; COMPUTE_PGM_RSRC2:SCRATCH_EN: 0
; COMPUTE_PGM_RSRC2:USER_SGPR: 2
; COMPUTE_PGM_RSRC2:TRAP_HANDLER: 0
; COMPUTE_PGM_RSRC2:TGID_X_EN: 1
; COMPUTE_PGM_RSRC2:TGID_Y_EN: 0
; COMPUTE_PGM_RSRC2:TGID_Z_EN: 0
; COMPUTE_PGM_RSRC2:TIDIG_COMP_CNT: 0
	.section	.text._ZN7rocprim17ROCPRIM_400000_NS6detail17trampoline_kernelINS0_14default_configENS1_20scan_config_selectorIiEEZZNS1_9scan_implILNS1_25lookback_scan_determinismE0ELb0ELb0ES3_N6thrust23THRUST_200600_302600_NS6detail15normal_iteratorINS9_10device_ptrIiEEEESE_iNS9_4plusIvEEiEEDaPvRmT3_T4_T5_mT6_P12ihipStream_tbENKUlT_T0_E_clISt17integral_constantIbLb0EESU_EEDaSP_SQ_EUlSP_E_NS1_11comp_targetILNS1_3genE8ELNS1_11target_archE1030ELNS1_3gpuE2ELNS1_3repE0EEENS1_30default_config_static_selectorELNS0_4arch9wavefront6targetE0EEEvT1_,"axG",@progbits,_ZN7rocprim17ROCPRIM_400000_NS6detail17trampoline_kernelINS0_14default_configENS1_20scan_config_selectorIiEEZZNS1_9scan_implILNS1_25lookback_scan_determinismE0ELb0ELb0ES3_N6thrust23THRUST_200600_302600_NS6detail15normal_iteratorINS9_10device_ptrIiEEEESE_iNS9_4plusIvEEiEEDaPvRmT3_T4_T5_mT6_P12ihipStream_tbENKUlT_T0_E_clISt17integral_constantIbLb0EESU_EEDaSP_SQ_EUlSP_E_NS1_11comp_targetILNS1_3genE8ELNS1_11target_archE1030ELNS1_3gpuE2ELNS1_3repE0EEENS1_30default_config_static_selectorELNS0_4arch9wavefront6targetE0EEEvT1_,comdat
	.protected	_ZN7rocprim17ROCPRIM_400000_NS6detail17trampoline_kernelINS0_14default_configENS1_20scan_config_selectorIiEEZZNS1_9scan_implILNS1_25lookback_scan_determinismE0ELb0ELb0ES3_N6thrust23THRUST_200600_302600_NS6detail15normal_iteratorINS9_10device_ptrIiEEEESE_iNS9_4plusIvEEiEEDaPvRmT3_T4_T5_mT6_P12ihipStream_tbENKUlT_T0_E_clISt17integral_constantIbLb0EESU_EEDaSP_SQ_EUlSP_E_NS1_11comp_targetILNS1_3genE8ELNS1_11target_archE1030ELNS1_3gpuE2ELNS1_3repE0EEENS1_30default_config_static_selectorELNS0_4arch9wavefront6targetE0EEEvT1_ ; -- Begin function _ZN7rocprim17ROCPRIM_400000_NS6detail17trampoline_kernelINS0_14default_configENS1_20scan_config_selectorIiEEZZNS1_9scan_implILNS1_25lookback_scan_determinismE0ELb0ELb0ES3_N6thrust23THRUST_200600_302600_NS6detail15normal_iteratorINS9_10device_ptrIiEEEESE_iNS9_4plusIvEEiEEDaPvRmT3_T4_T5_mT6_P12ihipStream_tbENKUlT_T0_E_clISt17integral_constantIbLb0EESU_EEDaSP_SQ_EUlSP_E_NS1_11comp_targetILNS1_3genE8ELNS1_11target_archE1030ELNS1_3gpuE2ELNS1_3repE0EEENS1_30default_config_static_selectorELNS0_4arch9wavefront6targetE0EEEvT1_
	.globl	_ZN7rocprim17ROCPRIM_400000_NS6detail17trampoline_kernelINS0_14default_configENS1_20scan_config_selectorIiEEZZNS1_9scan_implILNS1_25lookback_scan_determinismE0ELb0ELb0ES3_N6thrust23THRUST_200600_302600_NS6detail15normal_iteratorINS9_10device_ptrIiEEEESE_iNS9_4plusIvEEiEEDaPvRmT3_T4_T5_mT6_P12ihipStream_tbENKUlT_T0_E_clISt17integral_constantIbLb0EESU_EEDaSP_SQ_EUlSP_E_NS1_11comp_targetILNS1_3genE8ELNS1_11target_archE1030ELNS1_3gpuE2ELNS1_3repE0EEENS1_30default_config_static_selectorELNS0_4arch9wavefront6targetE0EEEvT1_
	.p2align	8
	.type	_ZN7rocprim17ROCPRIM_400000_NS6detail17trampoline_kernelINS0_14default_configENS1_20scan_config_selectorIiEEZZNS1_9scan_implILNS1_25lookback_scan_determinismE0ELb0ELb0ES3_N6thrust23THRUST_200600_302600_NS6detail15normal_iteratorINS9_10device_ptrIiEEEESE_iNS9_4plusIvEEiEEDaPvRmT3_T4_T5_mT6_P12ihipStream_tbENKUlT_T0_E_clISt17integral_constantIbLb0EESU_EEDaSP_SQ_EUlSP_E_NS1_11comp_targetILNS1_3genE8ELNS1_11target_archE1030ELNS1_3gpuE2ELNS1_3repE0EEENS1_30default_config_static_selectorELNS0_4arch9wavefront6targetE0EEEvT1_,@function
_ZN7rocprim17ROCPRIM_400000_NS6detail17trampoline_kernelINS0_14default_configENS1_20scan_config_selectorIiEEZZNS1_9scan_implILNS1_25lookback_scan_determinismE0ELb0ELb0ES3_N6thrust23THRUST_200600_302600_NS6detail15normal_iteratorINS9_10device_ptrIiEEEESE_iNS9_4plusIvEEiEEDaPvRmT3_T4_T5_mT6_P12ihipStream_tbENKUlT_T0_E_clISt17integral_constantIbLb0EESU_EEDaSP_SQ_EUlSP_E_NS1_11comp_targetILNS1_3genE8ELNS1_11target_archE1030ELNS1_3gpuE2ELNS1_3repE0EEENS1_30default_config_static_selectorELNS0_4arch9wavefront6targetE0EEEvT1_: ; @_ZN7rocprim17ROCPRIM_400000_NS6detail17trampoline_kernelINS0_14default_configENS1_20scan_config_selectorIiEEZZNS1_9scan_implILNS1_25lookback_scan_determinismE0ELb0ELb0ES3_N6thrust23THRUST_200600_302600_NS6detail15normal_iteratorINS9_10device_ptrIiEEEESE_iNS9_4plusIvEEiEEDaPvRmT3_T4_T5_mT6_P12ihipStream_tbENKUlT_T0_E_clISt17integral_constantIbLb0EESU_EEDaSP_SQ_EUlSP_E_NS1_11comp_targetILNS1_3genE8ELNS1_11target_archE1030ELNS1_3gpuE2ELNS1_3repE0EEENS1_30default_config_static_selectorELNS0_4arch9wavefront6targetE0EEEvT1_
; %bb.0:
	.section	.rodata,"a",@progbits
	.p2align	6, 0x0
	.amdhsa_kernel _ZN7rocprim17ROCPRIM_400000_NS6detail17trampoline_kernelINS0_14default_configENS1_20scan_config_selectorIiEEZZNS1_9scan_implILNS1_25lookback_scan_determinismE0ELb0ELb0ES3_N6thrust23THRUST_200600_302600_NS6detail15normal_iteratorINS9_10device_ptrIiEEEESE_iNS9_4plusIvEEiEEDaPvRmT3_T4_T5_mT6_P12ihipStream_tbENKUlT_T0_E_clISt17integral_constantIbLb0EESU_EEDaSP_SQ_EUlSP_E_NS1_11comp_targetILNS1_3genE8ELNS1_11target_archE1030ELNS1_3gpuE2ELNS1_3repE0EEENS1_30default_config_static_selectorELNS0_4arch9wavefront6targetE0EEEvT1_
		.amdhsa_group_segment_fixed_size 0
		.amdhsa_private_segment_fixed_size 0
		.amdhsa_kernarg_size 96
		.amdhsa_user_sgpr_count 2
		.amdhsa_user_sgpr_dispatch_ptr 0
		.amdhsa_user_sgpr_queue_ptr 0
		.amdhsa_user_sgpr_kernarg_segment_ptr 1
		.amdhsa_user_sgpr_dispatch_id 0
		.amdhsa_user_sgpr_kernarg_preload_length 0
		.amdhsa_user_sgpr_kernarg_preload_offset 0
		.amdhsa_user_sgpr_private_segment_size 0
		.amdhsa_wavefront_size32 1
		.amdhsa_uses_dynamic_stack 0
		.amdhsa_enable_private_segment 0
		.amdhsa_system_sgpr_workgroup_id_x 1
		.amdhsa_system_sgpr_workgroup_id_y 0
		.amdhsa_system_sgpr_workgroup_id_z 0
		.amdhsa_system_sgpr_workgroup_info 0
		.amdhsa_system_vgpr_workitem_id 0
		.amdhsa_next_free_vgpr 1
		.amdhsa_next_free_sgpr 1
		.amdhsa_named_barrier_count 0
		.amdhsa_reserve_vcc 0
		.amdhsa_float_round_mode_32 0
		.amdhsa_float_round_mode_16_64 0
		.amdhsa_float_denorm_mode_32 3
		.amdhsa_float_denorm_mode_16_64 3
		.amdhsa_fp16_overflow 0
		.amdhsa_memory_ordered 1
		.amdhsa_forward_progress 1
		.amdhsa_inst_pref_size 0
		.amdhsa_round_robin_scheduling 0
		.amdhsa_exception_fp_ieee_invalid_op 0
		.amdhsa_exception_fp_denorm_src 0
		.amdhsa_exception_fp_ieee_div_zero 0
		.amdhsa_exception_fp_ieee_overflow 0
		.amdhsa_exception_fp_ieee_underflow 0
		.amdhsa_exception_fp_ieee_inexact 0
		.amdhsa_exception_int_div_zero 0
	.end_amdhsa_kernel
	.section	.text._ZN7rocprim17ROCPRIM_400000_NS6detail17trampoline_kernelINS0_14default_configENS1_20scan_config_selectorIiEEZZNS1_9scan_implILNS1_25lookback_scan_determinismE0ELb0ELb0ES3_N6thrust23THRUST_200600_302600_NS6detail15normal_iteratorINS9_10device_ptrIiEEEESE_iNS9_4plusIvEEiEEDaPvRmT3_T4_T5_mT6_P12ihipStream_tbENKUlT_T0_E_clISt17integral_constantIbLb0EESU_EEDaSP_SQ_EUlSP_E_NS1_11comp_targetILNS1_3genE8ELNS1_11target_archE1030ELNS1_3gpuE2ELNS1_3repE0EEENS1_30default_config_static_selectorELNS0_4arch9wavefront6targetE0EEEvT1_,"axG",@progbits,_ZN7rocprim17ROCPRIM_400000_NS6detail17trampoline_kernelINS0_14default_configENS1_20scan_config_selectorIiEEZZNS1_9scan_implILNS1_25lookback_scan_determinismE0ELb0ELb0ES3_N6thrust23THRUST_200600_302600_NS6detail15normal_iteratorINS9_10device_ptrIiEEEESE_iNS9_4plusIvEEiEEDaPvRmT3_T4_T5_mT6_P12ihipStream_tbENKUlT_T0_E_clISt17integral_constantIbLb0EESU_EEDaSP_SQ_EUlSP_E_NS1_11comp_targetILNS1_3genE8ELNS1_11target_archE1030ELNS1_3gpuE2ELNS1_3repE0EEENS1_30default_config_static_selectorELNS0_4arch9wavefront6targetE0EEEvT1_,comdat
.Lfunc_end9:
	.size	_ZN7rocprim17ROCPRIM_400000_NS6detail17trampoline_kernelINS0_14default_configENS1_20scan_config_selectorIiEEZZNS1_9scan_implILNS1_25lookback_scan_determinismE0ELb0ELb0ES3_N6thrust23THRUST_200600_302600_NS6detail15normal_iteratorINS9_10device_ptrIiEEEESE_iNS9_4plusIvEEiEEDaPvRmT3_T4_T5_mT6_P12ihipStream_tbENKUlT_T0_E_clISt17integral_constantIbLb0EESU_EEDaSP_SQ_EUlSP_E_NS1_11comp_targetILNS1_3genE8ELNS1_11target_archE1030ELNS1_3gpuE2ELNS1_3repE0EEENS1_30default_config_static_selectorELNS0_4arch9wavefront6targetE0EEEvT1_, .Lfunc_end9-_ZN7rocprim17ROCPRIM_400000_NS6detail17trampoline_kernelINS0_14default_configENS1_20scan_config_selectorIiEEZZNS1_9scan_implILNS1_25lookback_scan_determinismE0ELb0ELb0ES3_N6thrust23THRUST_200600_302600_NS6detail15normal_iteratorINS9_10device_ptrIiEEEESE_iNS9_4plusIvEEiEEDaPvRmT3_T4_T5_mT6_P12ihipStream_tbENKUlT_T0_E_clISt17integral_constantIbLb0EESU_EEDaSP_SQ_EUlSP_E_NS1_11comp_targetILNS1_3genE8ELNS1_11target_archE1030ELNS1_3gpuE2ELNS1_3repE0EEENS1_30default_config_static_selectorELNS0_4arch9wavefront6targetE0EEEvT1_
                                        ; -- End function
	.set _ZN7rocprim17ROCPRIM_400000_NS6detail17trampoline_kernelINS0_14default_configENS1_20scan_config_selectorIiEEZZNS1_9scan_implILNS1_25lookback_scan_determinismE0ELb0ELb0ES3_N6thrust23THRUST_200600_302600_NS6detail15normal_iteratorINS9_10device_ptrIiEEEESE_iNS9_4plusIvEEiEEDaPvRmT3_T4_T5_mT6_P12ihipStream_tbENKUlT_T0_E_clISt17integral_constantIbLb0EESU_EEDaSP_SQ_EUlSP_E_NS1_11comp_targetILNS1_3genE8ELNS1_11target_archE1030ELNS1_3gpuE2ELNS1_3repE0EEENS1_30default_config_static_selectorELNS0_4arch9wavefront6targetE0EEEvT1_.num_vgpr, 0
	.set _ZN7rocprim17ROCPRIM_400000_NS6detail17trampoline_kernelINS0_14default_configENS1_20scan_config_selectorIiEEZZNS1_9scan_implILNS1_25lookback_scan_determinismE0ELb0ELb0ES3_N6thrust23THRUST_200600_302600_NS6detail15normal_iteratorINS9_10device_ptrIiEEEESE_iNS9_4plusIvEEiEEDaPvRmT3_T4_T5_mT6_P12ihipStream_tbENKUlT_T0_E_clISt17integral_constantIbLb0EESU_EEDaSP_SQ_EUlSP_E_NS1_11comp_targetILNS1_3genE8ELNS1_11target_archE1030ELNS1_3gpuE2ELNS1_3repE0EEENS1_30default_config_static_selectorELNS0_4arch9wavefront6targetE0EEEvT1_.num_agpr, 0
	.set _ZN7rocprim17ROCPRIM_400000_NS6detail17trampoline_kernelINS0_14default_configENS1_20scan_config_selectorIiEEZZNS1_9scan_implILNS1_25lookback_scan_determinismE0ELb0ELb0ES3_N6thrust23THRUST_200600_302600_NS6detail15normal_iteratorINS9_10device_ptrIiEEEESE_iNS9_4plusIvEEiEEDaPvRmT3_T4_T5_mT6_P12ihipStream_tbENKUlT_T0_E_clISt17integral_constantIbLb0EESU_EEDaSP_SQ_EUlSP_E_NS1_11comp_targetILNS1_3genE8ELNS1_11target_archE1030ELNS1_3gpuE2ELNS1_3repE0EEENS1_30default_config_static_selectorELNS0_4arch9wavefront6targetE0EEEvT1_.numbered_sgpr, 0
	.set _ZN7rocprim17ROCPRIM_400000_NS6detail17trampoline_kernelINS0_14default_configENS1_20scan_config_selectorIiEEZZNS1_9scan_implILNS1_25lookback_scan_determinismE0ELb0ELb0ES3_N6thrust23THRUST_200600_302600_NS6detail15normal_iteratorINS9_10device_ptrIiEEEESE_iNS9_4plusIvEEiEEDaPvRmT3_T4_T5_mT6_P12ihipStream_tbENKUlT_T0_E_clISt17integral_constantIbLb0EESU_EEDaSP_SQ_EUlSP_E_NS1_11comp_targetILNS1_3genE8ELNS1_11target_archE1030ELNS1_3gpuE2ELNS1_3repE0EEENS1_30default_config_static_selectorELNS0_4arch9wavefront6targetE0EEEvT1_.num_named_barrier, 0
	.set _ZN7rocprim17ROCPRIM_400000_NS6detail17trampoline_kernelINS0_14default_configENS1_20scan_config_selectorIiEEZZNS1_9scan_implILNS1_25lookback_scan_determinismE0ELb0ELb0ES3_N6thrust23THRUST_200600_302600_NS6detail15normal_iteratorINS9_10device_ptrIiEEEESE_iNS9_4plusIvEEiEEDaPvRmT3_T4_T5_mT6_P12ihipStream_tbENKUlT_T0_E_clISt17integral_constantIbLb0EESU_EEDaSP_SQ_EUlSP_E_NS1_11comp_targetILNS1_3genE8ELNS1_11target_archE1030ELNS1_3gpuE2ELNS1_3repE0EEENS1_30default_config_static_selectorELNS0_4arch9wavefront6targetE0EEEvT1_.private_seg_size, 0
	.set _ZN7rocprim17ROCPRIM_400000_NS6detail17trampoline_kernelINS0_14default_configENS1_20scan_config_selectorIiEEZZNS1_9scan_implILNS1_25lookback_scan_determinismE0ELb0ELb0ES3_N6thrust23THRUST_200600_302600_NS6detail15normal_iteratorINS9_10device_ptrIiEEEESE_iNS9_4plusIvEEiEEDaPvRmT3_T4_T5_mT6_P12ihipStream_tbENKUlT_T0_E_clISt17integral_constantIbLb0EESU_EEDaSP_SQ_EUlSP_E_NS1_11comp_targetILNS1_3genE8ELNS1_11target_archE1030ELNS1_3gpuE2ELNS1_3repE0EEENS1_30default_config_static_selectorELNS0_4arch9wavefront6targetE0EEEvT1_.uses_vcc, 0
	.set _ZN7rocprim17ROCPRIM_400000_NS6detail17trampoline_kernelINS0_14default_configENS1_20scan_config_selectorIiEEZZNS1_9scan_implILNS1_25lookback_scan_determinismE0ELb0ELb0ES3_N6thrust23THRUST_200600_302600_NS6detail15normal_iteratorINS9_10device_ptrIiEEEESE_iNS9_4plusIvEEiEEDaPvRmT3_T4_T5_mT6_P12ihipStream_tbENKUlT_T0_E_clISt17integral_constantIbLb0EESU_EEDaSP_SQ_EUlSP_E_NS1_11comp_targetILNS1_3genE8ELNS1_11target_archE1030ELNS1_3gpuE2ELNS1_3repE0EEENS1_30default_config_static_selectorELNS0_4arch9wavefront6targetE0EEEvT1_.uses_flat_scratch, 0
	.set _ZN7rocprim17ROCPRIM_400000_NS6detail17trampoline_kernelINS0_14default_configENS1_20scan_config_selectorIiEEZZNS1_9scan_implILNS1_25lookback_scan_determinismE0ELb0ELb0ES3_N6thrust23THRUST_200600_302600_NS6detail15normal_iteratorINS9_10device_ptrIiEEEESE_iNS9_4plusIvEEiEEDaPvRmT3_T4_T5_mT6_P12ihipStream_tbENKUlT_T0_E_clISt17integral_constantIbLb0EESU_EEDaSP_SQ_EUlSP_E_NS1_11comp_targetILNS1_3genE8ELNS1_11target_archE1030ELNS1_3gpuE2ELNS1_3repE0EEENS1_30default_config_static_selectorELNS0_4arch9wavefront6targetE0EEEvT1_.has_dyn_sized_stack, 0
	.set _ZN7rocprim17ROCPRIM_400000_NS6detail17trampoline_kernelINS0_14default_configENS1_20scan_config_selectorIiEEZZNS1_9scan_implILNS1_25lookback_scan_determinismE0ELb0ELb0ES3_N6thrust23THRUST_200600_302600_NS6detail15normal_iteratorINS9_10device_ptrIiEEEESE_iNS9_4plusIvEEiEEDaPvRmT3_T4_T5_mT6_P12ihipStream_tbENKUlT_T0_E_clISt17integral_constantIbLb0EESU_EEDaSP_SQ_EUlSP_E_NS1_11comp_targetILNS1_3genE8ELNS1_11target_archE1030ELNS1_3gpuE2ELNS1_3repE0EEENS1_30default_config_static_selectorELNS0_4arch9wavefront6targetE0EEEvT1_.has_recursion, 0
	.set _ZN7rocprim17ROCPRIM_400000_NS6detail17trampoline_kernelINS0_14default_configENS1_20scan_config_selectorIiEEZZNS1_9scan_implILNS1_25lookback_scan_determinismE0ELb0ELb0ES3_N6thrust23THRUST_200600_302600_NS6detail15normal_iteratorINS9_10device_ptrIiEEEESE_iNS9_4plusIvEEiEEDaPvRmT3_T4_T5_mT6_P12ihipStream_tbENKUlT_T0_E_clISt17integral_constantIbLb0EESU_EEDaSP_SQ_EUlSP_E_NS1_11comp_targetILNS1_3genE8ELNS1_11target_archE1030ELNS1_3gpuE2ELNS1_3repE0EEENS1_30default_config_static_selectorELNS0_4arch9wavefront6targetE0EEEvT1_.has_indirect_call, 0
	.section	.AMDGPU.csdata,"",@progbits
; Kernel info:
; codeLenInByte = 0
; TotalNumSgprs: 0
; NumVgprs: 0
; ScratchSize: 0
; MemoryBound: 0
; FloatMode: 240
; IeeeMode: 1
; LDSByteSize: 0 bytes/workgroup (compile time only)
; SGPRBlocks: 0
; VGPRBlocks: 0
; NumSGPRsForWavesPerEU: 1
; NumVGPRsForWavesPerEU: 1
; NamedBarCnt: 0
; Occupancy: 16
; WaveLimiterHint : 0
; COMPUTE_PGM_RSRC2:SCRATCH_EN: 0
; COMPUTE_PGM_RSRC2:USER_SGPR: 2
; COMPUTE_PGM_RSRC2:TRAP_HANDLER: 0
; COMPUTE_PGM_RSRC2:TGID_X_EN: 1
; COMPUTE_PGM_RSRC2:TGID_Y_EN: 0
; COMPUTE_PGM_RSRC2:TGID_Z_EN: 0
; COMPUTE_PGM_RSRC2:TIDIG_COMP_CNT: 0
	.section	.text._ZN7rocprim17ROCPRIM_400000_NS6detail17trampoline_kernelINS0_14default_configENS1_25transform_config_selectorIiLb1EEEZNS1_14transform_implILb1ES3_S5_PiS7_NS0_8identityIiEEEE10hipError_tT2_T3_mT4_P12ihipStream_tbEUlT_E_NS1_11comp_targetILNS1_3genE0ELNS1_11target_archE4294967295ELNS1_3gpuE0ELNS1_3repE0EEENS1_30default_config_static_selectorELNS0_4arch9wavefront6targetE0EEEvT1_,"axG",@progbits,_ZN7rocprim17ROCPRIM_400000_NS6detail17trampoline_kernelINS0_14default_configENS1_25transform_config_selectorIiLb1EEEZNS1_14transform_implILb1ES3_S5_PiS7_NS0_8identityIiEEEE10hipError_tT2_T3_mT4_P12ihipStream_tbEUlT_E_NS1_11comp_targetILNS1_3genE0ELNS1_11target_archE4294967295ELNS1_3gpuE0ELNS1_3repE0EEENS1_30default_config_static_selectorELNS0_4arch9wavefront6targetE0EEEvT1_,comdat
	.protected	_ZN7rocprim17ROCPRIM_400000_NS6detail17trampoline_kernelINS0_14default_configENS1_25transform_config_selectorIiLb1EEEZNS1_14transform_implILb1ES3_S5_PiS7_NS0_8identityIiEEEE10hipError_tT2_T3_mT4_P12ihipStream_tbEUlT_E_NS1_11comp_targetILNS1_3genE0ELNS1_11target_archE4294967295ELNS1_3gpuE0ELNS1_3repE0EEENS1_30default_config_static_selectorELNS0_4arch9wavefront6targetE0EEEvT1_ ; -- Begin function _ZN7rocprim17ROCPRIM_400000_NS6detail17trampoline_kernelINS0_14default_configENS1_25transform_config_selectorIiLb1EEEZNS1_14transform_implILb1ES3_S5_PiS7_NS0_8identityIiEEEE10hipError_tT2_T3_mT4_P12ihipStream_tbEUlT_E_NS1_11comp_targetILNS1_3genE0ELNS1_11target_archE4294967295ELNS1_3gpuE0ELNS1_3repE0EEENS1_30default_config_static_selectorELNS0_4arch9wavefront6targetE0EEEvT1_
	.globl	_ZN7rocprim17ROCPRIM_400000_NS6detail17trampoline_kernelINS0_14default_configENS1_25transform_config_selectorIiLb1EEEZNS1_14transform_implILb1ES3_S5_PiS7_NS0_8identityIiEEEE10hipError_tT2_T3_mT4_P12ihipStream_tbEUlT_E_NS1_11comp_targetILNS1_3genE0ELNS1_11target_archE4294967295ELNS1_3gpuE0ELNS1_3repE0EEENS1_30default_config_static_selectorELNS0_4arch9wavefront6targetE0EEEvT1_
	.p2align	8
	.type	_ZN7rocprim17ROCPRIM_400000_NS6detail17trampoline_kernelINS0_14default_configENS1_25transform_config_selectorIiLb1EEEZNS1_14transform_implILb1ES3_S5_PiS7_NS0_8identityIiEEEE10hipError_tT2_T3_mT4_P12ihipStream_tbEUlT_E_NS1_11comp_targetILNS1_3genE0ELNS1_11target_archE4294967295ELNS1_3gpuE0ELNS1_3repE0EEENS1_30default_config_static_selectorELNS0_4arch9wavefront6targetE0EEEvT1_,@function
_ZN7rocprim17ROCPRIM_400000_NS6detail17trampoline_kernelINS0_14default_configENS1_25transform_config_selectorIiLb1EEEZNS1_14transform_implILb1ES3_S5_PiS7_NS0_8identityIiEEEE10hipError_tT2_T3_mT4_P12ihipStream_tbEUlT_E_NS1_11comp_targetILNS1_3genE0ELNS1_11target_archE4294967295ELNS1_3gpuE0ELNS1_3repE0EEENS1_30default_config_static_selectorELNS0_4arch9wavefront6targetE0EEEvT1_: ; @_ZN7rocprim17ROCPRIM_400000_NS6detail17trampoline_kernelINS0_14default_configENS1_25transform_config_selectorIiLb1EEEZNS1_14transform_implILb1ES3_S5_PiS7_NS0_8identityIiEEEE10hipError_tT2_T3_mT4_P12ihipStream_tbEUlT_E_NS1_11comp_targetILNS1_3genE0ELNS1_11target_archE4294967295ELNS1_3gpuE0ELNS1_3repE0EEENS1_30default_config_static_selectorELNS0_4arch9wavefront6targetE0EEEvT1_
; %bb.0:
	s_clause 0x1
	s_load_b256 s[4:11], s[0:1], 0x0
	s_load_b32 s12, s[0:1], 0x28
	s_wait_xcnt 0x0
	s_bfe_u32 s0, ttmp6, 0x4000c
	s_and_b32 s2, ttmp6, 15
	s_add_co_i32 s0, s0, 1
	s_wait_kmcnt 0x0
	s_getreg_b32 s9, hwreg(HW_REG_IB_STS2, 6, 4)
	s_mul_i32 s0, ttmp9, s0
	s_mov_b32 s1, 0
	s_add_co_i32 s0, s2, s0
	s_lshl_b64 s[2:3], s[6:7], 2
	s_cmp_eq_u32 s9, 0
	s_add_nc_u64 s[6:7], s[4:5], s[2:3]
	s_cselect_b32 s13, ttmp9, s0
	s_add_co_i32 s12, s12, -1
	s_lshl_b32 s0, s13, 8
	s_add_nc_u64 s[2:3], s[10:11], s[2:3]
	s_lshl_b64 s[4:5], s[0:1], 2
	s_mov_b32 s9, -1
	s_cmp_lg_u32 s13, s12
	s_add_nc_u64 s[6:7], s[6:7], s[4:5]
	s_cbranch_scc0 .LBB10_2
; %bb.1:
	global_load_b64 v[2:3], v0, s[6:7] scale_offset
	s_add_nc_u64 s[10:11], s[2:3], s[4:5]
	s_mov_b32 s9, 0
	s_wait_loadcnt 0x0
	global_store_b64 v0, v[2:3], s[10:11] scale_offset
.LBB10_2:
	s_and_not1_b32 vcc_lo, exec_lo, s9
	s_cbranch_vccnz .LBB10_11
; %bb.3:
	s_sub_co_i32 s1, s8, s0
	s_wait_xcnt 0x0
	v_mov_b64_e32 v[2:3], 0
	v_cmp_gt_u32_e32 vcc_lo, s1, v0
	s_and_saveexec_b32 s0, vcc_lo
	s_cbranch_execz .LBB10_5
; %bb.4:
	global_load_b32 v2, v0, s[6:7] scale_offset
	v_mov_b32_e32 v3, 0
.LBB10_5:
	s_wait_xcnt 0x0
	s_or_b32 exec_lo, exec_lo, s0
	v_or_b32_e32 v1, 0x80, v0
	s_delay_alu instid0(VALU_DEP_1) | instskip(SKIP_2) | instid1(SALU_CYCLE_1)
	v_cmp_gt_u32_e64 s0, s1, v1
	v_cmp_le_u32_e64 s1, s1, v1
	s_and_saveexec_b32 s8, s1
	s_xor_b32 s1, exec_lo, s8
	s_delay_alu instid0(SALU_CYCLE_1)
	s_and_not1_saveexec_b32 s1, s1
	s_cbranch_execz .LBB10_7
; %bb.6:
	global_load_b32 v3, v0, s[6:7] offset:512 scale_offset
.LBB10_7:
	s_wait_xcnt 0x0
	s_or_b32 exec_lo, exec_lo, s1
	v_dual_mov_b32 v1, 0 :: v_dual_lshlrev_b32 v0, 2, v0
	s_add_nc_u64 s[2:3], s[2:3], s[4:5]
	s_wait_loadcnt 0x0
	v_cndmask_b32_e32 v2, 0, v2, vcc_lo
	s_delay_alu instid0(VALU_DEP_2)
	v_add_nc_u64_e32 v[0:1], s[2:3], v[0:1]
	s_and_saveexec_b32 s1, vcc_lo
	s_cbranch_execz .LBB10_9
; %bb.8:
	global_store_b32 v[0:1], v2, off
.LBB10_9:
	s_wait_xcnt 0x0
	s_or_b32 exec_lo, exec_lo, s1
	s_and_saveexec_b32 s1, s0
	s_cbranch_execz .LBB10_11
; %bb.10:
	v_cndmask_b32_e64 v2, 0, v3, s0
	global_store_b32 v[0:1], v2, off offset:512
.LBB10_11:
	s_endpgm
	.section	.rodata,"a",@progbits
	.p2align	6, 0x0
	.amdhsa_kernel _ZN7rocprim17ROCPRIM_400000_NS6detail17trampoline_kernelINS0_14default_configENS1_25transform_config_selectorIiLb1EEEZNS1_14transform_implILb1ES3_S5_PiS7_NS0_8identityIiEEEE10hipError_tT2_T3_mT4_P12ihipStream_tbEUlT_E_NS1_11comp_targetILNS1_3genE0ELNS1_11target_archE4294967295ELNS1_3gpuE0ELNS1_3repE0EEENS1_30default_config_static_selectorELNS0_4arch9wavefront6targetE0EEEvT1_
		.amdhsa_group_segment_fixed_size 0
		.amdhsa_private_segment_fixed_size 0
		.amdhsa_kernarg_size 296
		.amdhsa_user_sgpr_count 2
		.amdhsa_user_sgpr_dispatch_ptr 0
		.amdhsa_user_sgpr_queue_ptr 0
		.amdhsa_user_sgpr_kernarg_segment_ptr 1
		.amdhsa_user_sgpr_dispatch_id 0
		.amdhsa_user_sgpr_kernarg_preload_length 0
		.amdhsa_user_sgpr_kernarg_preload_offset 0
		.amdhsa_user_sgpr_private_segment_size 0
		.amdhsa_wavefront_size32 1
		.amdhsa_uses_dynamic_stack 0
		.amdhsa_enable_private_segment 0
		.amdhsa_system_sgpr_workgroup_id_x 1
		.amdhsa_system_sgpr_workgroup_id_y 0
		.amdhsa_system_sgpr_workgroup_id_z 0
		.amdhsa_system_sgpr_workgroup_info 0
		.amdhsa_system_vgpr_workitem_id 0
		.amdhsa_next_free_vgpr 4
		.amdhsa_next_free_sgpr 14
		.amdhsa_named_barrier_count 0
		.amdhsa_reserve_vcc 1
		.amdhsa_float_round_mode_32 0
		.amdhsa_float_round_mode_16_64 0
		.amdhsa_float_denorm_mode_32 3
		.amdhsa_float_denorm_mode_16_64 3
		.amdhsa_fp16_overflow 0
		.amdhsa_memory_ordered 1
		.amdhsa_forward_progress 1
		.amdhsa_inst_pref_size 3
		.amdhsa_round_robin_scheduling 0
		.amdhsa_exception_fp_ieee_invalid_op 0
		.amdhsa_exception_fp_denorm_src 0
		.amdhsa_exception_fp_ieee_div_zero 0
		.amdhsa_exception_fp_ieee_overflow 0
		.amdhsa_exception_fp_ieee_underflow 0
		.amdhsa_exception_fp_ieee_inexact 0
		.amdhsa_exception_int_div_zero 0
	.end_amdhsa_kernel
	.section	.text._ZN7rocprim17ROCPRIM_400000_NS6detail17trampoline_kernelINS0_14default_configENS1_25transform_config_selectorIiLb1EEEZNS1_14transform_implILb1ES3_S5_PiS7_NS0_8identityIiEEEE10hipError_tT2_T3_mT4_P12ihipStream_tbEUlT_E_NS1_11comp_targetILNS1_3genE0ELNS1_11target_archE4294967295ELNS1_3gpuE0ELNS1_3repE0EEENS1_30default_config_static_selectorELNS0_4arch9wavefront6targetE0EEEvT1_,"axG",@progbits,_ZN7rocprim17ROCPRIM_400000_NS6detail17trampoline_kernelINS0_14default_configENS1_25transform_config_selectorIiLb1EEEZNS1_14transform_implILb1ES3_S5_PiS7_NS0_8identityIiEEEE10hipError_tT2_T3_mT4_P12ihipStream_tbEUlT_E_NS1_11comp_targetILNS1_3genE0ELNS1_11target_archE4294967295ELNS1_3gpuE0ELNS1_3repE0EEENS1_30default_config_static_selectorELNS0_4arch9wavefront6targetE0EEEvT1_,comdat
.Lfunc_end10:
	.size	_ZN7rocprim17ROCPRIM_400000_NS6detail17trampoline_kernelINS0_14default_configENS1_25transform_config_selectorIiLb1EEEZNS1_14transform_implILb1ES3_S5_PiS7_NS0_8identityIiEEEE10hipError_tT2_T3_mT4_P12ihipStream_tbEUlT_E_NS1_11comp_targetILNS1_3genE0ELNS1_11target_archE4294967295ELNS1_3gpuE0ELNS1_3repE0EEENS1_30default_config_static_selectorELNS0_4arch9wavefront6targetE0EEEvT1_, .Lfunc_end10-_ZN7rocprim17ROCPRIM_400000_NS6detail17trampoline_kernelINS0_14default_configENS1_25transform_config_selectorIiLb1EEEZNS1_14transform_implILb1ES3_S5_PiS7_NS0_8identityIiEEEE10hipError_tT2_T3_mT4_P12ihipStream_tbEUlT_E_NS1_11comp_targetILNS1_3genE0ELNS1_11target_archE4294967295ELNS1_3gpuE0ELNS1_3repE0EEENS1_30default_config_static_selectorELNS0_4arch9wavefront6targetE0EEEvT1_
                                        ; -- End function
	.set _ZN7rocprim17ROCPRIM_400000_NS6detail17trampoline_kernelINS0_14default_configENS1_25transform_config_selectorIiLb1EEEZNS1_14transform_implILb1ES3_S5_PiS7_NS0_8identityIiEEEE10hipError_tT2_T3_mT4_P12ihipStream_tbEUlT_E_NS1_11comp_targetILNS1_3genE0ELNS1_11target_archE4294967295ELNS1_3gpuE0ELNS1_3repE0EEENS1_30default_config_static_selectorELNS0_4arch9wavefront6targetE0EEEvT1_.num_vgpr, 4
	.set _ZN7rocprim17ROCPRIM_400000_NS6detail17trampoline_kernelINS0_14default_configENS1_25transform_config_selectorIiLb1EEEZNS1_14transform_implILb1ES3_S5_PiS7_NS0_8identityIiEEEE10hipError_tT2_T3_mT4_P12ihipStream_tbEUlT_E_NS1_11comp_targetILNS1_3genE0ELNS1_11target_archE4294967295ELNS1_3gpuE0ELNS1_3repE0EEENS1_30default_config_static_selectorELNS0_4arch9wavefront6targetE0EEEvT1_.num_agpr, 0
	.set _ZN7rocprim17ROCPRIM_400000_NS6detail17trampoline_kernelINS0_14default_configENS1_25transform_config_selectorIiLb1EEEZNS1_14transform_implILb1ES3_S5_PiS7_NS0_8identityIiEEEE10hipError_tT2_T3_mT4_P12ihipStream_tbEUlT_E_NS1_11comp_targetILNS1_3genE0ELNS1_11target_archE4294967295ELNS1_3gpuE0ELNS1_3repE0EEENS1_30default_config_static_selectorELNS0_4arch9wavefront6targetE0EEEvT1_.numbered_sgpr, 14
	.set _ZN7rocprim17ROCPRIM_400000_NS6detail17trampoline_kernelINS0_14default_configENS1_25transform_config_selectorIiLb1EEEZNS1_14transform_implILb1ES3_S5_PiS7_NS0_8identityIiEEEE10hipError_tT2_T3_mT4_P12ihipStream_tbEUlT_E_NS1_11comp_targetILNS1_3genE0ELNS1_11target_archE4294967295ELNS1_3gpuE0ELNS1_3repE0EEENS1_30default_config_static_selectorELNS0_4arch9wavefront6targetE0EEEvT1_.num_named_barrier, 0
	.set _ZN7rocprim17ROCPRIM_400000_NS6detail17trampoline_kernelINS0_14default_configENS1_25transform_config_selectorIiLb1EEEZNS1_14transform_implILb1ES3_S5_PiS7_NS0_8identityIiEEEE10hipError_tT2_T3_mT4_P12ihipStream_tbEUlT_E_NS1_11comp_targetILNS1_3genE0ELNS1_11target_archE4294967295ELNS1_3gpuE0ELNS1_3repE0EEENS1_30default_config_static_selectorELNS0_4arch9wavefront6targetE0EEEvT1_.private_seg_size, 0
	.set _ZN7rocprim17ROCPRIM_400000_NS6detail17trampoline_kernelINS0_14default_configENS1_25transform_config_selectorIiLb1EEEZNS1_14transform_implILb1ES3_S5_PiS7_NS0_8identityIiEEEE10hipError_tT2_T3_mT4_P12ihipStream_tbEUlT_E_NS1_11comp_targetILNS1_3genE0ELNS1_11target_archE4294967295ELNS1_3gpuE0ELNS1_3repE0EEENS1_30default_config_static_selectorELNS0_4arch9wavefront6targetE0EEEvT1_.uses_vcc, 1
	.set _ZN7rocprim17ROCPRIM_400000_NS6detail17trampoline_kernelINS0_14default_configENS1_25transform_config_selectorIiLb1EEEZNS1_14transform_implILb1ES3_S5_PiS7_NS0_8identityIiEEEE10hipError_tT2_T3_mT4_P12ihipStream_tbEUlT_E_NS1_11comp_targetILNS1_3genE0ELNS1_11target_archE4294967295ELNS1_3gpuE0ELNS1_3repE0EEENS1_30default_config_static_selectorELNS0_4arch9wavefront6targetE0EEEvT1_.uses_flat_scratch, 0
	.set _ZN7rocprim17ROCPRIM_400000_NS6detail17trampoline_kernelINS0_14default_configENS1_25transform_config_selectorIiLb1EEEZNS1_14transform_implILb1ES3_S5_PiS7_NS0_8identityIiEEEE10hipError_tT2_T3_mT4_P12ihipStream_tbEUlT_E_NS1_11comp_targetILNS1_3genE0ELNS1_11target_archE4294967295ELNS1_3gpuE0ELNS1_3repE0EEENS1_30default_config_static_selectorELNS0_4arch9wavefront6targetE0EEEvT1_.has_dyn_sized_stack, 0
	.set _ZN7rocprim17ROCPRIM_400000_NS6detail17trampoline_kernelINS0_14default_configENS1_25transform_config_selectorIiLb1EEEZNS1_14transform_implILb1ES3_S5_PiS7_NS0_8identityIiEEEE10hipError_tT2_T3_mT4_P12ihipStream_tbEUlT_E_NS1_11comp_targetILNS1_3genE0ELNS1_11target_archE4294967295ELNS1_3gpuE0ELNS1_3repE0EEENS1_30default_config_static_selectorELNS0_4arch9wavefront6targetE0EEEvT1_.has_recursion, 0
	.set _ZN7rocprim17ROCPRIM_400000_NS6detail17trampoline_kernelINS0_14default_configENS1_25transform_config_selectorIiLb1EEEZNS1_14transform_implILb1ES3_S5_PiS7_NS0_8identityIiEEEE10hipError_tT2_T3_mT4_P12ihipStream_tbEUlT_E_NS1_11comp_targetILNS1_3genE0ELNS1_11target_archE4294967295ELNS1_3gpuE0ELNS1_3repE0EEENS1_30default_config_static_selectorELNS0_4arch9wavefront6targetE0EEEvT1_.has_indirect_call, 0
	.section	.AMDGPU.csdata,"",@progbits
; Kernel info:
; codeLenInByte = 356
; TotalNumSgprs: 16
; NumVgprs: 4
; ScratchSize: 0
; MemoryBound: 0
; FloatMode: 240
; IeeeMode: 1
; LDSByteSize: 0 bytes/workgroup (compile time only)
; SGPRBlocks: 0
; VGPRBlocks: 0
; NumSGPRsForWavesPerEU: 16
; NumVGPRsForWavesPerEU: 4
; NamedBarCnt: 0
; Occupancy: 16
; WaveLimiterHint : 0
; COMPUTE_PGM_RSRC2:SCRATCH_EN: 0
; COMPUTE_PGM_RSRC2:USER_SGPR: 2
; COMPUTE_PGM_RSRC2:TRAP_HANDLER: 0
; COMPUTE_PGM_RSRC2:TGID_X_EN: 1
; COMPUTE_PGM_RSRC2:TGID_Y_EN: 0
; COMPUTE_PGM_RSRC2:TGID_Z_EN: 0
; COMPUTE_PGM_RSRC2:TIDIG_COMP_CNT: 0
	.section	.text._ZN7rocprim17ROCPRIM_400000_NS6detail17trampoline_kernelINS0_14default_configENS1_25transform_config_selectorIiLb1EEEZNS1_14transform_implILb1ES3_S5_PiS7_NS0_8identityIiEEEE10hipError_tT2_T3_mT4_P12ihipStream_tbEUlT_E_NS1_11comp_targetILNS1_3genE10ELNS1_11target_archE1201ELNS1_3gpuE5ELNS1_3repE0EEENS1_30default_config_static_selectorELNS0_4arch9wavefront6targetE0EEEvT1_,"axG",@progbits,_ZN7rocprim17ROCPRIM_400000_NS6detail17trampoline_kernelINS0_14default_configENS1_25transform_config_selectorIiLb1EEEZNS1_14transform_implILb1ES3_S5_PiS7_NS0_8identityIiEEEE10hipError_tT2_T3_mT4_P12ihipStream_tbEUlT_E_NS1_11comp_targetILNS1_3genE10ELNS1_11target_archE1201ELNS1_3gpuE5ELNS1_3repE0EEENS1_30default_config_static_selectorELNS0_4arch9wavefront6targetE0EEEvT1_,comdat
	.protected	_ZN7rocprim17ROCPRIM_400000_NS6detail17trampoline_kernelINS0_14default_configENS1_25transform_config_selectorIiLb1EEEZNS1_14transform_implILb1ES3_S5_PiS7_NS0_8identityIiEEEE10hipError_tT2_T3_mT4_P12ihipStream_tbEUlT_E_NS1_11comp_targetILNS1_3genE10ELNS1_11target_archE1201ELNS1_3gpuE5ELNS1_3repE0EEENS1_30default_config_static_selectorELNS0_4arch9wavefront6targetE0EEEvT1_ ; -- Begin function _ZN7rocprim17ROCPRIM_400000_NS6detail17trampoline_kernelINS0_14default_configENS1_25transform_config_selectorIiLb1EEEZNS1_14transform_implILb1ES3_S5_PiS7_NS0_8identityIiEEEE10hipError_tT2_T3_mT4_P12ihipStream_tbEUlT_E_NS1_11comp_targetILNS1_3genE10ELNS1_11target_archE1201ELNS1_3gpuE5ELNS1_3repE0EEENS1_30default_config_static_selectorELNS0_4arch9wavefront6targetE0EEEvT1_
	.globl	_ZN7rocprim17ROCPRIM_400000_NS6detail17trampoline_kernelINS0_14default_configENS1_25transform_config_selectorIiLb1EEEZNS1_14transform_implILb1ES3_S5_PiS7_NS0_8identityIiEEEE10hipError_tT2_T3_mT4_P12ihipStream_tbEUlT_E_NS1_11comp_targetILNS1_3genE10ELNS1_11target_archE1201ELNS1_3gpuE5ELNS1_3repE0EEENS1_30default_config_static_selectorELNS0_4arch9wavefront6targetE0EEEvT1_
	.p2align	8
	.type	_ZN7rocprim17ROCPRIM_400000_NS6detail17trampoline_kernelINS0_14default_configENS1_25transform_config_selectorIiLb1EEEZNS1_14transform_implILb1ES3_S5_PiS7_NS0_8identityIiEEEE10hipError_tT2_T3_mT4_P12ihipStream_tbEUlT_E_NS1_11comp_targetILNS1_3genE10ELNS1_11target_archE1201ELNS1_3gpuE5ELNS1_3repE0EEENS1_30default_config_static_selectorELNS0_4arch9wavefront6targetE0EEEvT1_,@function
_ZN7rocprim17ROCPRIM_400000_NS6detail17trampoline_kernelINS0_14default_configENS1_25transform_config_selectorIiLb1EEEZNS1_14transform_implILb1ES3_S5_PiS7_NS0_8identityIiEEEE10hipError_tT2_T3_mT4_P12ihipStream_tbEUlT_E_NS1_11comp_targetILNS1_3genE10ELNS1_11target_archE1201ELNS1_3gpuE5ELNS1_3repE0EEENS1_30default_config_static_selectorELNS0_4arch9wavefront6targetE0EEEvT1_: ; @_ZN7rocprim17ROCPRIM_400000_NS6detail17trampoline_kernelINS0_14default_configENS1_25transform_config_selectorIiLb1EEEZNS1_14transform_implILb1ES3_S5_PiS7_NS0_8identityIiEEEE10hipError_tT2_T3_mT4_P12ihipStream_tbEUlT_E_NS1_11comp_targetILNS1_3genE10ELNS1_11target_archE1201ELNS1_3gpuE5ELNS1_3repE0EEENS1_30default_config_static_selectorELNS0_4arch9wavefront6targetE0EEEvT1_
; %bb.0:
	.section	.rodata,"a",@progbits
	.p2align	6, 0x0
	.amdhsa_kernel _ZN7rocprim17ROCPRIM_400000_NS6detail17trampoline_kernelINS0_14default_configENS1_25transform_config_selectorIiLb1EEEZNS1_14transform_implILb1ES3_S5_PiS7_NS0_8identityIiEEEE10hipError_tT2_T3_mT4_P12ihipStream_tbEUlT_E_NS1_11comp_targetILNS1_3genE10ELNS1_11target_archE1201ELNS1_3gpuE5ELNS1_3repE0EEENS1_30default_config_static_selectorELNS0_4arch9wavefront6targetE0EEEvT1_
		.amdhsa_group_segment_fixed_size 0
		.amdhsa_private_segment_fixed_size 0
		.amdhsa_kernarg_size 40
		.amdhsa_user_sgpr_count 2
		.amdhsa_user_sgpr_dispatch_ptr 0
		.amdhsa_user_sgpr_queue_ptr 0
		.amdhsa_user_sgpr_kernarg_segment_ptr 1
		.amdhsa_user_sgpr_dispatch_id 0
		.amdhsa_user_sgpr_kernarg_preload_length 0
		.amdhsa_user_sgpr_kernarg_preload_offset 0
		.amdhsa_user_sgpr_private_segment_size 0
		.amdhsa_wavefront_size32 1
		.amdhsa_uses_dynamic_stack 0
		.amdhsa_enable_private_segment 0
		.amdhsa_system_sgpr_workgroup_id_x 1
		.amdhsa_system_sgpr_workgroup_id_y 0
		.amdhsa_system_sgpr_workgroup_id_z 0
		.amdhsa_system_sgpr_workgroup_info 0
		.amdhsa_system_vgpr_workitem_id 0
		.amdhsa_next_free_vgpr 1
		.amdhsa_next_free_sgpr 1
		.amdhsa_named_barrier_count 0
		.amdhsa_reserve_vcc 0
		.amdhsa_float_round_mode_32 0
		.amdhsa_float_round_mode_16_64 0
		.amdhsa_float_denorm_mode_32 3
		.amdhsa_float_denorm_mode_16_64 3
		.amdhsa_fp16_overflow 0
		.amdhsa_memory_ordered 1
		.amdhsa_forward_progress 1
		.amdhsa_inst_pref_size 0
		.amdhsa_round_robin_scheduling 0
		.amdhsa_exception_fp_ieee_invalid_op 0
		.amdhsa_exception_fp_denorm_src 0
		.amdhsa_exception_fp_ieee_div_zero 0
		.amdhsa_exception_fp_ieee_overflow 0
		.amdhsa_exception_fp_ieee_underflow 0
		.amdhsa_exception_fp_ieee_inexact 0
		.amdhsa_exception_int_div_zero 0
	.end_amdhsa_kernel
	.section	.text._ZN7rocprim17ROCPRIM_400000_NS6detail17trampoline_kernelINS0_14default_configENS1_25transform_config_selectorIiLb1EEEZNS1_14transform_implILb1ES3_S5_PiS7_NS0_8identityIiEEEE10hipError_tT2_T3_mT4_P12ihipStream_tbEUlT_E_NS1_11comp_targetILNS1_3genE10ELNS1_11target_archE1201ELNS1_3gpuE5ELNS1_3repE0EEENS1_30default_config_static_selectorELNS0_4arch9wavefront6targetE0EEEvT1_,"axG",@progbits,_ZN7rocprim17ROCPRIM_400000_NS6detail17trampoline_kernelINS0_14default_configENS1_25transform_config_selectorIiLb1EEEZNS1_14transform_implILb1ES3_S5_PiS7_NS0_8identityIiEEEE10hipError_tT2_T3_mT4_P12ihipStream_tbEUlT_E_NS1_11comp_targetILNS1_3genE10ELNS1_11target_archE1201ELNS1_3gpuE5ELNS1_3repE0EEENS1_30default_config_static_selectorELNS0_4arch9wavefront6targetE0EEEvT1_,comdat
.Lfunc_end11:
	.size	_ZN7rocprim17ROCPRIM_400000_NS6detail17trampoline_kernelINS0_14default_configENS1_25transform_config_selectorIiLb1EEEZNS1_14transform_implILb1ES3_S5_PiS7_NS0_8identityIiEEEE10hipError_tT2_T3_mT4_P12ihipStream_tbEUlT_E_NS1_11comp_targetILNS1_3genE10ELNS1_11target_archE1201ELNS1_3gpuE5ELNS1_3repE0EEENS1_30default_config_static_selectorELNS0_4arch9wavefront6targetE0EEEvT1_, .Lfunc_end11-_ZN7rocprim17ROCPRIM_400000_NS6detail17trampoline_kernelINS0_14default_configENS1_25transform_config_selectorIiLb1EEEZNS1_14transform_implILb1ES3_S5_PiS7_NS0_8identityIiEEEE10hipError_tT2_T3_mT4_P12ihipStream_tbEUlT_E_NS1_11comp_targetILNS1_3genE10ELNS1_11target_archE1201ELNS1_3gpuE5ELNS1_3repE0EEENS1_30default_config_static_selectorELNS0_4arch9wavefront6targetE0EEEvT1_
                                        ; -- End function
	.set _ZN7rocprim17ROCPRIM_400000_NS6detail17trampoline_kernelINS0_14default_configENS1_25transform_config_selectorIiLb1EEEZNS1_14transform_implILb1ES3_S5_PiS7_NS0_8identityIiEEEE10hipError_tT2_T3_mT4_P12ihipStream_tbEUlT_E_NS1_11comp_targetILNS1_3genE10ELNS1_11target_archE1201ELNS1_3gpuE5ELNS1_3repE0EEENS1_30default_config_static_selectorELNS0_4arch9wavefront6targetE0EEEvT1_.num_vgpr, 0
	.set _ZN7rocprim17ROCPRIM_400000_NS6detail17trampoline_kernelINS0_14default_configENS1_25transform_config_selectorIiLb1EEEZNS1_14transform_implILb1ES3_S5_PiS7_NS0_8identityIiEEEE10hipError_tT2_T3_mT4_P12ihipStream_tbEUlT_E_NS1_11comp_targetILNS1_3genE10ELNS1_11target_archE1201ELNS1_3gpuE5ELNS1_3repE0EEENS1_30default_config_static_selectorELNS0_4arch9wavefront6targetE0EEEvT1_.num_agpr, 0
	.set _ZN7rocprim17ROCPRIM_400000_NS6detail17trampoline_kernelINS0_14default_configENS1_25transform_config_selectorIiLb1EEEZNS1_14transform_implILb1ES3_S5_PiS7_NS0_8identityIiEEEE10hipError_tT2_T3_mT4_P12ihipStream_tbEUlT_E_NS1_11comp_targetILNS1_3genE10ELNS1_11target_archE1201ELNS1_3gpuE5ELNS1_3repE0EEENS1_30default_config_static_selectorELNS0_4arch9wavefront6targetE0EEEvT1_.numbered_sgpr, 0
	.set _ZN7rocprim17ROCPRIM_400000_NS6detail17trampoline_kernelINS0_14default_configENS1_25transform_config_selectorIiLb1EEEZNS1_14transform_implILb1ES3_S5_PiS7_NS0_8identityIiEEEE10hipError_tT2_T3_mT4_P12ihipStream_tbEUlT_E_NS1_11comp_targetILNS1_3genE10ELNS1_11target_archE1201ELNS1_3gpuE5ELNS1_3repE0EEENS1_30default_config_static_selectorELNS0_4arch9wavefront6targetE0EEEvT1_.num_named_barrier, 0
	.set _ZN7rocprim17ROCPRIM_400000_NS6detail17trampoline_kernelINS0_14default_configENS1_25transform_config_selectorIiLb1EEEZNS1_14transform_implILb1ES3_S5_PiS7_NS0_8identityIiEEEE10hipError_tT2_T3_mT4_P12ihipStream_tbEUlT_E_NS1_11comp_targetILNS1_3genE10ELNS1_11target_archE1201ELNS1_3gpuE5ELNS1_3repE0EEENS1_30default_config_static_selectorELNS0_4arch9wavefront6targetE0EEEvT1_.private_seg_size, 0
	.set _ZN7rocprim17ROCPRIM_400000_NS6detail17trampoline_kernelINS0_14default_configENS1_25transform_config_selectorIiLb1EEEZNS1_14transform_implILb1ES3_S5_PiS7_NS0_8identityIiEEEE10hipError_tT2_T3_mT4_P12ihipStream_tbEUlT_E_NS1_11comp_targetILNS1_3genE10ELNS1_11target_archE1201ELNS1_3gpuE5ELNS1_3repE0EEENS1_30default_config_static_selectorELNS0_4arch9wavefront6targetE0EEEvT1_.uses_vcc, 0
	.set _ZN7rocprim17ROCPRIM_400000_NS6detail17trampoline_kernelINS0_14default_configENS1_25transform_config_selectorIiLb1EEEZNS1_14transform_implILb1ES3_S5_PiS7_NS0_8identityIiEEEE10hipError_tT2_T3_mT4_P12ihipStream_tbEUlT_E_NS1_11comp_targetILNS1_3genE10ELNS1_11target_archE1201ELNS1_3gpuE5ELNS1_3repE0EEENS1_30default_config_static_selectorELNS0_4arch9wavefront6targetE0EEEvT1_.uses_flat_scratch, 0
	.set _ZN7rocprim17ROCPRIM_400000_NS6detail17trampoline_kernelINS0_14default_configENS1_25transform_config_selectorIiLb1EEEZNS1_14transform_implILb1ES3_S5_PiS7_NS0_8identityIiEEEE10hipError_tT2_T3_mT4_P12ihipStream_tbEUlT_E_NS1_11comp_targetILNS1_3genE10ELNS1_11target_archE1201ELNS1_3gpuE5ELNS1_3repE0EEENS1_30default_config_static_selectorELNS0_4arch9wavefront6targetE0EEEvT1_.has_dyn_sized_stack, 0
	.set _ZN7rocprim17ROCPRIM_400000_NS6detail17trampoline_kernelINS0_14default_configENS1_25transform_config_selectorIiLb1EEEZNS1_14transform_implILb1ES3_S5_PiS7_NS0_8identityIiEEEE10hipError_tT2_T3_mT4_P12ihipStream_tbEUlT_E_NS1_11comp_targetILNS1_3genE10ELNS1_11target_archE1201ELNS1_3gpuE5ELNS1_3repE0EEENS1_30default_config_static_selectorELNS0_4arch9wavefront6targetE0EEEvT1_.has_recursion, 0
	.set _ZN7rocprim17ROCPRIM_400000_NS6detail17trampoline_kernelINS0_14default_configENS1_25transform_config_selectorIiLb1EEEZNS1_14transform_implILb1ES3_S5_PiS7_NS0_8identityIiEEEE10hipError_tT2_T3_mT4_P12ihipStream_tbEUlT_E_NS1_11comp_targetILNS1_3genE10ELNS1_11target_archE1201ELNS1_3gpuE5ELNS1_3repE0EEENS1_30default_config_static_selectorELNS0_4arch9wavefront6targetE0EEEvT1_.has_indirect_call, 0
	.section	.AMDGPU.csdata,"",@progbits
; Kernel info:
; codeLenInByte = 0
; TotalNumSgprs: 0
; NumVgprs: 0
; ScratchSize: 0
; MemoryBound: 0
; FloatMode: 240
; IeeeMode: 1
; LDSByteSize: 0 bytes/workgroup (compile time only)
; SGPRBlocks: 0
; VGPRBlocks: 0
; NumSGPRsForWavesPerEU: 1
; NumVGPRsForWavesPerEU: 1
; NamedBarCnt: 0
; Occupancy: 16
; WaveLimiterHint : 0
; COMPUTE_PGM_RSRC2:SCRATCH_EN: 0
; COMPUTE_PGM_RSRC2:USER_SGPR: 2
; COMPUTE_PGM_RSRC2:TRAP_HANDLER: 0
; COMPUTE_PGM_RSRC2:TGID_X_EN: 1
; COMPUTE_PGM_RSRC2:TGID_Y_EN: 0
; COMPUTE_PGM_RSRC2:TGID_Z_EN: 0
; COMPUTE_PGM_RSRC2:TIDIG_COMP_CNT: 0
	.section	.text._ZN7rocprim17ROCPRIM_400000_NS6detail17trampoline_kernelINS0_14default_configENS1_25transform_config_selectorIiLb1EEEZNS1_14transform_implILb1ES3_S5_PiS7_NS0_8identityIiEEEE10hipError_tT2_T3_mT4_P12ihipStream_tbEUlT_E_NS1_11comp_targetILNS1_3genE5ELNS1_11target_archE942ELNS1_3gpuE9ELNS1_3repE0EEENS1_30default_config_static_selectorELNS0_4arch9wavefront6targetE0EEEvT1_,"axG",@progbits,_ZN7rocprim17ROCPRIM_400000_NS6detail17trampoline_kernelINS0_14default_configENS1_25transform_config_selectorIiLb1EEEZNS1_14transform_implILb1ES3_S5_PiS7_NS0_8identityIiEEEE10hipError_tT2_T3_mT4_P12ihipStream_tbEUlT_E_NS1_11comp_targetILNS1_3genE5ELNS1_11target_archE942ELNS1_3gpuE9ELNS1_3repE0EEENS1_30default_config_static_selectorELNS0_4arch9wavefront6targetE0EEEvT1_,comdat
	.protected	_ZN7rocprim17ROCPRIM_400000_NS6detail17trampoline_kernelINS0_14default_configENS1_25transform_config_selectorIiLb1EEEZNS1_14transform_implILb1ES3_S5_PiS7_NS0_8identityIiEEEE10hipError_tT2_T3_mT4_P12ihipStream_tbEUlT_E_NS1_11comp_targetILNS1_3genE5ELNS1_11target_archE942ELNS1_3gpuE9ELNS1_3repE0EEENS1_30default_config_static_selectorELNS0_4arch9wavefront6targetE0EEEvT1_ ; -- Begin function _ZN7rocprim17ROCPRIM_400000_NS6detail17trampoline_kernelINS0_14default_configENS1_25transform_config_selectorIiLb1EEEZNS1_14transform_implILb1ES3_S5_PiS7_NS0_8identityIiEEEE10hipError_tT2_T3_mT4_P12ihipStream_tbEUlT_E_NS1_11comp_targetILNS1_3genE5ELNS1_11target_archE942ELNS1_3gpuE9ELNS1_3repE0EEENS1_30default_config_static_selectorELNS0_4arch9wavefront6targetE0EEEvT1_
	.globl	_ZN7rocprim17ROCPRIM_400000_NS6detail17trampoline_kernelINS0_14default_configENS1_25transform_config_selectorIiLb1EEEZNS1_14transform_implILb1ES3_S5_PiS7_NS0_8identityIiEEEE10hipError_tT2_T3_mT4_P12ihipStream_tbEUlT_E_NS1_11comp_targetILNS1_3genE5ELNS1_11target_archE942ELNS1_3gpuE9ELNS1_3repE0EEENS1_30default_config_static_selectorELNS0_4arch9wavefront6targetE0EEEvT1_
	.p2align	8
	.type	_ZN7rocprim17ROCPRIM_400000_NS6detail17trampoline_kernelINS0_14default_configENS1_25transform_config_selectorIiLb1EEEZNS1_14transform_implILb1ES3_S5_PiS7_NS0_8identityIiEEEE10hipError_tT2_T3_mT4_P12ihipStream_tbEUlT_E_NS1_11comp_targetILNS1_3genE5ELNS1_11target_archE942ELNS1_3gpuE9ELNS1_3repE0EEENS1_30default_config_static_selectorELNS0_4arch9wavefront6targetE0EEEvT1_,@function
_ZN7rocprim17ROCPRIM_400000_NS6detail17trampoline_kernelINS0_14default_configENS1_25transform_config_selectorIiLb1EEEZNS1_14transform_implILb1ES3_S5_PiS7_NS0_8identityIiEEEE10hipError_tT2_T3_mT4_P12ihipStream_tbEUlT_E_NS1_11comp_targetILNS1_3genE5ELNS1_11target_archE942ELNS1_3gpuE9ELNS1_3repE0EEENS1_30default_config_static_selectorELNS0_4arch9wavefront6targetE0EEEvT1_: ; @_ZN7rocprim17ROCPRIM_400000_NS6detail17trampoline_kernelINS0_14default_configENS1_25transform_config_selectorIiLb1EEEZNS1_14transform_implILb1ES3_S5_PiS7_NS0_8identityIiEEEE10hipError_tT2_T3_mT4_P12ihipStream_tbEUlT_E_NS1_11comp_targetILNS1_3genE5ELNS1_11target_archE942ELNS1_3gpuE9ELNS1_3repE0EEENS1_30default_config_static_selectorELNS0_4arch9wavefront6targetE0EEEvT1_
; %bb.0:
	.section	.rodata,"a",@progbits
	.p2align	6, 0x0
	.amdhsa_kernel _ZN7rocprim17ROCPRIM_400000_NS6detail17trampoline_kernelINS0_14default_configENS1_25transform_config_selectorIiLb1EEEZNS1_14transform_implILb1ES3_S5_PiS7_NS0_8identityIiEEEE10hipError_tT2_T3_mT4_P12ihipStream_tbEUlT_E_NS1_11comp_targetILNS1_3genE5ELNS1_11target_archE942ELNS1_3gpuE9ELNS1_3repE0EEENS1_30default_config_static_selectorELNS0_4arch9wavefront6targetE0EEEvT1_
		.amdhsa_group_segment_fixed_size 0
		.amdhsa_private_segment_fixed_size 0
		.amdhsa_kernarg_size 40
		.amdhsa_user_sgpr_count 2
		.amdhsa_user_sgpr_dispatch_ptr 0
		.amdhsa_user_sgpr_queue_ptr 0
		.amdhsa_user_sgpr_kernarg_segment_ptr 1
		.amdhsa_user_sgpr_dispatch_id 0
		.amdhsa_user_sgpr_kernarg_preload_length 0
		.amdhsa_user_sgpr_kernarg_preload_offset 0
		.amdhsa_user_sgpr_private_segment_size 0
		.amdhsa_wavefront_size32 1
		.amdhsa_uses_dynamic_stack 0
		.amdhsa_enable_private_segment 0
		.amdhsa_system_sgpr_workgroup_id_x 1
		.amdhsa_system_sgpr_workgroup_id_y 0
		.amdhsa_system_sgpr_workgroup_id_z 0
		.amdhsa_system_sgpr_workgroup_info 0
		.amdhsa_system_vgpr_workitem_id 0
		.amdhsa_next_free_vgpr 1
		.amdhsa_next_free_sgpr 1
		.amdhsa_named_barrier_count 0
		.amdhsa_reserve_vcc 0
		.amdhsa_float_round_mode_32 0
		.amdhsa_float_round_mode_16_64 0
		.amdhsa_float_denorm_mode_32 3
		.amdhsa_float_denorm_mode_16_64 3
		.amdhsa_fp16_overflow 0
		.amdhsa_memory_ordered 1
		.amdhsa_forward_progress 1
		.amdhsa_inst_pref_size 0
		.amdhsa_round_robin_scheduling 0
		.amdhsa_exception_fp_ieee_invalid_op 0
		.amdhsa_exception_fp_denorm_src 0
		.amdhsa_exception_fp_ieee_div_zero 0
		.amdhsa_exception_fp_ieee_overflow 0
		.amdhsa_exception_fp_ieee_underflow 0
		.amdhsa_exception_fp_ieee_inexact 0
		.amdhsa_exception_int_div_zero 0
	.end_amdhsa_kernel
	.section	.text._ZN7rocprim17ROCPRIM_400000_NS6detail17trampoline_kernelINS0_14default_configENS1_25transform_config_selectorIiLb1EEEZNS1_14transform_implILb1ES3_S5_PiS7_NS0_8identityIiEEEE10hipError_tT2_T3_mT4_P12ihipStream_tbEUlT_E_NS1_11comp_targetILNS1_3genE5ELNS1_11target_archE942ELNS1_3gpuE9ELNS1_3repE0EEENS1_30default_config_static_selectorELNS0_4arch9wavefront6targetE0EEEvT1_,"axG",@progbits,_ZN7rocprim17ROCPRIM_400000_NS6detail17trampoline_kernelINS0_14default_configENS1_25transform_config_selectorIiLb1EEEZNS1_14transform_implILb1ES3_S5_PiS7_NS0_8identityIiEEEE10hipError_tT2_T3_mT4_P12ihipStream_tbEUlT_E_NS1_11comp_targetILNS1_3genE5ELNS1_11target_archE942ELNS1_3gpuE9ELNS1_3repE0EEENS1_30default_config_static_selectorELNS0_4arch9wavefront6targetE0EEEvT1_,comdat
.Lfunc_end12:
	.size	_ZN7rocprim17ROCPRIM_400000_NS6detail17trampoline_kernelINS0_14default_configENS1_25transform_config_selectorIiLb1EEEZNS1_14transform_implILb1ES3_S5_PiS7_NS0_8identityIiEEEE10hipError_tT2_T3_mT4_P12ihipStream_tbEUlT_E_NS1_11comp_targetILNS1_3genE5ELNS1_11target_archE942ELNS1_3gpuE9ELNS1_3repE0EEENS1_30default_config_static_selectorELNS0_4arch9wavefront6targetE0EEEvT1_, .Lfunc_end12-_ZN7rocprim17ROCPRIM_400000_NS6detail17trampoline_kernelINS0_14default_configENS1_25transform_config_selectorIiLb1EEEZNS1_14transform_implILb1ES3_S5_PiS7_NS0_8identityIiEEEE10hipError_tT2_T3_mT4_P12ihipStream_tbEUlT_E_NS1_11comp_targetILNS1_3genE5ELNS1_11target_archE942ELNS1_3gpuE9ELNS1_3repE0EEENS1_30default_config_static_selectorELNS0_4arch9wavefront6targetE0EEEvT1_
                                        ; -- End function
	.set _ZN7rocprim17ROCPRIM_400000_NS6detail17trampoline_kernelINS0_14default_configENS1_25transform_config_selectorIiLb1EEEZNS1_14transform_implILb1ES3_S5_PiS7_NS0_8identityIiEEEE10hipError_tT2_T3_mT4_P12ihipStream_tbEUlT_E_NS1_11comp_targetILNS1_3genE5ELNS1_11target_archE942ELNS1_3gpuE9ELNS1_3repE0EEENS1_30default_config_static_selectorELNS0_4arch9wavefront6targetE0EEEvT1_.num_vgpr, 0
	.set _ZN7rocprim17ROCPRIM_400000_NS6detail17trampoline_kernelINS0_14default_configENS1_25transform_config_selectorIiLb1EEEZNS1_14transform_implILb1ES3_S5_PiS7_NS0_8identityIiEEEE10hipError_tT2_T3_mT4_P12ihipStream_tbEUlT_E_NS1_11comp_targetILNS1_3genE5ELNS1_11target_archE942ELNS1_3gpuE9ELNS1_3repE0EEENS1_30default_config_static_selectorELNS0_4arch9wavefront6targetE0EEEvT1_.num_agpr, 0
	.set _ZN7rocprim17ROCPRIM_400000_NS6detail17trampoline_kernelINS0_14default_configENS1_25transform_config_selectorIiLb1EEEZNS1_14transform_implILb1ES3_S5_PiS7_NS0_8identityIiEEEE10hipError_tT2_T3_mT4_P12ihipStream_tbEUlT_E_NS1_11comp_targetILNS1_3genE5ELNS1_11target_archE942ELNS1_3gpuE9ELNS1_3repE0EEENS1_30default_config_static_selectorELNS0_4arch9wavefront6targetE0EEEvT1_.numbered_sgpr, 0
	.set _ZN7rocprim17ROCPRIM_400000_NS6detail17trampoline_kernelINS0_14default_configENS1_25transform_config_selectorIiLb1EEEZNS1_14transform_implILb1ES3_S5_PiS7_NS0_8identityIiEEEE10hipError_tT2_T3_mT4_P12ihipStream_tbEUlT_E_NS1_11comp_targetILNS1_3genE5ELNS1_11target_archE942ELNS1_3gpuE9ELNS1_3repE0EEENS1_30default_config_static_selectorELNS0_4arch9wavefront6targetE0EEEvT1_.num_named_barrier, 0
	.set _ZN7rocprim17ROCPRIM_400000_NS6detail17trampoline_kernelINS0_14default_configENS1_25transform_config_selectorIiLb1EEEZNS1_14transform_implILb1ES3_S5_PiS7_NS0_8identityIiEEEE10hipError_tT2_T3_mT4_P12ihipStream_tbEUlT_E_NS1_11comp_targetILNS1_3genE5ELNS1_11target_archE942ELNS1_3gpuE9ELNS1_3repE0EEENS1_30default_config_static_selectorELNS0_4arch9wavefront6targetE0EEEvT1_.private_seg_size, 0
	.set _ZN7rocprim17ROCPRIM_400000_NS6detail17trampoline_kernelINS0_14default_configENS1_25transform_config_selectorIiLb1EEEZNS1_14transform_implILb1ES3_S5_PiS7_NS0_8identityIiEEEE10hipError_tT2_T3_mT4_P12ihipStream_tbEUlT_E_NS1_11comp_targetILNS1_3genE5ELNS1_11target_archE942ELNS1_3gpuE9ELNS1_3repE0EEENS1_30default_config_static_selectorELNS0_4arch9wavefront6targetE0EEEvT1_.uses_vcc, 0
	.set _ZN7rocprim17ROCPRIM_400000_NS6detail17trampoline_kernelINS0_14default_configENS1_25transform_config_selectorIiLb1EEEZNS1_14transform_implILb1ES3_S5_PiS7_NS0_8identityIiEEEE10hipError_tT2_T3_mT4_P12ihipStream_tbEUlT_E_NS1_11comp_targetILNS1_3genE5ELNS1_11target_archE942ELNS1_3gpuE9ELNS1_3repE0EEENS1_30default_config_static_selectorELNS0_4arch9wavefront6targetE0EEEvT1_.uses_flat_scratch, 0
	.set _ZN7rocprim17ROCPRIM_400000_NS6detail17trampoline_kernelINS0_14default_configENS1_25transform_config_selectorIiLb1EEEZNS1_14transform_implILb1ES3_S5_PiS7_NS0_8identityIiEEEE10hipError_tT2_T3_mT4_P12ihipStream_tbEUlT_E_NS1_11comp_targetILNS1_3genE5ELNS1_11target_archE942ELNS1_3gpuE9ELNS1_3repE0EEENS1_30default_config_static_selectorELNS0_4arch9wavefront6targetE0EEEvT1_.has_dyn_sized_stack, 0
	.set _ZN7rocprim17ROCPRIM_400000_NS6detail17trampoline_kernelINS0_14default_configENS1_25transform_config_selectorIiLb1EEEZNS1_14transform_implILb1ES3_S5_PiS7_NS0_8identityIiEEEE10hipError_tT2_T3_mT4_P12ihipStream_tbEUlT_E_NS1_11comp_targetILNS1_3genE5ELNS1_11target_archE942ELNS1_3gpuE9ELNS1_3repE0EEENS1_30default_config_static_selectorELNS0_4arch9wavefront6targetE0EEEvT1_.has_recursion, 0
	.set _ZN7rocprim17ROCPRIM_400000_NS6detail17trampoline_kernelINS0_14default_configENS1_25transform_config_selectorIiLb1EEEZNS1_14transform_implILb1ES3_S5_PiS7_NS0_8identityIiEEEE10hipError_tT2_T3_mT4_P12ihipStream_tbEUlT_E_NS1_11comp_targetILNS1_3genE5ELNS1_11target_archE942ELNS1_3gpuE9ELNS1_3repE0EEENS1_30default_config_static_selectorELNS0_4arch9wavefront6targetE0EEEvT1_.has_indirect_call, 0
	.section	.AMDGPU.csdata,"",@progbits
; Kernel info:
; codeLenInByte = 0
; TotalNumSgprs: 0
; NumVgprs: 0
; ScratchSize: 0
; MemoryBound: 0
; FloatMode: 240
; IeeeMode: 1
; LDSByteSize: 0 bytes/workgroup (compile time only)
; SGPRBlocks: 0
; VGPRBlocks: 0
; NumSGPRsForWavesPerEU: 1
; NumVGPRsForWavesPerEU: 1
; NamedBarCnt: 0
; Occupancy: 16
; WaveLimiterHint : 0
; COMPUTE_PGM_RSRC2:SCRATCH_EN: 0
; COMPUTE_PGM_RSRC2:USER_SGPR: 2
; COMPUTE_PGM_RSRC2:TRAP_HANDLER: 0
; COMPUTE_PGM_RSRC2:TGID_X_EN: 1
; COMPUTE_PGM_RSRC2:TGID_Y_EN: 0
; COMPUTE_PGM_RSRC2:TGID_Z_EN: 0
; COMPUTE_PGM_RSRC2:TIDIG_COMP_CNT: 0
	.section	.text._ZN7rocprim17ROCPRIM_400000_NS6detail17trampoline_kernelINS0_14default_configENS1_25transform_config_selectorIiLb1EEEZNS1_14transform_implILb1ES3_S5_PiS7_NS0_8identityIiEEEE10hipError_tT2_T3_mT4_P12ihipStream_tbEUlT_E_NS1_11comp_targetILNS1_3genE4ELNS1_11target_archE910ELNS1_3gpuE8ELNS1_3repE0EEENS1_30default_config_static_selectorELNS0_4arch9wavefront6targetE0EEEvT1_,"axG",@progbits,_ZN7rocprim17ROCPRIM_400000_NS6detail17trampoline_kernelINS0_14default_configENS1_25transform_config_selectorIiLb1EEEZNS1_14transform_implILb1ES3_S5_PiS7_NS0_8identityIiEEEE10hipError_tT2_T3_mT4_P12ihipStream_tbEUlT_E_NS1_11comp_targetILNS1_3genE4ELNS1_11target_archE910ELNS1_3gpuE8ELNS1_3repE0EEENS1_30default_config_static_selectorELNS0_4arch9wavefront6targetE0EEEvT1_,comdat
	.protected	_ZN7rocprim17ROCPRIM_400000_NS6detail17trampoline_kernelINS0_14default_configENS1_25transform_config_selectorIiLb1EEEZNS1_14transform_implILb1ES3_S5_PiS7_NS0_8identityIiEEEE10hipError_tT2_T3_mT4_P12ihipStream_tbEUlT_E_NS1_11comp_targetILNS1_3genE4ELNS1_11target_archE910ELNS1_3gpuE8ELNS1_3repE0EEENS1_30default_config_static_selectorELNS0_4arch9wavefront6targetE0EEEvT1_ ; -- Begin function _ZN7rocprim17ROCPRIM_400000_NS6detail17trampoline_kernelINS0_14default_configENS1_25transform_config_selectorIiLb1EEEZNS1_14transform_implILb1ES3_S5_PiS7_NS0_8identityIiEEEE10hipError_tT2_T3_mT4_P12ihipStream_tbEUlT_E_NS1_11comp_targetILNS1_3genE4ELNS1_11target_archE910ELNS1_3gpuE8ELNS1_3repE0EEENS1_30default_config_static_selectorELNS0_4arch9wavefront6targetE0EEEvT1_
	.globl	_ZN7rocprim17ROCPRIM_400000_NS6detail17trampoline_kernelINS0_14default_configENS1_25transform_config_selectorIiLb1EEEZNS1_14transform_implILb1ES3_S5_PiS7_NS0_8identityIiEEEE10hipError_tT2_T3_mT4_P12ihipStream_tbEUlT_E_NS1_11comp_targetILNS1_3genE4ELNS1_11target_archE910ELNS1_3gpuE8ELNS1_3repE0EEENS1_30default_config_static_selectorELNS0_4arch9wavefront6targetE0EEEvT1_
	.p2align	8
	.type	_ZN7rocprim17ROCPRIM_400000_NS6detail17trampoline_kernelINS0_14default_configENS1_25transform_config_selectorIiLb1EEEZNS1_14transform_implILb1ES3_S5_PiS7_NS0_8identityIiEEEE10hipError_tT2_T3_mT4_P12ihipStream_tbEUlT_E_NS1_11comp_targetILNS1_3genE4ELNS1_11target_archE910ELNS1_3gpuE8ELNS1_3repE0EEENS1_30default_config_static_selectorELNS0_4arch9wavefront6targetE0EEEvT1_,@function
_ZN7rocprim17ROCPRIM_400000_NS6detail17trampoline_kernelINS0_14default_configENS1_25transform_config_selectorIiLb1EEEZNS1_14transform_implILb1ES3_S5_PiS7_NS0_8identityIiEEEE10hipError_tT2_T3_mT4_P12ihipStream_tbEUlT_E_NS1_11comp_targetILNS1_3genE4ELNS1_11target_archE910ELNS1_3gpuE8ELNS1_3repE0EEENS1_30default_config_static_selectorELNS0_4arch9wavefront6targetE0EEEvT1_: ; @_ZN7rocprim17ROCPRIM_400000_NS6detail17trampoline_kernelINS0_14default_configENS1_25transform_config_selectorIiLb1EEEZNS1_14transform_implILb1ES3_S5_PiS7_NS0_8identityIiEEEE10hipError_tT2_T3_mT4_P12ihipStream_tbEUlT_E_NS1_11comp_targetILNS1_3genE4ELNS1_11target_archE910ELNS1_3gpuE8ELNS1_3repE0EEENS1_30default_config_static_selectorELNS0_4arch9wavefront6targetE0EEEvT1_
; %bb.0:
	.section	.rodata,"a",@progbits
	.p2align	6, 0x0
	.amdhsa_kernel _ZN7rocprim17ROCPRIM_400000_NS6detail17trampoline_kernelINS0_14default_configENS1_25transform_config_selectorIiLb1EEEZNS1_14transform_implILb1ES3_S5_PiS7_NS0_8identityIiEEEE10hipError_tT2_T3_mT4_P12ihipStream_tbEUlT_E_NS1_11comp_targetILNS1_3genE4ELNS1_11target_archE910ELNS1_3gpuE8ELNS1_3repE0EEENS1_30default_config_static_selectorELNS0_4arch9wavefront6targetE0EEEvT1_
		.amdhsa_group_segment_fixed_size 0
		.amdhsa_private_segment_fixed_size 0
		.amdhsa_kernarg_size 40
		.amdhsa_user_sgpr_count 2
		.amdhsa_user_sgpr_dispatch_ptr 0
		.amdhsa_user_sgpr_queue_ptr 0
		.amdhsa_user_sgpr_kernarg_segment_ptr 1
		.amdhsa_user_sgpr_dispatch_id 0
		.amdhsa_user_sgpr_kernarg_preload_length 0
		.amdhsa_user_sgpr_kernarg_preload_offset 0
		.amdhsa_user_sgpr_private_segment_size 0
		.amdhsa_wavefront_size32 1
		.amdhsa_uses_dynamic_stack 0
		.amdhsa_enable_private_segment 0
		.amdhsa_system_sgpr_workgroup_id_x 1
		.amdhsa_system_sgpr_workgroup_id_y 0
		.amdhsa_system_sgpr_workgroup_id_z 0
		.amdhsa_system_sgpr_workgroup_info 0
		.amdhsa_system_vgpr_workitem_id 0
		.amdhsa_next_free_vgpr 1
		.amdhsa_next_free_sgpr 1
		.amdhsa_named_barrier_count 0
		.amdhsa_reserve_vcc 0
		.amdhsa_float_round_mode_32 0
		.amdhsa_float_round_mode_16_64 0
		.amdhsa_float_denorm_mode_32 3
		.amdhsa_float_denorm_mode_16_64 3
		.amdhsa_fp16_overflow 0
		.amdhsa_memory_ordered 1
		.amdhsa_forward_progress 1
		.amdhsa_inst_pref_size 0
		.amdhsa_round_robin_scheduling 0
		.amdhsa_exception_fp_ieee_invalid_op 0
		.amdhsa_exception_fp_denorm_src 0
		.amdhsa_exception_fp_ieee_div_zero 0
		.amdhsa_exception_fp_ieee_overflow 0
		.amdhsa_exception_fp_ieee_underflow 0
		.amdhsa_exception_fp_ieee_inexact 0
		.amdhsa_exception_int_div_zero 0
	.end_amdhsa_kernel
	.section	.text._ZN7rocprim17ROCPRIM_400000_NS6detail17trampoline_kernelINS0_14default_configENS1_25transform_config_selectorIiLb1EEEZNS1_14transform_implILb1ES3_S5_PiS7_NS0_8identityIiEEEE10hipError_tT2_T3_mT4_P12ihipStream_tbEUlT_E_NS1_11comp_targetILNS1_3genE4ELNS1_11target_archE910ELNS1_3gpuE8ELNS1_3repE0EEENS1_30default_config_static_selectorELNS0_4arch9wavefront6targetE0EEEvT1_,"axG",@progbits,_ZN7rocprim17ROCPRIM_400000_NS6detail17trampoline_kernelINS0_14default_configENS1_25transform_config_selectorIiLb1EEEZNS1_14transform_implILb1ES3_S5_PiS7_NS0_8identityIiEEEE10hipError_tT2_T3_mT4_P12ihipStream_tbEUlT_E_NS1_11comp_targetILNS1_3genE4ELNS1_11target_archE910ELNS1_3gpuE8ELNS1_3repE0EEENS1_30default_config_static_selectorELNS0_4arch9wavefront6targetE0EEEvT1_,comdat
.Lfunc_end13:
	.size	_ZN7rocprim17ROCPRIM_400000_NS6detail17trampoline_kernelINS0_14default_configENS1_25transform_config_selectorIiLb1EEEZNS1_14transform_implILb1ES3_S5_PiS7_NS0_8identityIiEEEE10hipError_tT2_T3_mT4_P12ihipStream_tbEUlT_E_NS1_11comp_targetILNS1_3genE4ELNS1_11target_archE910ELNS1_3gpuE8ELNS1_3repE0EEENS1_30default_config_static_selectorELNS0_4arch9wavefront6targetE0EEEvT1_, .Lfunc_end13-_ZN7rocprim17ROCPRIM_400000_NS6detail17trampoline_kernelINS0_14default_configENS1_25transform_config_selectorIiLb1EEEZNS1_14transform_implILb1ES3_S5_PiS7_NS0_8identityIiEEEE10hipError_tT2_T3_mT4_P12ihipStream_tbEUlT_E_NS1_11comp_targetILNS1_3genE4ELNS1_11target_archE910ELNS1_3gpuE8ELNS1_3repE0EEENS1_30default_config_static_selectorELNS0_4arch9wavefront6targetE0EEEvT1_
                                        ; -- End function
	.set _ZN7rocprim17ROCPRIM_400000_NS6detail17trampoline_kernelINS0_14default_configENS1_25transform_config_selectorIiLb1EEEZNS1_14transform_implILb1ES3_S5_PiS7_NS0_8identityIiEEEE10hipError_tT2_T3_mT4_P12ihipStream_tbEUlT_E_NS1_11comp_targetILNS1_3genE4ELNS1_11target_archE910ELNS1_3gpuE8ELNS1_3repE0EEENS1_30default_config_static_selectorELNS0_4arch9wavefront6targetE0EEEvT1_.num_vgpr, 0
	.set _ZN7rocprim17ROCPRIM_400000_NS6detail17trampoline_kernelINS0_14default_configENS1_25transform_config_selectorIiLb1EEEZNS1_14transform_implILb1ES3_S5_PiS7_NS0_8identityIiEEEE10hipError_tT2_T3_mT4_P12ihipStream_tbEUlT_E_NS1_11comp_targetILNS1_3genE4ELNS1_11target_archE910ELNS1_3gpuE8ELNS1_3repE0EEENS1_30default_config_static_selectorELNS0_4arch9wavefront6targetE0EEEvT1_.num_agpr, 0
	.set _ZN7rocprim17ROCPRIM_400000_NS6detail17trampoline_kernelINS0_14default_configENS1_25transform_config_selectorIiLb1EEEZNS1_14transform_implILb1ES3_S5_PiS7_NS0_8identityIiEEEE10hipError_tT2_T3_mT4_P12ihipStream_tbEUlT_E_NS1_11comp_targetILNS1_3genE4ELNS1_11target_archE910ELNS1_3gpuE8ELNS1_3repE0EEENS1_30default_config_static_selectorELNS0_4arch9wavefront6targetE0EEEvT1_.numbered_sgpr, 0
	.set _ZN7rocprim17ROCPRIM_400000_NS6detail17trampoline_kernelINS0_14default_configENS1_25transform_config_selectorIiLb1EEEZNS1_14transform_implILb1ES3_S5_PiS7_NS0_8identityIiEEEE10hipError_tT2_T3_mT4_P12ihipStream_tbEUlT_E_NS1_11comp_targetILNS1_3genE4ELNS1_11target_archE910ELNS1_3gpuE8ELNS1_3repE0EEENS1_30default_config_static_selectorELNS0_4arch9wavefront6targetE0EEEvT1_.num_named_barrier, 0
	.set _ZN7rocprim17ROCPRIM_400000_NS6detail17trampoline_kernelINS0_14default_configENS1_25transform_config_selectorIiLb1EEEZNS1_14transform_implILb1ES3_S5_PiS7_NS0_8identityIiEEEE10hipError_tT2_T3_mT4_P12ihipStream_tbEUlT_E_NS1_11comp_targetILNS1_3genE4ELNS1_11target_archE910ELNS1_3gpuE8ELNS1_3repE0EEENS1_30default_config_static_selectorELNS0_4arch9wavefront6targetE0EEEvT1_.private_seg_size, 0
	.set _ZN7rocprim17ROCPRIM_400000_NS6detail17trampoline_kernelINS0_14default_configENS1_25transform_config_selectorIiLb1EEEZNS1_14transform_implILb1ES3_S5_PiS7_NS0_8identityIiEEEE10hipError_tT2_T3_mT4_P12ihipStream_tbEUlT_E_NS1_11comp_targetILNS1_3genE4ELNS1_11target_archE910ELNS1_3gpuE8ELNS1_3repE0EEENS1_30default_config_static_selectorELNS0_4arch9wavefront6targetE0EEEvT1_.uses_vcc, 0
	.set _ZN7rocprim17ROCPRIM_400000_NS6detail17trampoline_kernelINS0_14default_configENS1_25transform_config_selectorIiLb1EEEZNS1_14transform_implILb1ES3_S5_PiS7_NS0_8identityIiEEEE10hipError_tT2_T3_mT4_P12ihipStream_tbEUlT_E_NS1_11comp_targetILNS1_3genE4ELNS1_11target_archE910ELNS1_3gpuE8ELNS1_3repE0EEENS1_30default_config_static_selectorELNS0_4arch9wavefront6targetE0EEEvT1_.uses_flat_scratch, 0
	.set _ZN7rocprim17ROCPRIM_400000_NS6detail17trampoline_kernelINS0_14default_configENS1_25transform_config_selectorIiLb1EEEZNS1_14transform_implILb1ES3_S5_PiS7_NS0_8identityIiEEEE10hipError_tT2_T3_mT4_P12ihipStream_tbEUlT_E_NS1_11comp_targetILNS1_3genE4ELNS1_11target_archE910ELNS1_3gpuE8ELNS1_3repE0EEENS1_30default_config_static_selectorELNS0_4arch9wavefront6targetE0EEEvT1_.has_dyn_sized_stack, 0
	.set _ZN7rocprim17ROCPRIM_400000_NS6detail17trampoline_kernelINS0_14default_configENS1_25transform_config_selectorIiLb1EEEZNS1_14transform_implILb1ES3_S5_PiS7_NS0_8identityIiEEEE10hipError_tT2_T3_mT4_P12ihipStream_tbEUlT_E_NS1_11comp_targetILNS1_3genE4ELNS1_11target_archE910ELNS1_3gpuE8ELNS1_3repE0EEENS1_30default_config_static_selectorELNS0_4arch9wavefront6targetE0EEEvT1_.has_recursion, 0
	.set _ZN7rocprim17ROCPRIM_400000_NS6detail17trampoline_kernelINS0_14default_configENS1_25transform_config_selectorIiLb1EEEZNS1_14transform_implILb1ES3_S5_PiS7_NS0_8identityIiEEEE10hipError_tT2_T3_mT4_P12ihipStream_tbEUlT_E_NS1_11comp_targetILNS1_3genE4ELNS1_11target_archE910ELNS1_3gpuE8ELNS1_3repE0EEENS1_30default_config_static_selectorELNS0_4arch9wavefront6targetE0EEEvT1_.has_indirect_call, 0
	.section	.AMDGPU.csdata,"",@progbits
; Kernel info:
; codeLenInByte = 0
; TotalNumSgprs: 0
; NumVgprs: 0
; ScratchSize: 0
; MemoryBound: 0
; FloatMode: 240
; IeeeMode: 1
; LDSByteSize: 0 bytes/workgroup (compile time only)
; SGPRBlocks: 0
; VGPRBlocks: 0
; NumSGPRsForWavesPerEU: 1
; NumVGPRsForWavesPerEU: 1
; NamedBarCnt: 0
; Occupancy: 16
; WaveLimiterHint : 0
; COMPUTE_PGM_RSRC2:SCRATCH_EN: 0
; COMPUTE_PGM_RSRC2:USER_SGPR: 2
; COMPUTE_PGM_RSRC2:TRAP_HANDLER: 0
; COMPUTE_PGM_RSRC2:TGID_X_EN: 1
; COMPUTE_PGM_RSRC2:TGID_Y_EN: 0
; COMPUTE_PGM_RSRC2:TGID_Z_EN: 0
; COMPUTE_PGM_RSRC2:TIDIG_COMP_CNT: 0
	.section	.text._ZN7rocprim17ROCPRIM_400000_NS6detail17trampoline_kernelINS0_14default_configENS1_25transform_config_selectorIiLb1EEEZNS1_14transform_implILb1ES3_S5_PiS7_NS0_8identityIiEEEE10hipError_tT2_T3_mT4_P12ihipStream_tbEUlT_E_NS1_11comp_targetILNS1_3genE3ELNS1_11target_archE908ELNS1_3gpuE7ELNS1_3repE0EEENS1_30default_config_static_selectorELNS0_4arch9wavefront6targetE0EEEvT1_,"axG",@progbits,_ZN7rocprim17ROCPRIM_400000_NS6detail17trampoline_kernelINS0_14default_configENS1_25transform_config_selectorIiLb1EEEZNS1_14transform_implILb1ES3_S5_PiS7_NS0_8identityIiEEEE10hipError_tT2_T3_mT4_P12ihipStream_tbEUlT_E_NS1_11comp_targetILNS1_3genE3ELNS1_11target_archE908ELNS1_3gpuE7ELNS1_3repE0EEENS1_30default_config_static_selectorELNS0_4arch9wavefront6targetE0EEEvT1_,comdat
	.protected	_ZN7rocprim17ROCPRIM_400000_NS6detail17trampoline_kernelINS0_14default_configENS1_25transform_config_selectorIiLb1EEEZNS1_14transform_implILb1ES3_S5_PiS7_NS0_8identityIiEEEE10hipError_tT2_T3_mT4_P12ihipStream_tbEUlT_E_NS1_11comp_targetILNS1_3genE3ELNS1_11target_archE908ELNS1_3gpuE7ELNS1_3repE0EEENS1_30default_config_static_selectorELNS0_4arch9wavefront6targetE0EEEvT1_ ; -- Begin function _ZN7rocprim17ROCPRIM_400000_NS6detail17trampoline_kernelINS0_14default_configENS1_25transform_config_selectorIiLb1EEEZNS1_14transform_implILb1ES3_S5_PiS7_NS0_8identityIiEEEE10hipError_tT2_T3_mT4_P12ihipStream_tbEUlT_E_NS1_11comp_targetILNS1_3genE3ELNS1_11target_archE908ELNS1_3gpuE7ELNS1_3repE0EEENS1_30default_config_static_selectorELNS0_4arch9wavefront6targetE0EEEvT1_
	.globl	_ZN7rocprim17ROCPRIM_400000_NS6detail17trampoline_kernelINS0_14default_configENS1_25transform_config_selectorIiLb1EEEZNS1_14transform_implILb1ES3_S5_PiS7_NS0_8identityIiEEEE10hipError_tT2_T3_mT4_P12ihipStream_tbEUlT_E_NS1_11comp_targetILNS1_3genE3ELNS1_11target_archE908ELNS1_3gpuE7ELNS1_3repE0EEENS1_30default_config_static_selectorELNS0_4arch9wavefront6targetE0EEEvT1_
	.p2align	8
	.type	_ZN7rocprim17ROCPRIM_400000_NS6detail17trampoline_kernelINS0_14default_configENS1_25transform_config_selectorIiLb1EEEZNS1_14transform_implILb1ES3_S5_PiS7_NS0_8identityIiEEEE10hipError_tT2_T3_mT4_P12ihipStream_tbEUlT_E_NS1_11comp_targetILNS1_3genE3ELNS1_11target_archE908ELNS1_3gpuE7ELNS1_3repE0EEENS1_30default_config_static_selectorELNS0_4arch9wavefront6targetE0EEEvT1_,@function
_ZN7rocprim17ROCPRIM_400000_NS6detail17trampoline_kernelINS0_14default_configENS1_25transform_config_selectorIiLb1EEEZNS1_14transform_implILb1ES3_S5_PiS7_NS0_8identityIiEEEE10hipError_tT2_T3_mT4_P12ihipStream_tbEUlT_E_NS1_11comp_targetILNS1_3genE3ELNS1_11target_archE908ELNS1_3gpuE7ELNS1_3repE0EEENS1_30default_config_static_selectorELNS0_4arch9wavefront6targetE0EEEvT1_: ; @_ZN7rocprim17ROCPRIM_400000_NS6detail17trampoline_kernelINS0_14default_configENS1_25transform_config_selectorIiLb1EEEZNS1_14transform_implILb1ES3_S5_PiS7_NS0_8identityIiEEEE10hipError_tT2_T3_mT4_P12ihipStream_tbEUlT_E_NS1_11comp_targetILNS1_3genE3ELNS1_11target_archE908ELNS1_3gpuE7ELNS1_3repE0EEENS1_30default_config_static_selectorELNS0_4arch9wavefront6targetE0EEEvT1_
; %bb.0:
	.section	.rodata,"a",@progbits
	.p2align	6, 0x0
	.amdhsa_kernel _ZN7rocprim17ROCPRIM_400000_NS6detail17trampoline_kernelINS0_14default_configENS1_25transform_config_selectorIiLb1EEEZNS1_14transform_implILb1ES3_S5_PiS7_NS0_8identityIiEEEE10hipError_tT2_T3_mT4_P12ihipStream_tbEUlT_E_NS1_11comp_targetILNS1_3genE3ELNS1_11target_archE908ELNS1_3gpuE7ELNS1_3repE0EEENS1_30default_config_static_selectorELNS0_4arch9wavefront6targetE0EEEvT1_
		.amdhsa_group_segment_fixed_size 0
		.amdhsa_private_segment_fixed_size 0
		.amdhsa_kernarg_size 40
		.amdhsa_user_sgpr_count 2
		.amdhsa_user_sgpr_dispatch_ptr 0
		.amdhsa_user_sgpr_queue_ptr 0
		.amdhsa_user_sgpr_kernarg_segment_ptr 1
		.amdhsa_user_sgpr_dispatch_id 0
		.amdhsa_user_sgpr_kernarg_preload_length 0
		.amdhsa_user_sgpr_kernarg_preload_offset 0
		.amdhsa_user_sgpr_private_segment_size 0
		.amdhsa_wavefront_size32 1
		.amdhsa_uses_dynamic_stack 0
		.amdhsa_enable_private_segment 0
		.amdhsa_system_sgpr_workgroup_id_x 1
		.amdhsa_system_sgpr_workgroup_id_y 0
		.amdhsa_system_sgpr_workgroup_id_z 0
		.amdhsa_system_sgpr_workgroup_info 0
		.amdhsa_system_vgpr_workitem_id 0
		.amdhsa_next_free_vgpr 1
		.amdhsa_next_free_sgpr 1
		.amdhsa_named_barrier_count 0
		.amdhsa_reserve_vcc 0
		.amdhsa_float_round_mode_32 0
		.amdhsa_float_round_mode_16_64 0
		.amdhsa_float_denorm_mode_32 3
		.amdhsa_float_denorm_mode_16_64 3
		.amdhsa_fp16_overflow 0
		.amdhsa_memory_ordered 1
		.amdhsa_forward_progress 1
		.amdhsa_inst_pref_size 0
		.amdhsa_round_robin_scheduling 0
		.amdhsa_exception_fp_ieee_invalid_op 0
		.amdhsa_exception_fp_denorm_src 0
		.amdhsa_exception_fp_ieee_div_zero 0
		.amdhsa_exception_fp_ieee_overflow 0
		.amdhsa_exception_fp_ieee_underflow 0
		.amdhsa_exception_fp_ieee_inexact 0
		.amdhsa_exception_int_div_zero 0
	.end_amdhsa_kernel
	.section	.text._ZN7rocprim17ROCPRIM_400000_NS6detail17trampoline_kernelINS0_14default_configENS1_25transform_config_selectorIiLb1EEEZNS1_14transform_implILb1ES3_S5_PiS7_NS0_8identityIiEEEE10hipError_tT2_T3_mT4_P12ihipStream_tbEUlT_E_NS1_11comp_targetILNS1_3genE3ELNS1_11target_archE908ELNS1_3gpuE7ELNS1_3repE0EEENS1_30default_config_static_selectorELNS0_4arch9wavefront6targetE0EEEvT1_,"axG",@progbits,_ZN7rocprim17ROCPRIM_400000_NS6detail17trampoline_kernelINS0_14default_configENS1_25transform_config_selectorIiLb1EEEZNS1_14transform_implILb1ES3_S5_PiS7_NS0_8identityIiEEEE10hipError_tT2_T3_mT4_P12ihipStream_tbEUlT_E_NS1_11comp_targetILNS1_3genE3ELNS1_11target_archE908ELNS1_3gpuE7ELNS1_3repE0EEENS1_30default_config_static_selectorELNS0_4arch9wavefront6targetE0EEEvT1_,comdat
.Lfunc_end14:
	.size	_ZN7rocprim17ROCPRIM_400000_NS6detail17trampoline_kernelINS0_14default_configENS1_25transform_config_selectorIiLb1EEEZNS1_14transform_implILb1ES3_S5_PiS7_NS0_8identityIiEEEE10hipError_tT2_T3_mT4_P12ihipStream_tbEUlT_E_NS1_11comp_targetILNS1_3genE3ELNS1_11target_archE908ELNS1_3gpuE7ELNS1_3repE0EEENS1_30default_config_static_selectorELNS0_4arch9wavefront6targetE0EEEvT1_, .Lfunc_end14-_ZN7rocprim17ROCPRIM_400000_NS6detail17trampoline_kernelINS0_14default_configENS1_25transform_config_selectorIiLb1EEEZNS1_14transform_implILb1ES3_S5_PiS7_NS0_8identityIiEEEE10hipError_tT2_T3_mT4_P12ihipStream_tbEUlT_E_NS1_11comp_targetILNS1_3genE3ELNS1_11target_archE908ELNS1_3gpuE7ELNS1_3repE0EEENS1_30default_config_static_selectorELNS0_4arch9wavefront6targetE0EEEvT1_
                                        ; -- End function
	.set _ZN7rocprim17ROCPRIM_400000_NS6detail17trampoline_kernelINS0_14default_configENS1_25transform_config_selectorIiLb1EEEZNS1_14transform_implILb1ES3_S5_PiS7_NS0_8identityIiEEEE10hipError_tT2_T3_mT4_P12ihipStream_tbEUlT_E_NS1_11comp_targetILNS1_3genE3ELNS1_11target_archE908ELNS1_3gpuE7ELNS1_3repE0EEENS1_30default_config_static_selectorELNS0_4arch9wavefront6targetE0EEEvT1_.num_vgpr, 0
	.set _ZN7rocprim17ROCPRIM_400000_NS6detail17trampoline_kernelINS0_14default_configENS1_25transform_config_selectorIiLb1EEEZNS1_14transform_implILb1ES3_S5_PiS7_NS0_8identityIiEEEE10hipError_tT2_T3_mT4_P12ihipStream_tbEUlT_E_NS1_11comp_targetILNS1_3genE3ELNS1_11target_archE908ELNS1_3gpuE7ELNS1_3repE0EEENS1_30default_config_static_selectorELNS0_4arch9wavefront6targetE0EEEvT1_.num_agpr, 0
	.set _ZN7rocprim17ROCPRIM_400000_NS6detail17trampoline_kernelINS0_14default_configENS1_25transform_config_selectorIiLb1EEEZNS1_14transform_implILb1ES3_S5_PiS7_NS0_8identityIiEEEE10hipError_tT2_T3_mT4_P12ihipStream_tbEUlT_E_NS1_11comp_targetILNS1_3genE3ELNS1_11target_archE908ELNS1_3gpuE7ELNS1_3repE0EEENS1_30default_config_static_selectorELNS0_4arch9wavefront6targetE0EEEvT1_.numbered_sgpr, 0
	.set _ZN7rocprim17ROCPRIM_400000_NS6detail17trampoline_kernelINS0_14default_configENS1_25transform_config_selectorIiLb1EEEZNS1_14transform_implILb1ES3_S5_PiS7_NS0_8identityIiEEEE10hipError_tT2_T3_mT4_P12ihipStream_tbEUlT_E_NS1_11comp_targetILNS1_3genE3ELNS1_11target_archE908ELNS1_3gpuE7ELNS1_3repE0EEENS1_30default_config_static_selectorELNS0_4arch9wavefront6targetE0EEEvT1_.num_named_barrier, 0
	.set _ZN7rocprim17ROCPRIM_400000_NS6detail17trampoline_kernelINS0_14default_configENS1_25transform_config_selectorIiLb1EEEZNS1_14transform_implILb1ES3_S5_PiS7_NS0_8identityIiEEEE10hipError_tT2_T3_mT4_P12ihipStream_tbEUlT_E_NS1_11comp_targetILNS1_3genE3ELNS1_11target_archE908ELNS1_3gpuE7ELNS1_3repE0EEENS1_30default_config_static_selectorELNS0_4arch9wavefront6targetE0EEEvT1_.private_seg_size, 0
	.set _ZN7rocprim17ROCPRIM_400000_NS6detail17trampoline_kernelINS0_14default_configENS1_25transform_config_selectorIiLb1EEEZNS1_14transform_implILb1ES3_S5_PiS7_NS0_8identityIiEEEE10hipError_tT2_T3_mT4_P12ihipStream_tbEUlT_E_NS1_11comp_targetILNS1_3genE3ELNS1_11target_archE908ELNS1_3gpuE7ELNS1_3repE0EEENS1_30default_config_static_selectorELNS0_4arch9wavefront6targetE0EEEvT1_.uses_vcc, 0
	.set _ZN7rocprim17ROCPRIM_400000_NS6detail17trampoline_kernelINS0_14default_configENS1_25transform_config_selectorIiLb1EEEZNS1_14transform_implILb1ES3_S5_PiS7_NS0_8identityIiEEEE10hipError_tT2_T3_mT4_P12ihipStream_tbEUlT_E_NS1_11comp_targetILNS1_3genE3ELNS1_11target_archE908ELNS1_3gpuE7ELNS1_3repE0EEENS1_30default_config_static_selectorELNS0_4arch9wavefront6targetE0EEEvT1_.uses_flat_scratch, 0
	.set _ZN7rocprim17ROCPRIM_400000_NS6detail17trampoline_kernelINS0_14default_configENS1_25transform_config_selectorIiLb1EEEZNS1_14transform_implILb1ES3_S5_PiS7_NS0_8identityIiEEEE10hipError_tT2_T3_mT4_P12ihipStream_tbEUlT_E_NS1_11comp_targetILNS1_3genE3ELNS1_11target_archE908ELNS1_3gpuE7ELNS1_3repE0EEENS1_30default_config_static_selectorELNS0_4arch9wavefront6targetE0EEEvT1_.has_dyn_sized_stack, 0
	.set _ZN7rocprim17ROCPRIM_400000_NS6detail17trampoline_kernelINS0_14default_configENS1_25transform_config_selectorIiLb1EEEZNS1_14transform_implILb1ES3_S5_PiS7_NS0_8identityIiEEEE10hipError_tT2_T3_mT4_P12ihipStream_tbEUlT_E_NS1_11comp_targetILNS1_3genE3ELNS1_11target_archE908ELNS1_3gpuE7ELNS1_3repE0EEENS1_30default_config_static_selectorELNS0_4arch9wavefront6targetE0EEEvT1_.has_recursion, 0
	.set _ZN7rocprim17ROCPRIM_400000_NS6detail17trampoline_kernelINS0_14default_configENS1_25transform_config_selectorIiLb1EEEZNS1_14transform_implILb1ES3_S5_PiS7_NS0_8identityIiEEEE10hipError_tT2_T3_mT4_P12ihipStream_tbEUlT_E_NS1_11comp_targetILNS1_3genE3ELNS1_11target_archE908ELNS1_3gpuE7ELNS1_3repE0EEENS1_30default_config_static_selectorELNS0_4arch9wavefront6targetE0EEEvT1_.has_indirect_call, 0
	.section	.AMDGPU.csdata,"",@progbits
; Kernel info:
; codeLenInByte = 0
; TotalNumSgprs: 0
; NumVgprs: 0
; ScratchSize: 0
; MemoryBound: 0
; FloatMode: 240
; IeeeMode: 1
; LDSByteSize: 0 bytes/workgroup (compile time only)
; SGPRBlocks: 0
; VGPRBlocks: 0
; NumSGPRsForWavesPerEU: 1
; NumVGPRsForWavesPerEU: 1
; NamedBarCnt: 0
; Occupancy: 16
; WaveLimiterHint : 0
; COMPUTE_PGM_RSRC2:SCRATCH_EN: 0
; COMPUTE_PGM_RSRC2:USER_SGPR: 2
; COMPUTE_PGM_RSRC2:TRAP_HANDLER: 0
; COMPUTE_PGM_RSRC2:TGID_X_EN: 1
; COMPUTE_PGM_RSRC2:TGID_Y_EN: 0
; COMPUTE_PGM_RSRC2:TGID_Z_EN: 0
; COMPUTE_PGM_RSRC2:TIDIG_COMP_CNT: 0
	.section	.text._ZN7rocprim17ROCPRIM_400000_NS6detail17trampoline_kernelINS0_14default_configENS1_25transform_config_selectorIiLb1EEEZNS1_14transform_implILb1ES3_S5_PiS7_NS0_8identityIiEEEE10hipError_tT2_T3_mT4_P12ihipStream_tbEUlT_E_NS1_11comp_targetILNS1_3genE2ELNS1_11target_archE906ELNS1_3gpuE6ELNS1_3repE0EEENS1_30default_config_static_selectorELNS0_4arch9wavefront6targetE0EEEvT1_,"axG",@progbits,_ZN7rocprim17ROCPRIM_400000_NS6detail17trampoline_kernelINS0_14default_configENS1_25transform_config_selectorIiLb1EEEZNS1_14transform_implILb1ES3_S5_PiS7_NS0_8identityIiEEEE10hipError_tT2_T3_mT4_P12ihipStream_tbEUlT_E_NS1_11comp_targetILNS1_3genE2ELNS1_11target_archE906ELNS1_3gpuE6ELNS1_3repE0EEENS1_30default_config_static_selectorELNS0_4arch9wavefront6targetE0EEEvT1_,comdat
	.protected	_ZN7rocprim17ROCPRIM_400000_NS6detail17trampoline_kernelINS0_14default_configENS1_25transform_config_selectorIiLb1EEEZNS1_14transform_implILb1ES3_S5_PiS7_NS0_8identityIiEEEE10hipError_tT2_T3_mT4_P12ihipStream_tbEUlT_E_NS1_11comp_targetILNS1_3genE2ELNS1_11target_archE906ELNS1_3gpuE6ELNS1_3repE0EEENS1_30default_config_static_selectorELNS0_4arch9wavefront6targetE0EEEvT1_ ; -- Begin function _ZN7rocprim17ROCPRIM_400000_NS6detail17trampoline_kernelINS0_14default_configENS1_25transform_config_selectorIiLb1EEEZNS1_14transform_implILb1ES3_S5_PiS7_NS0_8identityIiEEEE10hipError_tT2_T3_mT4_P12ihipStream_tbEUlT_E_NS1_11comp_targetILNS1_3genE2ELNS1_11target_archE906ELNS1_3gpuE6ELNS1_3repE0EEENS1_30default_config_static_selectorELNS0_4arch9wavefront6targetE0EEEvT1_
	.globl	_ZN7rocprim17ROCPRIM_400000_NS6detail17trampoline_kernelINS0_14default_configENS1_25transform_config_selectorIiLb1EEEZNS1_14transform_implILb1ES3_S5_PiS7_NS0_8identityIiEEEE10hipError_tT2_T3_mT4_P12ihipStream_tbEUlT_E_NS1_11comp_targetILNS1_3genE2ELNS1_11target_archE906ELNS1_3gpuE6ELNS1_3repE0EEENS1_30default_config_static_selectorELNS0_4arch9wavefront6targetE0EEEvT1_
	.p2align	8
	.type	_ZN7rocprim17ROCPRIM_400000_NS6detail17trampoline_kernelINS0_14default_configENS1_25transform_config_selectorIiLb1EEEZNS1_14transform_implILb1ES3_S5_PiS7_NS0_8identityIiEEEE10hipError_tT2_T3_mT4_P12ihipStream_tbEUlT_E_NS1_11comp_targetILNS1_3genE2ELNS1_11target_archE906ELNS1_3gpuE6ELNS1_3repE0EEENS1_30default_config_static_selectorELNS0_4arch9wavefront6targetE0EEEvT1_,@function
_ZN7rocprim17ROCPRIM_400000_NS6detail17trampoline_kernelINS0_14default_configENS1_25transform_config_selectorIiLb1EEEZNS1_14transform_implILb1ES3_S5_PiS7_NS0_8identityIiEEEE10hipError_tT2_T3_mT4_P12ihipStream_tbEUlT_E_NS1_11comp_targetILNS1_3genE2ELNS1_11target_archE906ELNS1_3gpuE6ELNS1_3repE0EEENS1_30default_config_static_selectorELNS0_4arch9wavefront6targetE0EEEvT1_: ; @_ZN7rocprim17ROCPRIM_400000_NS6detail17trampoline_kernelINS0_14default_configENS1_25transform_config_selectorIiLb1EEEZNS1_14transform_implILb1ES3_S5_PiS7_NS0_8identityIiEEEE10hipError_tT2_T3_mT4_P12ihipStream_tbEUlT_E_NS1_11comp_targetILNS1_3genE2ELNS1_11target_archE906ELNS1_3gpuE6ELNS1_3repE0EEENS1_30default_config_static_selectorELNS0_4arch9wavefront6targetE0EEEvT1_
; %bb.0:
	.section	.rodata,"a",@progbits
	.p2align	6, 0x0
	.amdhsa_kernel _ZN7rocprim17ROCPRIM_400000_NS6detail17trampoline_kernelINS0_14default_configENS1_25transform_config_selectorIiLb1EEEZNS1_14transform_implILb1ES3_S5_PiS7_NS0_8identityIiEEEE10hipError_tT2_T3_mT4_P12ihipStream_tbEUlT_E_NS1_11comp_targetILNS1_3genE2ELNS1_11target_archE906ELNS1_3gpuE6ELNS1_3repE0EEENS1_30default_config_static_selectorELNS0_4arch9wavefront6targetE0EEEvT1_
		.amdhsa_group_segment_fixed_size 0
		.amdhsa_private_segment_fixed_size 0
		.amdhsa_kernarg_size 40
		.amdhsa_user_sgpr_count 2
		.amdhsa_user_sgpr_dispatch_ptr 0
		.amdhsa_user_sgpr_queue_ptr 0
		.amdhsa_user_sgpr_kernarg_segment_ptr 1
		.amdhsa_user_sgpr_dispatch_id 0
		.amdhsa_user_sgpr_kernarg_preload_length 0
		.amdhsa_user_sgpr_kernarg_preload_offset 0
		.amdhsa_user_sgpr_private_segment_size 0
		.amdhsa_wavefront_size32 1
		.amdhsa_uses_dynamic_stack 0
		.amdhsa_enable_private_segment 0
		.amdhsa_system_sgpr_workgroup_id_x 1
		.amdhsa_system_sgpr_workgroup_id_y 0
		.amdhsa_system_sgpr_workgroup_id_z 0
		.amdhsa_system_sgpr_workgroup_info 0
		.amdhsa_system_vgpr_workitem_id 0
		.amdhsa_next_free_vgpr 1
		.amdhsa_next_free_sgpr 1
		.amdhsa_named_barrier_count 0
		.amdhsa_reserve_vcc 0
		.amdhsa_float_round_mode_32 0
		.amdhsa_float_round_mode_16_64 0
		.amdhsa_float_denorm_mode_32 3
		.amdhsa_float_denorm_mode_16_64 3
		.amdhsa_fp16_overflow 0
		.amdhsa_memory_ordered 1
		.amdhsa_forward_progress 1
		.amdhsa_inst_pref_size 0
		.amdhsa_round_robin_scheduling 0
		.amdhsa_exception_fp_ieee_invalid_op 0
		.amdhsa_exception_fp_denorm_src 0
		.amdhsa_exception_fp_ieee_div_zero 0
		.amdhsa_exception_fp_ieee_overflow 0
		.amdhsa_exception_fp_ieee_underflow 0
		.amdhsa_exception_fp_ieee_inexact 0
		.amdhsa_exception_int_div_zero 0
	.end_amdhsa_kernel
	.section	.text._ZN7rocprim17ROCPRIM_400000_NS6detail17trampoline_kernelINS0_14default_configENS1_25transform_config_selectorIiLb1EEEZNS1_14transform_implILb1ES3_S5_PiS7_NS0_8identityIiEEEE10hipError_tT2_T3_mT4_P12ihipStream_tbEUlT_E_NS1_11comp_targetILNS1_3genE2ELNS1_11target_archE906ELNS1_3gpuE6ELNS1_3repE0EEENS1_30default_config_static_selectorELNS0_4arch9wavefront6targetE0EEEvT1_,"axG",@progbits,_ZN7rocprim17ROCPRIM_400000_NS6detail17trampoline_kernelINS0_14default_configENS1_25transform_config_selectorIiLb1EEEZNS1_14transform_implILb1ES3_S5_PiS7_NS0_8identityIiEEEE10hipError_tT2_T3_mT4_P12ihipStream_tbEUlT_E_NS1_11comp_targetILNS1_3genE2ELNS1_11target_archE906ELNS1_3gpuE6ELNS1_3repE0EEENS1_30default_config_static_selectorELNS0_4arch9wavefront6targetE0EEEvT1_,comdat
.Lfunc_end15:
	.size	_ZN7rocprim17ROCPRIM_400000_NS6detail17trampoline_kernelINS0_14default_configENS1_25transform_config_selectorIiLb1EEEZNS1_14transform_implILb1ES3_S5_PiS7_NS0_8identityIiEEEE10hipError_tT2_T3_mT4_P12ihipStream_tbEUlT_E_NS1_11comp_targetILNS1_3genE2ELNS1_11target_archE906ELNS1_3gpuE6ELNS1_3repE0EEENS1_30default_config_static_selectorELNS0_4arch9wavefront6targetE0EEEvT1_, .Lfunc_end15-_ZN7rocprim17ROCPRIM_400000_NS6detail17trampoline_kernelINS0_14default_configENS1_25transform_config_selectorIiLb1EEEZNS1_14transform_implILb1ES3_S5_PiS7_NS0_8identityIiEEEE10hipError_tT2_T3_mT4_P12ihipStream_tbEUlT_E_NS1_11comp_targetILNS1_3genE2ELNS1_11target_archE906ELNS1_3gpuE6ELNS1_3repE0EEENS1_30default_config_static_selectorELNS0_4arch9wavefront6targetE0EEEvT1_
                                        ; -- End function
	.set _ZN7rocprim17ROCPRIM_400000_NS6detail17trampoline_kernelINS0_14default_configENS1_25transform_config_selectorIiLb1EEEZNS1_14transform_implILb1ES3_S5_PiS7_NS0_8identityIiEEEE10hipError_tT2_T3_mT4_P12ihipStream_tbEUlT_E_NS1_11comp_targetILNS1_3genE2ELNS1_11target_archE906ELNS1_3gpuE6ELNS1_3repE0EEENS1_30default_config_static_selectorELNS0_4arch9wavefront6targetE0EEEvT1_.num_vgpr, 0
	.set _ZN7rocprim17ROCPRIM_400000_NS6detail17trampoline_kernelINS0_14default_configENS1_25transform_config_selectorIiLb1EEEZNS1_14transform_implILb1ES3_S5_PiS7_NS0_8identityIiEEEE10hipError_tT2_T3_mT4_P12ihipStream_tbEUlT_E_NS1_11comp_targetILNS1_3genE2ELNS1_11target_archE906ELNS1_3gpuE6ELNS1_3repE0EEENS1_30default_config_static_selectorELNS0_4arch9wavefront6targetE0EEEvT1_.num_agpr, 0
	.set _ZN7rocprim17ROCPRIM_400000_NS6detail17trampoline_kernelINS0_14default_configENS1_25transform_config_selectorIiLb1EEEZNS1_14transform_implILb1ES3_S5_PiS7_NS0_8identityIiEEEE10hipError_tT2_T3_mT4_P12ihipStream_tbEUlT_E_NS1_11comp_targetILNS1_3genE2ELNS1_11target_archE906ELNS1_3gpuE6ELNS1_3repE0EEENS1_30default_config_static_selectorELNS0_4arch9wavefront6targetE0EEEvT1_.numbered_sgpr, 0
	.set _ZN7rocprim17ROCPRIM_400000_NS6detail17trampoline_kernelINS0_14default_configENS1_25transform_config_selectorIiLb1EEEZNS1_14transform_implILb1ES3_S5_PiS7_NS0_8identityIiEEEE10hipError_tT2_T3_mT4_P12ihipStream_tbEUlT_E_NS1_11comp_targetILNS1_3genE2ELNS1_11target_archE906ELNS1_3gpuE6ELNS1_3repE0EEENS1_30default_config_static_selectorELNS0_4arch9wavefront6targetE0EEEvT1_.num_named_barrier, 0
	.set _ZN7rocprim17ROCPRIM_400000_NS6detail17trampoline_kernelINS0_14default_configENS1_25transform_config_selectorIiLb1EEEZNS1_14transform_implILb1ES3_S5_PiS7_NS0_8identityIiEEEE10hipError_tT2_T3_mT4_P12ihipStream_tbEUlT_E_NS1_11comp_targetILNS1_3genE2ELNS1_11target_archE906ELNS1_3gpuE6ELNS1_3repE0EEENS1_30default_config_static_selectorELNS0_4arch9wavefront6targetE0EEEvT1_.private_seg_size, 0
	.set _ZN7rocprim17ROCPRIM_400000_NS6detail17trampoline_kernelINS0_14default_configENS1_25transform_config_selectorIiLb1EEEZNS1_14transform_implILb1ES3_S5_PiS7_NS0_8identityIiEEEE10hipError_tT2_T3_mT4_P12ihipStream_tbEUlT_E_NS1_11comp_targetILNS1_3genE2ELNS1_11target_archE906ELNS1_3gpuE6ELNS1_3repE0EEENS1_30default_config_static_selectorELNS0_4arch9wavefront6targetE0EEEvT1_.uses_vcc, 0
	.set _ZN7rocprim17ROCPRIM_400000_NS6detail17trampoline_kernelINS0_14default_configENS1_25transform_config_selectorIiLb1EEEZNS1_14transform_implILb1ES3_S5_PiS7_NS0_8identityIiEEEE10hipError_tT2_T3_mT4_P12ihipStream_tbEUlT_E_NS1_11comp_targetILNS1_3genE2ELNS1_11target_archE906ELNS1_3gpuE6ELNS1_3repE0EEENS1_30default_config_static_selectorELNS0_4arch9wavefront6targetE0EEEvT1_.uses_flat_scratch, 0
	.set _ZN7rocprim17ROCPRIM_400000_NS6detail17trampoline_kernelINS0_14default_configENS1_25transform_config_selectorIiLb1EEEZNS1_14transform_implILb1ES3_S5_PiS7_NS0_8identityIiEEEE10hipError_tT2_T3_mT4_P12ihipStream_tbEUlT_E_NS1_11comp_targetILNS1_3genE2ELNS1_11target_archE906ELNS1_3gpuE6ELNS1_3repE0EEENS1_30default_config_static_selectorELNS0_4arch9wavefront6targetE0EEEvT1_.has_dyn_sized_stack, 0
	.set _ZN7rocprim17ROCPRIM_400000_NS6detail17trampoline_kernelINS0_14default_configENS1_25transform_config_selectorIiLb1EEEZNS1_14transform_implILb1ES3_S5_PiS7_NS0_8identityIiEEEE10hipError_tT2_T3_mT4_P12ihipStream_tbEUlT_E_NS1_11comp_targetILNS1_3genE2ELNS1_11target_archE906ELNS1_3gpuE6ELNS1_3repE0EEENS1_30default_config_static_selectorELNS0_4arch9wavefront6targetE0EEEvT1_.has_recursion, 0
	.set _ZN7rocprim17ROCPRIM_400000_NS6detail17trampoline_kernelINS0_14default_configENS1_25transform_config_selectorIiLb1EEEZNS1_14transform_implILb1ES3_S5_PiS7_NS0_8identityIiEEEE10hipError_tT2_T3_mT4_P12ihipStream_tbEUlT_E_NS1_11comp_targetILNS1_3genE2ELNS1_11target_archE906ELNS1_3gpuE6ELNS1_3repE0EEENS1_30default_config_static_selectorELNS0_4arch9wavefront6targetE0EEEvT1_.has_indirect_call, 0
	.section	.AMDGPU.csdata,"",@progbits
; Kernel info:
; codeLenInByte = 0
; TotalNumSgprs: 0
; NumVgprs: 0
; ScratchSize: 0
; MemoryBound: 0
; FloatMode: 240
; IeeeMode: 1
; LDSByteSize: 0 bytes/workgroup (compile time only)
; SGPRBlocks: 0
; VGPRBlocks: 0
; NumSGPRsForWavesPerEU: 1
; NumVGPRsForWavesPerEU: 1
; NamedBarCnt: 0
; Occupancy: 16
; WaveLimiterHint : 0
; COMPUTE_PGM_RSRC2:SCRATCH_EN: 0
; COMPUTE_PGM_RSRC2:USER_SGPR: 2
; COMPUTE_PGM_RSRC2:TRAP_HANDLER: 0
; COMPUTE_PGM_RSRC2:TGID_X_EN: 1
; COMPUTE_PGM_RSRC2:TGID_Y_EN: 0
; COMPUTE_PGM_RSRC2:TGID_Z_EN: 0
; COMPUTE_PGM_RSRC2:TIDIG_COMP_CNT: 0
	.section	.text._ZN7rocprim17ROCPRIM_400000_NS6detail17trampoline_kernelINS0_14default_configENS1_25transform_config_selectorIiLb1EEEZNS1_14transform_implILb1ES3_S5_PiS7_NS0_8identityIiEEEE10hipError_tT2_T3_mT4_P12ihipStream_tbEUlT_E_NS1_11comp_targetILNS1_3genE9ELNS1_11target_archE1100ELNS1_3gpuE3ELNS1_3repE0EEENS1_30default_config_static_selectorELNS0_4arch9wavefront6targetE0EEEvT1_,"axG",@progbits,_ZN7rocprim17ROCPRIM_400000_NS6detail17trampoline_kernelINS0_14default_configENS1_25transform_config_selectorIiLb1EEEZNS1_14transform_implILb1ES3_S5_PiS7_NS0_8identityIiEEEE10hipError_tT2_T3_mT4_P12ihipStream_tbEUlT_E_NS1_11comp_targetILNS1_3genE9ELNS1_11target_archE1100ELNS1_3gpuE3ELNS1_3repE0EEENS1_30default_config_static_selectorELNS0_4arch9wavefront6targetE0EEEvT1_,comdat
	.protected	_ZN7rocprim17ROCPRIM_400000_NS6detail17trampoline_kernelINS0_14default_configENS1_25transform_config_selectorIiLb1EEEZNS1_14transform_implILb1ES3_S5_PiS7_NS0_8identityIiEEEE10hipError_tT2_T3_mT4_P12ihipStream_tbEUlT_E_NS1_11comp_targetILNS1_3genE9ELNS1_11target_archE1100ELNS1_3gpuE3ELNS1_3repE0EEENS1_30default_config_static_selectorELNS0_4arch9wavefront6targetE0EEEvT1_ ; -- Begin function _ZN7rocprim17ROCPRIM_400000_NS6detail17trampoline_kernelINS0_14default_configENS1_25transform_config_selectorIiLb1EEEZNS1_14transform_implILb1ES3_S5_PiS7_NS0_8identityIiEEEE10hipError_tT2_T3_mT4_P12ihipStream_tbEUlT_E_NS1_11comp_targetILNS1_3genE9ELNS1_11target_archE1100ELNS1_3gpuE3ELNS1_3repE0EEENS1_30default_config_static_selectorELNS0_4arch9wavefront6targetE0EEEvT1_
	.globl	_ZN7rocprim17ROCPRIM_400000_NS6detail17trampoline_kernelINS0_14default_configENS1_25transform_config_selectorIiLb1EEEZNS1_14transform_implILb1ES3_S5_PiS7_NS0_8identityIiEEEE10hipError_tT2_T3_mT4_P12ihipStream_tbEUlT_E_NS1_11comp_targetILNS1_3genE9ELNS1_11target_archE1100ELNS1_3gpuE3ELNS1_3repE0EEENS1_30default_config_static_selectorELNS0_4arch9wavefront6targetE0EEEvT1_
	.p2align	8
	.type	_ZN7rocprim17ROCPRIM_400000_NS6detail17trampoline_kernelINS0_14default_configENS1_25transform_config_selectorIiLb1EEEZNS1_14transform_implILb1ES3_S5_PiS7_NS0_8identityIiEEEE10hipError_tT2_T3_mT4_P12ihipStream_tbEUlT_E_NS1_11comp_targetILNS1_3genE9ELNS1_11target_archE1100ELNS1_3gpuE3ELNS1_3repE0EEENS1_30default_config_static_selectorELNS0_4arch9wavefront6targetE0EEEvT1_,@function
_ZN7rocprim17ROCPRIM_400000_NS6detail17trampoline_kernelINS0_14default_configENS1_25transform_config_selectorIiLb1EEEZNS1_14transform_implILb1ES3_S5_PiS7_NS0_8identityIiEEEE10hipError_tT2_T3_mT4_P12ihipStream_tbEUlT_E_NS1_11comp_targetILNS1_3genE9ELNS1_11target_archE1100ELNS1_3gpuE3ELNS1_3repE0EEENS1_30default_config_static_selectorELNS0_4arch9wavefront6targetE0EEEvT1_: ; @_ZN7rocprim17ROCPRIM_400000_NS6detail17trampoline_kernelINS0_14default_configENS1_25transform_config_selectorIiLb1EEEZNS1_14transform_implILb1ES3_S5_PiS7_NS0_8identityIiEEEE10hipError_tT2_T3_mT4_P12ihipStream_tbEUlT_E_NS1_11comp_targetILNS1_3genE9ELNS1_11target_archE1100ELNS1_3gpuE3ELNS1_3repE0EEENS1_30default_config_static_selectorELNS0_4arch9wavefront6targetE0EEEvT1_
; %bb.0:
	.section	.rodata,"a",@progbits
	.p2align	6, 0x0
	.amdhsa_kernel _ZN7rocprim17ROCPRIM_400000_NS6detail17trampoline_kernelINS0_14default_configENS1_25transform_config_selectorIiLb1EEEZNS1_14transform_implILb1ES3_S5_PiS7_NS0_8identityIiEEEE10hipError_tT2_T3_mT4_P12ihipStream_tbEUlT_E_NS1_11comp_targetILNS1_3genE9ELNS1_11target_archE1100ELNS1_3gpuE3ELNS1_3repE0EEENS1_30default_config_static_selectorELNS0_4arch9wavefront6targetE0EEEvT1_
		.amdhsa_group_segment_fixed_size 0
		.amdhsa_private_segment_fixed_size 0
		.amdhsa_kernarg_size 40
		.amdhsa_user_sgpr_count 2
		.amdhsa_user_sgpr_dispatch_ptr 0
		.amdhsa_user_sgpr_queue_ptr 0
		.amdhsa_user_sgpr_kernarg_segment_ptr 1
		.amdhsa_user_sgpr_dispatch_id 0
		.amdhsa_user_sgpr_kernarg_preload_length 0
		.amdhsa_user_sgpr_kernarg_preload_offset 0
		.amdhsa_user_sgpr_private_segment_size 0
		.amdhsa_wavefront_size32 1
		.amdhsa_uses_dynamic_stack 0
		.amdhsa_enable_private_segment 0
		.amdhsa_system_sgpr_workgroup_id_x 1
		.amdhsa_system_sgpr_workgroup_id_y 0
		.amdhsa_system_sgpr_workgroup_id_z 0
		.amdhsa_system_sgpr_workgroup_info 0
		.amdhsa_system_vgpr_workitem_id 0
		.amdhsa_next_free_vgpr 1
		.amdhsa_next_free_sgpr 1
		.amdhsa_named_barrier_count 0
		.amdhsa_reserve_vcc 0
		.amdhsa_float_round_mode_32 0
		.amdhsa_float_round_mode_16_64 0
		.amdhsa_float_denorm_mode_32 3
		.amdhsa_float_denorm_mode_16_64 3
		.amdhsa_fp16_overflow 0
		.amdhsa_memory_ordered 1
		.amdhsa_forward_progress 1
		.amdhsa_inst_pref_size 0
		.amdhsa_round_robin_scheduling 0
		.amdhsa_exception_fp_ieee_invalid_op 0
		.amdhsa_exception_fp_denorm_src 0
		.amdhsa_exception_fp_ieee_div_zero 0
		.amdhsa_exception_fp_ieee_overflow 0
		.amdhsa_exception_fp_ieee_underflow 0
		.amdhsa_exception_fp_ieee_inexact 0
		.amdhsa_exception_int_div_zero 0
	.end_amdhsa_kernel
	.section	.text._ZN7rocprim17ROCPRIM_400000_NS6detail17trampoline_kernelINS0_14default_configENS1_25transform_config_selectorIiLb1EEEZNS1_14transform_implILb1ES3_S5_PiS7_NS0_8identityIiEEEE10hipError_tT2_T3_mT4_P12ihipStream_tbEUlT_E_NS1_11comp_targetILNS1_3genE9ELNS1_11target_archE1100ELNS1_3gpuE3ELNS1_3repE0EEENS1_30default_config_static_selectorELNS0_4arch9wavefront6targetE0EEEvT1_,"axG",@progbits,_ZN7rocprim17ROCPRIM_400000_NS6detail17trampoline_kernelINS0_14default_configENS1_25transform_config_selectorIiLb1EEEZNS1_14transform_implILb1ES3_S5_PiS7_NS0_8identityIiEEEE10hipError_tT2_T3_mT4_P12ihipStream_tbEUlT_E_NS1_11comp_targetILNS1_3genE9ELNS1_11target_archE1100ELNS1_3gpuE3ELNS1_3repE0EEENS1_30default_config_static_selectorELNS0_4arch9wavefront6targetE0EEEvT1_,comdat
.Lfunc_end16:
	.size	_ZN7rocprim17ROCPRIM_400000_NS6detail17trampoline_kernelINS0_14default_configENS1_25transform_config_selectorIiLb1EEEZNS1_14transform_implILb1ES3_S5_PiS7_NS0_8identityIiEEEE10hipError_tT2_T3_mT4_P12ihipStream_tbEUlT_E_NS1_11comp_targetILNS1_3genE9ELNS1_11target_archE1100ELNS1_3gpuE3ELNS1_3repE0EEENS1_30default_config_static_selectorELNS0_4arch9wavefront6targetE0EEEvT1_, .Lfunc_end16-_ZN7rocprim17ROCPRIM_400000_NS6detail17trampoline_kernelINS0_14default_configENS1_25transform_config_selectorIiLb1EEEZNS1_14transform_implILb1ES3_S5_PiS7_NS0_8identityIiEEEE10hipError_tT2_T3_mT4_P12ihipStream_tbEUlT_E_NS1_11comp_targetILNS1_3genE9ELNS1_11target_archE1100ELNS1_3gpuE3ELNS1_3repE0EEENS1_30default_config_static_selectorELNS0_4arch9wavefront6targetE0EEEvT1_
                                        ; -- End function
	.set _ZN7rocprim17ROCPRIM_400000_NS6detail17trampoline_kernelINS0_14default_configENS1_25transform_config_selectorIiLb1EEEZNS1_14transform_implILb1ES3_S5_PiS7_NS0_8identityIiEEEE10hipError_tT2_T3_mT4_P12ihipStream_tbEUlT_E_NS1_11comp_targetILNS1_3genE9ELNS1_11target_archE1100ELNS1_3gpuE3ELNS1_3repE0EEENS1_30default_config_static_selectorELNS0_4arch9wavefront6targetE0EEEvT1_.num_vgpr, 0
	.set _ZN7rocprim17ROCPRIM_400000_NS6detail17trampoline_kernelINS0_14default_configENS1_25transform_config_selectorIiLb1EEEZNS1_14transform_implILb1ES3_S5_PiS7_NS0_8identityIiEEEE10hipError_tT2_T3_mT4_P12ihipStream_tbEUlT_E_NS1_11comp_targetILNS1_3genE9ELNS1_11target_archE1100ELNS1_3gpuE3ELNS1_3repE0EEENS1_30default_config_static_selectorELNS0_4arch9wavefront6targetE0EEEvT1_.num_agpr, 0
	.set _ZN7rocprim17ROCPRIM_400000_NS6detail17trampoline_kernelINS0_14default_configENS1_25transform_config_selectorIiLb1EEEZNS1_14transform_implILb1ES3_S5_PiS7_NS0_8identityIiEEEE10hipError_tT2_T3_mT4_P12ihipStream_tbEUlT_E_NS1_11comp_targetILNS1_3genE9ELNS1_11target_archE1100ELNS1_3gpuE3ELNS1_3repE0EEENS1_30default_config_static_selectorELNS0_4arch9wavefront6targetE0EEEvT1_.numbered_sgpr, 0
	.set _ZN7rocprim17ROCPRIM_400000_NS6detail17trampoline_kernelINS0_14default_configENS1_25transform_config_selectorIiLb1EEEZNS1_14transform_implILb1ES3_S5_PiS7_NS0_8identityIiEEEE10hipError_tT2_T3_mT4_P12ihipStream_tbEUlT_E_NS1_11comp_targetILNS1_3genE9ELNS1_11target_archE1100ELNS1_3gpuE3ELNS1_3repE0EEENS1_30default_config_static_selectorELNS0_4arch9wavefront6targetE0EEEvT1_.num_named_barrier, 0
	.set _ZN7rocprim17ROCPRIM_400000_NS6detail17trampoline_kernelINS0_14default_configENS1_25transform_config_selectorIiLb1EEEZNS1_14transform_implILb1ES3_S5_PiS7_NS0_8identityIiEEEE10hipError_tT2_T3_mT4_P12ihipStream_tbEUlT_E_NS1_11comp_targetILNS1_3genE9ELNS1_11target_archE1100ELNS1_3gpuE3ELNS1_3repE0EEENS1_30default_config_static_selectorELNS0_4arch9wavefront6targetE0EEEvT1_.private_seg_size, 0
	.set _ZN7rocprim17ROCPRIM_400000_NS6detail17trampoline_kernelINS0_14default_configENS1_25transform_config_selectorIiLb1EEEZNS1_14transform_implILb1ES3_S5_PiS7_NS0_8identityIiEEEE10hipError_tT2_T3_mT4_P12ihipStream_tbEUlT_E_NS1_11comp_targetILNS1_3genE9ELNS1_11target_archE1100ELNS1_3gpuE3ELNS1_3repE0EEENS1_30default_config_static_selectorELNS0_4arch9wavefront6targetE0EEEvT1_.uses_vcc, 0
	.set _ZN7rocprim17ROCPRIM_400000_NS6detail17trampoline_kernelINS0_14default_configENS1_25transform_config_selectorIiLb1EEEZNS1_14transform_implILb1ES3_S5_PiS7_NS0_8identityIiEEEE10hipError_tT2_T3_mT4_P12ihipStream_tbEUlT_E_NS1_11comp_targetILNS1_3genE9ELNS1_11target_archE1100ELNS1_3gpuE3ELNS1_3repE0EEENS1_30default_config_static_selectorELNS0_4arch9wavefront6targetE0EEEvT1_.uses_flat_scratch, 0
	.set _ZN7rocprim17ROCPRIM_400000_NS6detail17trampoline_kernelINS0_14default_configENS1_25transform_config_selectorIiLb1EEEZNS1_14transform_implILb1ES3_S5_PiS7_NS0_8identityIiEEEE10hipError_tT2_T3_mT4_P12ihipStream_tbEUlT_E_NS1_11comp_targetILNS1_3genE9ELNS1_11target_archE1100ELNS1_3gpuE3ELNS1_3repE0EEENS1_30default_config_static_selectorELNS0_4arch9wavefront6targetE0EEEvT1_.has_dyn_sized_stack, 0
	.set _ZN7rocprim17ROCPRIM_400000_NS6detail17trampoline_kernelINS0_14default_configENS1_25transform_config_selectorIiLb1EEEZNS1_14transform_implILb1ES3_S5_PiS7_NS0_8identityIiEEEE10hipError_tT2_T3_mT4_P12ihipStream_tbEUlT_E_NS1_11comp_targetILNS1_3genE9ELNS1_11target_archE1100ELNS1_3gpuE3ELNS1_3repE0EEENS1_30default_config_static_selectorELNS0_4arch9wavefront6targetE0EEEvT1_.has_recursion, 0
	.set _ZN7rocprim17ROCPRIM_400000_NS6detail17trampoline_kernelINS0_14default_configENS1_25transform_config_selectorIiLb1EEEZNS1_14transform_implILb1ES3_S5_PiS7_NS0_8identityIiEEEE10hipError_tT2_T3_mT4_P12ihipStream_tbEUlT_E_NS1_11comp_targetILNS1_3genE9ELNS1_11target_archE1100ELNS1_3gpuE3ELNS1_3repE0EEENS1_30default_config_static_selectorELNS0_4arch9wavefront6targetE0EEEvT1_.has_indirect_call, 0
	.section	.AMDGPU.csdata,"",@progbits
; Kernel info:
; codeLenInByte = 0
; TotalNumSgprs: 0
; NumVgprs: 0
; ScratchSize: 0
; MemoryBound: 0
; FloatMode: 240
; IeeeMode: 1
; LDSByteSize: 0 bytes/workgroup (compile time only)
; SGPRBlocks: 0
; VGPRBlocks: 0
; NumSGPRsForWavesPerEU: 1
; NumVGPRsForWavesPerEU: 1
; NamedBarCnt: 0
; Occupancy: 16
; WaveLimiterHint : 0
; COMPUTE_PGM_RSRC2:SCRATCH_EN: 0
; COMPUTE_PGM_RSRC2:USER_SGPR: 2
; COMPUTE_PGM_RSRC2:TRAP_HANDLER: 0
; COMPUTE_PGM_RSRC2:TGID_X_EN: 1
; COMPUTE_PGM_RSRC2:TGID_Y_EN: 0
; COMPUTE_PGM_RSRC2:TGID_Z_EN: 0
; COMPUTE_PGM_RSRC2:TIDIG_COMP_CNT: 0
	.section	.text._ZN7rocprim17ROCPRIM_400000_NS6detail17trampoline_kernelINS0_14default_configENS1_25transform_config_selectorIiLb1EEEZNS1_14transform_implILb1ES3_S5_PiS7_NS0_8identityIiEEEE10hipError_tT2_T3_mT4_P12ihipStream_tbEUlT_E_NS1_11comp_targetILNS1_3genE8ELNS1_11target_archE1030ELNS1_3gpuE2ELNS1_3repE0EEENS1_30default_config_static_selectorELNS0_4arch9wavefront6targetE0EEEvT1_,"axG",@progbits,_ZN7rocprim17ROCPRIM_400000_NS6detail17trampoline_kernelINS0_14default_configENS1_25transform_config_selectorIiLb1EEEZNS1_14transform_implILb1ES3_S5_PiS7_NS0_8identityIiEEEE10hipError_tT2_T3_mT4_P12ihipStream_tbEUlT_E_NS1_11comp_targetILNS1_3genE8ELNS1_11target_archE1030ELNS1_3gpuE2ELNS1_3repE0EEENS1_30default_config_static_selectorELNS0_4arch9wavefront6targetE0EEEvT1_,comdat
	.protected	_ZN7rocprim17ROCPRIM_400000_NS6detail17trampoline_kernelINS0_14default_configENS1_25transform_config_selectorIiLb1EEEZNS1_14transform_implILb1ES3_S5_PiS7_NS0_8identityIiEEEE10hipError_tT2_T3_mT4_P12ihipStream_tbEUlT_E_NS1_11comp_targetILNS1_3genE8ELNS1_11target_archE1030ELNS1_3gpuE2ELNS1_3repE0EEENS1_30default_config_static_selectorELNS0_4arch9wavefront6targetE0EEEvT1_ ; -- Begin function _ZN7rocprim17ROCPRIM_400000_NS6detail17trampoline_kernelINS0_14default_configENS1_25transform_config_selectorIiLb1EEEZNS1_14transform_implILb1ES3_S5_PiS7_NS0_8identityIiEEEE10hipError_tT2_T3_mT4_P12ihipStream_tbEUlT_E_NS1_11comp_targetILNS1_3genE8ELNS1_11target_archE1030ELNS1_3gpuE2ELNS1_3repE0EEENS1_30default_config_static_selectorELNS0_4arch9wavefront6targetE0EEEvT1_
	.globl	_ZN7rocprim17ROCPRIM_400000_NS6detail17trampoline_kernelINS0_14default_configENS1_25transform_config_selectorIiLb1EEEZNS1_14transform_implILb1ES3_S5_PiS7_NS0_8identityIiEEEE10hipError_tT2_T3_mT4_P12ihipStream_tbEUlT_E_NS1_11comp_targetILNS1_3genE8ELNS1_11target_archE1030ELNS1_3gpuE2ELNS1_3repE0EEENS1_30default_config_static_selectorELNS0_4arch9wavefront6targetE0EEEvT1_
	.p2align	8
	.type	_ZN7rocprim17ROCPRIM_400000_NS6detail17trampoline_kernelINS0_14default_configENS1_25transform_config_selectorIiLb1EEEZNS1_14transform_implILb1ES3_S5_PiS7_NS0_8identityIiEEEE10hipError_tT2_T3_mT4_P12ihipStream_tbEUlT_E_NS1_11comp_targetILNS1_3genE8ELNS1_11target_archE1030ELNS1_3gpuE2ELNS1_3repE0EEENS1_30default_config_static_selectorELNS0_4arch9wavefront6targetE0EEEvT1_,@function
_ZN7rocprim17ROCPRIM_400000_NS6detail17trampoline_kernelINS0_14default_configENS1_25transform_config_selectorIiLb1EEEZNS1_14transform_implILb1ES3_S5_PiS7_NS0_8identityIiEEEE10hipError_tT2_T3_mT4_P12ihipStream_tbEUlT_E_NS1_11comp_targetILNS1_3genE8ELNS1_11target_archE1030ELNS1_3gpuE2ELNS1_3repE0EEENS1_30default_config_static_selectorELNS0_4arch9wavefront6targetE0EEEvT1_: ; @_ZN7rocprim17ROCPRIM_400000_NS6detail17trampoline_kernelINS0_14default_configENS1_25transform_config_selectorIiLb1EEEZNS1_14transform_implILb1ES3_S5_PiS7_NS0_8identityIiEEEE10hipError_tT2_T3_mT4_P12ihipStream_tbEUlT_E_NS1_11comp_targetILNS1_3genE8ELNS1_11target_archE1030ELNS1_3gpuE2ELNS1_3repE0EEENS1_30default_config_static_selectorELNS0_4arch9wavefront6targetE0EEEvT1_
; %bb.0:
	.section	.rodata,"a",@progbits
	.p2align	6, 0x0
	.amdhsa_kernel _ZN7rocprim17ROCPRIM_400000_NS6detail17trampoline_kernelINS0_14default_configENS1_25transform_config_selectorIiLb1EEEZNS1_14transform_implILb1ES3_S5_PiS7_NS0_8identityIiEEEE10hipError_tT2_T3_mT4_P12ihipStream_tbEUlT_E_NS1_11comp_targetILNS1_3genE8ELNS1_11target_archE1030ELNS1_3gpuE2ELNS1_3repE0EEENS1_30default_config_static_selectorELNS0_4arch9wavefront6targetE0EEEvT1_
		.amdhsa_group_segment_fixed_size 0
		.amdhsa_private_segment_fixed_size 0
		.amdhsa_kernarg_size 40
		.amdhsa_user_sgpr_count 2
		.amdhsa_user_sgpr_dispatch_ptr 0
		.amdhsa_user_sgpr_queue_ptr 0
		.amdhsa_user_sgpr_kernarg_segment_ptr 1
		.amdhsa_user_sgpr_dispatch_id 0
		.amdhsa_user_sgpr_kernarg_preload_length 0
		.amdhsa_user_sgpr_kernarg_preload_offset 0
		.amdhsa_user_sgpr_private_segment_size 0
		.amdhsa_wavefront_size32 1
		.amdhsa_uses_dynamic_stack 0
		.amdhsa_enable_private_segment 0
		.amdhsa_system_sgpr_workgroup_id_x 1
		.amdhsa_system_sgpr_workgroup_id_y 0
		.amdhsa_system_sgpr_workgroup_id_z 0
		.amdhsa_system_sgpr_workgroup_info 0
		.amdhsa_system_vgpr_workitem_id 0
		.amdhsa_next_free_vgpr 1
		.amdhsa_next_free_sgpr 1
		.amdhsa_named_barrier_count 0
		.amdhsa_reserve_vcc 0
		.amdhsa_float_round_mode_32 0
		.amdhsa_float_round_mode_16_64 0
		.amdhsa_float_denorm_mode_32 3
		.amdhsa_float_denorm_mode_16_64 3
		.amdhsa_fp16_overflow 0
		.amdhsa_memory_ordered 1
		.amdhsa_forward_progress 1
		.amdhsa_inst_pref_size 0
		.amdhsa_round_robin_scheduling 0
		.amdhsa_exception_fp_ieee_invalid_op 0
		.amdhsa_exception_fp_denorm_src 0
		.amdhsa_exception_fp_ieee_div_zero 0
		.amdhsa_exception_fp_ieee_overflow 0
		.amdhsa_exception_fp_ieee_underflow 0
		.amdhsa_exception_fp_ieee_inexact 0
		.amdhsa_exception_int_div_zero 0
	.end_amdhsa_kernel
	.section	.text._ZN7rocprim17ROCPRIM_400000_NS6detail17trampoline_kernelINS0_14default_configENS1_25transform_config_selectorIiLb1EEEZNS1_14transform_implILb1ES3_S5_PiS7_NS0_8identityIiEEEE10hipError_tT2_T3_mT4_P12ihipStream_tbEUlT_E_NS1_11comp_targetILNS1_3genE8ELNS1_11target_archE1030ELNS1_3gpuE2ELNS1_3repE0EEENS1_30default_config_static_selectorELNS0_4arch9wavefront6targetE0EEEvT1_,"axG",@progbits,_ZN7rocprim17ROCPRIM_400000_NS6detail17trampoline_kernelINS0_14default_configENS1_25transform_config_selectorIiLb1EEEZNS1_14transform_implILb1ES3_S5_PiS7_NS0_8identityIiEEEE10hipError_tT2_T3_mT4_P12ihipStream_tbEUlT_E_NS1_11comp_targetILNS1_3genE8ELNS1_11target_archE1030ELNS1_3gpuE2ELNS1_3repE0EEENS1_30default_config_static_selectorELNS0_4arch9wavefront6targetE0EEEvT1_,comdat
.Lfunc_end17:
	.size	_ZN7rocprim17ROCPRIM_400000_NS6detail17trampoline_kernelINS0_14default_configENS1_25transform_config_selectorIiLb1EEEZNS1_14transform_implILb1ES3_S5_PiS7_NS0_8identityIiEEEE10hipError_tT2_T3_mT4_P12ihipStream_tbEUlT_E_NS1_11comp_targetILNS1_3genE8ELNS1_11target_archE1030ELNS1_3gpuE2ELNS1_3repE0EEENS1_30default_config_static_selectorELNS0_4arch9wavefront6targetE0EEEvT1_, .Lfunc_end17-_ZN7rocprim17ROCPRIM_400000_NS6detail17trampoline_kernelINS0_14default_configENS1_25transform_config_selectorIiLb1EEEZNS1_14transform_implILb1ES3_S5_PiS7_NS0_8identityIiEEEE10hipError_tT2_T3_mT4_P12ihipStream_tbEUlT_E_NS1_11comp_targetILNS1_3genE8ELNS1_11target_archE1030ELNS1_3gpuE2ELNS1_3repE0EEENS1_30default_config_static_selectorELNS0_4arch9wavefront6targetE0EEEvT1_
                                        ; -- End function
	.set _ZN7rocprim17ROCPRIM_400000_NS6detail17trampoline_kernelINS0_14default_configENS1_25transform_config_selectorIiLb1EEEZNS1_14transform_implILb1ES3_S5_PiS7_NS0_8identityIiEEEE10hipError_tT2_T3_mT4_P12ihipStream_tbEUlT_E_NS1_11comp_targetILNS1_3genE8ELNS1_11target_archE1030ELNS1_3gpuE2ELNS1_3repE0EEENS1_30default_config_static_selectorELNS0_4arch9wavefront6targetE0EEEvT1_.num_vgpr, 0
	.set _ZN7rocprim17ROCPRIM_400000_NS6detail17trampoline_kernelINS0_14default_configENS1_25transform_config_selectorIiLb1EEEZNS1_14transform_implILb1ES3_S5_PiS7_NS0_8identityIiEEEE10hipError_tT2_T3_mT4_P12ihipStream_tbEUlT_E_NS1_11comp_targetILNS1_3genE8ELNS1_11target_archE1030ELNS1_3gpuE2ELNS1_3repE0EEENS1_30default_config_static_selectorELNS0_4arch9wavefront6targetE0EEEvT1_.num_agpr, 0
	.set _ZN7rocprim17ROCPRIM_400000_NS6detail17trampoline_kernelINS0_14default_configENS1_25transform_config_selectorIiLb1EEEZNS1_14transform_implILb1ES3_S5_PiS7_NS0_8identityIiEEEE10hipError_tT2_T3_mT4_P12ihipStream_tbEUlT_E_NS1_11comp_targetILNS1_3genE8ELNS1_11target_archE1030ELNS1_3gpuE2ELNS1_3repE0EEENS1_30default_config_static_selectorELNS0_4arch9wavefront6targetE0EEEvT1_.numbered_sgpr, 0
	.set _ZN7rocprim17ROCPRIM_400000_NS6detail17trampoline_kernelINS0_14default_configENS1_25transform_config_selectorIiLb1EEEZNS1_14transform_implILb1ES3_S5_PiS7_NS0_8identityIiEEEE10hipError_tT2_T3_mT4_P12ihipStream_tbEUlT_E_NS1_11comp_targetILNS1_3genE8ELNS1_11target_archE1030ELNS1_3gpuE2ELNS1_3repE0EEENS1_30default_config_static_selectorELNS0_4arch9wavefront6targetE0EEEvT1_.num_named_barrier, 0
	.set _ZN7rocprim17ROCPRIM_400000_NS6detail17trampoline_kernelINS0_14default_configENS1_25transform_config_selectorIiLb1EEEZNS1_14transform_implILb1ES3_S5_PiS7_NS0_8identityIiEEEE10hipError_tT2_T3_mT4_P12ihipStream_tbEUlT_E_NS1_11comp_targetILNS1_3genE8ELNS1_11target_archE1030ELNS1_3gpuE2ELNS1_3repE0EEENS1_30default_config_static_selectorELNS0_4arch9wavefront6targetE0EEEvT1_.private_seg_size, 0
	.set _ZN7rocprim17ROCPRIM_400000_NS6detail17trampoline_kernelINS0_14default_configENS1_25transform_config_selectorIiLb1EEEZNS1_14transform_implILb1ES3_S5_PiS7_NS0_8identityIiEEEE10hipError_tT2_T3_mT4_P12ihipStream_tbEUlT_E_NS1_11comp_targetILNS1_3genE8ELNS1_11target_archE1030ELNS1_3gpuE2ELNS1_3repE0EEENS1_30default_config_static_selectorELNS0_4arch9wavefront6targetE0EEEvT1_.uses_vcc, 0
	.set _ZN7rocprim17ROCPRIM_400000_NS6detail17trampoline_kernelINS0_14default_configENS1_25transform_config_selectorIiLb1EEEZNS1_14transform_implILb1ES3_S5_PiS7_NS0_8identityIiEEEE10hipError_tT2_T3_mT4_P12ihipStream_tbEUlT_E_NS1_11comp_targetILNS1_3genE8ELNS1_11target_archE1030ELNS1_3gpuE2ELNS1_3repE0EEENS1_30default_config_static_selectorELNS0_4arch9wavefront6targetE0EEEvT1_.uses_flat_scratch, 0
	.set _ZN7rocprim17ROCPRIM_400000_NS6detail17trampoline_kernelINS0_14default_configENS1_25transform_config_selectorIiLb1EEEZNS1_14transform_implILb1ES3_S5_PiS7_NS0_8identityIiEEEE10hipError_tT2_T3_mT4_P12ihipStream_tbEUlT_E_NS1_11comp_targetILNS1_3genE8ELNS1_11target_archE1030ELNS1_3gpuE2ELNS1_3repE0EEENS1_30default_config_static_selectorELNS0_4arch9wavefront6targetE0EEEvT1_.has_dyn_sized_stack, 0
	.set _ZN7rocprim17ROCPRIM_400000_NS6detail17trampoline_kernelINS0_14default_configENS1_25transform_config_selectorIiLb1EEEZNS1_14transform_implILb1ES3_S5_PiS7_NS0_8identityIiEEEE10hipError_tT2_T3_mT4_P12ihipStream_tbEUlT_E_NS1_11comp_targetILNS1_3genE8ELNS1_11target_archE1030ELNS1_3gpuE2ELNS1_3repE0EEENS1_30default_config_static_selectorELNS0_4arch9wavefront6targetE0EEEvT1_.has_recursion, 0
	.set _ZN7rocprim17ROCPRIM_400000_NS6detail17trampoline_kernelINS0_14default_configENS1_25transform_config_selectorIiLb1EEEZNS1_14transform_implILb1ES3_S5_PiS7_NS0_8identityIiEEEE10hipError_tT2_T3_mT4_P12ihipStream_tbEUlT_E_NS1_11comp_targetILNS1_3genE8ELNS1_11target_archE1030ELNS1_3gpuE2ELNS1_3repE0EEENS1_30default_config_static_selectorELNS0_4arch9wavefront6targetE0EEEvT1_.has_indirect_call, 0
	.section	.AMDGPU.csdata,"",@progbits
; Kernel info:
; codeLenInByte = 0
; TotalNumSgprs: 0
; NumVgprs: 0
; ScratchSize: 0
; MemoryBound: 0
; FloatMode: 240
; IeeeMode: 1
; LDSByteSize: 0 bytes/workgroup (compile time only)
; SGPRBlocks: 0
; VGPRBlocks: 0
; NumSGPRsForWavesPerEU: 1
; NumVGPRsForWavesPerEU: 1
; NamedBarCnt: 0
; Occupancy: 16
; WaveLimiterHint : 0
; COMPUTE_PGM_RSRC2:SCRATCH_EN: 0
; COMPUTE_PGM_RSRC2:USER_SGPR: 2
; COMPUTE_PGM_RSRC2:TRAP_HANDLER: 0
; COMPUTE_PGM_RSRC2:TGID_X_EN: 1
; COMPUTE_PGM_RSRC2:TGID_Y_EN: 0
; COMPUTE_PGM_RSRC2:TGID_Z_EN: 0
; COMPUTE_PGM_RSRC2:TIDIG_COMP_CNT: 0
	.section	.text._ZN7rocprim17ROCPRIM_400000_NS6detail17trampoline_kernelINS0_14default_configENS1_20scan_config_selectorIiEEZZNS1_9scan_implILNS1_25lookback_scan_determinismE0ELb0ELb0ES3_N6thrust23THRUST_200600_302600_NS6detail15normal_iteratorINS9_10device_ptrIiEEEESE_iNS9_4plusIvEEiEEDaPvRmT3_T4_T5_mT6_P12ihipStream_tbENKUlT_T0_E_clISt17integral_constantIbLb0EESU_EEDaSP_SQ_EUlSP_E0_NS1_11comp_targetILNS1_3genE0ELNS1_11target_archE4294967295ELNS1_3gpuE0ELNS1_3repE0EEENS1_30default_config_static_selectorELNS0_4arch9wavefront6targetE0EEEvT1_,"axG",@progbits,_ZN7rocprim17ROCPRIM_400000_NS6detail17trampoline_kernelINS0_14default_configENS1_20scan_config_selectorIiEEZZNS1_9scan_implILNS1_25lookback_scan_determinismE0ELb0ELb0ES3_N6thrust23THRUST_200600_302600_NS6detail15normal_iteratorINS9_10device_ptrIiEEEESE_iNS9_4plusIvEEiEEDaPvRmT3_T4_T5_mT6_P12ihipStream_tbENKUlT_T0_E_clISt17integral_constantIbLb0EESU_EEDaSP_SQ_EUlSP_E0_NS1_11comp_targetILNS1_3genE0ELNS1_11target_archE4294967295ELNS1_3gpuE0ELNS1_3repE0EEENS1_30default_config_static_selectorELNS0_4arch9wavefront6targetE0EEEvT1_,comdat
	.protected	_ZN7rocprim17ROCPRIM_400000_NS6detail17trampoline_kernelINS0_14default_configENS1_20scan_config_selectorIiEEZZNS1_9scan_implILNS1_25lookback_scan_determinismE0ELb0ELb0ES3_N6thrust23THRUST_200600_302600_NS6detail15normal_iteratorINS9_10device_ptrIiEEEESE_iNS9_4plusIvEEiEEDaPvRmT3_T4_T5_mT6_P12ihipStream_tbENKUlT_T0_E_clISt17integral_constantIbLb0EESU_EEDaSP_SQ_EUlSP_E0_NS1_11comp_targetILNS1_3genE0ELNS1_11target_archE4294967295ELNS1_3gpuE0ELNS1_3repE0EEENS1_30default_config_static_selectorELNS0_4arch9wavefront6targetE0EEEvT1_ ; -- Begin function _ZN7rocprim17ROCPRIM_400000_NS6detail17trampoline_kernelINS0_14default_configENS1_20scan_config_selectorIiEEZZNS1_9scan_implILNS1_25lookback_scan_determinismE0ELb0ELb0ES3_N6thrust23THRUST_200600_302600_NS6detail15normal_iteratorINS9_10device_ptrIiEEEESE_iNS9_4plusIvEEiEEDaPvRmT3_T4_T5_mT6_P12ihipStream_tbENKUlT_T0_E_clISt17integral_constantIbLb0EESU_EEDaSP_SQ_EUlSP_E0_NS1_11comp_targetILNS1_3genE0ELNS1_11target_archE4294967295ELNS1_3gpuE0ELNS1_3repE0EEENS1_30default_config_static_selectorELNS0_4arch9wavefront6targetE0EEEvT1_
	.globl	_ZN7rocprim17ROCPRIM_400000_NS6detail17trampoline_kernelINS0_14default_configENS1_20scan_config_selectorIiEEZZNS1_9scan_implILNS1_25lookback_scan_determinismE0ELb0ELb0ES3_N6thrust23THRUST_200600_302600_NS6detail15normal_iteratorINS9_10device_ptrIiEEEESE_iNS9_4plusIvEEiEEDaPvRmT3_T4_T5_mT6_P12ihipStream_tbENKUlT_T0_E_clISt17integral_constantIbLb0EESU_EEDaSP_SQ_EUlSP_E0_NS1_11comp_targetILNS1_3genE0ELNS1_11target_archE4294967295ELNS1_3gpuE0ELNS1_3repE0EEENS1_30default_config_static_selectorELNS0_4arch9wavefront6targetE0EEEvT1_
	.p2align	8
	.type	_ZN7rocprim17ROCPRIM_400000_NS6detail17trampoline_kernelINS0_14default_configENS1_20scan_config_selectorIiEEZZNS1_9scan_implILNS1_25lookback_scan_determinismE0ELb0ELb0ES3_N6thrust23THRUST_200600_302600_NS6detail15normal_iteratorINS9_10device_ptrIiEEEESE_iNS9_4plusIvEEiEEDaPvRmT3_T4_T5_mT6_P12ihipStream_tbENKUlT_T0_E_clISt17integral_constantIbLb0EESU_EEDaSP_SQ_EUlSP_E0_NS1_11comp_targetILNS1_3genE0ELNS1_11target_archE4294967295ELNS1_3gpuE0ELNS1_3repE0EEENS1_30default_config_static_selectorELNS0_4arch9wavefront6targetE0EEEvT1_,@function
_ZN7rocprim17ROCPRIM_400000_NS6detail17trampoline_kernelINS0_14default_configENS1_20scan_config_selectorIiEEZZNS1_9scan_implILNS1_25lookback_scan_determinismE0ELb0ELb0ES3_N6thrust23THRUST_200600_302600_NS6detail15normal_iteratorINS9_10device_ptrIiEEEESE_iNS9_4plusIvEEiEEDaPvRmT3_T4_T5_mT6_P12ihipStream_tbENKUlT_T0_E_clISt17integral_constantIbLb0EESU_EEDaSP_SQ_EUlSP_E0_NS1_11comp_targetILNS1_3genE0ELNS1_11target_archE4294967295ELNS1_3gpuE0ELNS1_3repE0EEENS1_30default_config_static_selectorELNS0_4arch9wavefront6targetE0EEEvT1_: ; @_ZN7rocprim17ROCPRIM_400000_NS6detail17trampoline_kernelINS0_14default_configENS1_20scan_config_selectorIiEEZZNS1_9scan_implILNS1_25lookback_scan_determinismE0ELb0ELb0ES3_N6thrust23THRUST_200600_302600_NS6detail15normal_iteratorINS9_10device_ptrIiEEEESE_iNS9_4plusIvEEiEEDaPvRmT3_T4_T5_mT6_P12ihipStream_tbENKUlT_T0_E_clISt17integral_constantIbLb0EESU_EEDaSP_SQ_EUlSP_E0_NS1_11comp_targetILNS1_3genE0ELNS1_11target_archE4294967295ELNS1_3gpuE0ELNS1_3repE0EEENS1_30default_config_static_selectorELNS0_4arch9wavefront6targetE0EEEvT1_
; %bb.0:
	s_load_b128 s[16:19], s[0:1], 0x0
	s_wait_kmcnt 0x0
	v_cmp_gt_u32_e32 vcc_lo, s18, v0
	s_load_b32 s19, s[16:17], 0x0
	s_wait_kmcnt 0x0
	v_mov_b32_e32 v1, s19
	s_and_saveexec_b32 s2, vcc_lo
	s_cbranch_execz .LBB18_2
; %bb.1:
	global_load_b32 v1, v0, s[16:17] scale_offset
.LBB18_2:
	s_wait_xcnt 0x0
	s_or_b32 exec_lo, exec_lo, s2
	v_or_b32_e32 v2, 0x100, v0
	s_delay_alu instid0(VALU_DEP_1)
	v_cmp_gt_u32_e64 s2, s18, v2
	v_mov_b32_e32 v2, s19
	s_and_saveexec_b32 s3, s2
	s_cbranch_execz .LBB18_4
; %bb.3:
	global_load_b32 v2, v0, s[16:17] offset:1024 scale_offset
.LBB18_4:
	s_wait_xcnt 0x0
	s_or_b32 exec_lo, exec_lo, s3
	v_or_b32_e32 v3, 0x200, v0
	s_delay_alu instid0(VALU_DEP_1)
	v_cmp_gt_u32_e64 s3, s18, v3
	v_mov_b32_e32 v3, s19
	s_and_saveexec_b32 s4, s3
	s_cbranch_execz .LBB18_6
; %bb.5:
	global_load_b32 v3, v0, s[16:17] offset:2048 scale_offset
.LBB18_6:
	s_wait_xcnt 0x0
	s_or_b32 exec_lo, exec_lo, s4
	v_or_b32_e32 v4, 0x300, v0
	s_delay_alu instid0(VALU_DEP_1)
	v_cmp_gt_u32_e64 s4, s18, v4
	v_mov_b32_e32 v4, s19
	s_and_saveexec_b32 s5, s4
	s_cbranch_execz .LBB18_8
; %bb.7:
	global_load_b32 v4, v0, s[16:17] offset:3072 scale_offset
.LBB18_8:
	s_wait_xcnt 0x0
	s_or_b32 exec_lo, exec_lo, s5
	v_or_b32_e32 v5, 0x400, v0
	s_delay_alu instid0(VALU_DEP_1)
	v_cmp_gt_u32_e64 s5, s18, v5
	v_mov_b32_e32 v5, s19
	s_and_saveexec_b32 s6, s5
	s_cbranch_execz .LBB18_10
; %bb.9:
	global_load_b32 v5, v0, s[16:17] offset:4096 scale_offset
.LBB18_10:
	s_wait_xcnt 0x0
	s_or_b32 exec_lo, exec_lo, s6
	v_or_b32_e32 v6, 0x500, v0
	s_delay_alu instid0(VALU_DEP_1)
	v_cmp_gt_u32_e64 s6, s18, v6
	v_mov_b32_e32 v6, s19
	s_and_saveexec_b32 s7, s6
	s_cbranch_execz .LBB18_12
; %bb.11:
	global_load_b32 v6, v0, s[16:17] offset:5120 scale_offset
.LBB18_12:
	s_wait_xcnt 0x0
	s_or_b32 exec_lo, exec_lo, s7
	v_or_b32_e32 v7, 0x600, v0
	s_delay_alu instid0(VALU_DEP_1)
	v_cmp_gt_u32_e64 s7, s18, v7
	v_mov_b32_e32 v7, s19
	s_and_saveexec_b32 s8, s7
	s_cbranch_execz .LBB18_14
; %bb.13:
	global_load_b32 v7, v0, s[16:17] offset:6144 scale_offset
.LBB18_14:
	s_wait_xcnt 0x0
	s_or_b32 exec_lo, exec_lo, s8
	v_or_b32_e32 v8, 0x700, v0
	s_delay_alu instid0(VALU_DEP_1)
	v_cmp_gt_u32_e64 s8, s18, v8
	v_mov_b32_e32 v8, s19
	s_and_saveexec_b32 s9, s8
	s_cbranch_execz .LBB18_16
; %bb.15:
	global_load_b32 v8, v0, s[16:17] offset:7168 scale_offset
.LBB18_16:
	s_wait_xcnt 0x0
	s_or_b32 exec_lo, exec_lo, s9
	v_or_b32_e32 v9, 0x800, v0
	s_delay_alu instid0(VALU_DEP_1)
	v_cmp_gt_u32_e64 s9, s18, v9
	v_mov_b32_e32 v9, s19
	s_and_saveexec_b32 s10, s9
	s_cbranch_execz .LBB18_18
; %bb.17:
	global_load_b32 v9, v0, s[16:17] offset:8192 scale_offset
.LBB18_18:
	s_wait_xcnt 0x0
	s_or_b32 exec_lo, exec_lo, s10
	v_or_b32_e32 v10, 0x900, v0
	s_delay_alu instid0(VALU_DEP_1)
	v_cmp_gt_u32_e64 s10, s18, v10
	v_mov_b32_e32 v10, s19
	s_and_saveexec_b32 s11, s10
	s_cbranch_execz .LBB18_20
; %bb.19:
	global_load_b32 v10, v0, s[16:17] offset:9216 scale_offset
.LBB18_20:
	s_wait_xcnt 0x0
	s_or_b32 exec_lo, exec_lo, s11
	v_or_b32_e32 v11, 0xa00, v0
	s_delay_alu instid0(VALU_DEP_1)
	v_cmp_gt_u32_e64 s11, s18, v11
	v_mov_b32_e32 v11, s19
	s_and_saveexec_b32 s12, s11
	s_cbranch_execz .LBB18_22
; %bb.21:
	global_load_b32 v11, v0, s[16:17] offset:10240 scale_offset
.LBB18_22:
	s_wait_xcnt 0x0
	s_or_b32 exec_lo, exec_lo, s12
	v_or_b32_e32 v12, 0xb00, v0
	s_delay_alu instid0(VALU_DEP_1)
	v_cmp_gt_u32_e64 s12, s18, v12
	v_mov_b32_e32 v12, s19
	s_and_saveexec_b32 s13, s12
	s_cbranch_execz .LBB18_24
; %bb.23:
	global_load_b32 v12, v0, s[16:17] offset:11264 scale_offset
.LBB18_24:
	s_wait_xcnt 0x0
	s_or_b32 exec_lo, exec_lo, s13
	v_or_b32_e32 v13, 0xc00, v0
	s_delay_alu instid0(VALU_DEP_1)
	v_cmp_gt_u32_e64 s13, s18, v13
	v_mov_b32_e32 v13, s19
	s_and_saveexec_b32 s14, s13
	s_cbranch_execz .LBB18_26
; %bb.25:
	global_load_b32 v13, v0, s[16:17] offset:12288 scale_offset
.LBB18_26:
	s_wait_xcnt 0x0
	s_or_b32 exec_lo, exec_lo, s14
	v_or_b32_e32 v14, 0xd00, v0
	s_delay_alu instid0(VALU_DEP_1) | instskip(SKIP_2) | instid1(SALU_CYCLE_1)
	v_cmp_gt_u32_e64 s14, s18, v14
	v_cmp_le_u32_e64 s15, s18, v14
	s_and_saveexec_b32 s18, s15
	s_xor_b32 s15, exec_lo, s18
	s_delay_alu instid0(SALU_CYCLE_1)
	s_or_saveexec_b32 s15, s15
	v_mov_b32_e32 v14, s19
	s_xor_b32 exec_lo, exec_lo, s15
	s_cbranch_execz .LBB18_28
; %bb.27:
	global_load_b32 v14, v0, s[16:17] offset:13312 scale_offset
.LBB18_28:
	s_wait_xcnt 0x0
	s_or_b32 exec_lo, exec_lo, s15
	v_dual_lshlrev_b32 v30, 2, v0 :: v_dual_bitop2_b32 v33, 31, v0 bitop3:0x54
	s_mov_b32 s16, exec_lo
	s_wait_loadcnt 0x0
	ds_store_2addr_stride64_b32 v30, v1, v2 offset1:4
	ds_store_2addr_stride64_b32 v30, v3, v4 offset0:8 offset1:12
	ds_store_2addr_stride64_b32 v30, v5, v6 offset0:16 offset1:20
	;; [unrolled: 1-line block ×6, first 2 shown]
	v_mad_u32_u24 v1, v0, 52, v30
	s_wait_dscnt 0x0
	s_barrier_signal -1
	s_barrier_wait -1
	ds_load_2addr_b64 v[6:9], v1 offset1:1
	ds_load_2addr_b64 v[2:5], v1 offset0:2 offset1:3
	ds_load_2addr_b64 v[10:13], v1 offset0:4 offset1:5
	ds_load_b64 v[28:29], v1 offset:48
	v_mbcnt_lo_u32_b32 v1, -1, 0
	s_wait_dscnt 0x0
	s_barrier_signal -1
	s_barrier_wait -1
	s_delay_alu instid0(VALU_DEP_1) | instskip(NEXT) | instid1(VALU_DEP_1)
	v_and_b32_e32 v14, 15, v1
	v_cmp_ne_u32_e64 s15, 0, v14
	v_add_nc_u32_e32 v15, v7, v6
	s_delay_alu instid0(VALU_DEP_1) | instskip(NEXT) | instid1(VALU_DEP_1)
	v_add_nc_u32_e32 v18, v15, v8
	v_add_nc_u32_e32 v19, v18, v9
	s_delay_alu instid0(VALU_DEP_1) | instskip(NEXT) | instid1(VALU_DEP_1)
	v_add_nc_u32_e32 v16, v19, v2
	;; [unrolled: 3-line block ×6, first 2 shown]
	v_add_nc_u32_e32 v27, v26, v29
	s_delay_alu instid0(VALU_DEP_1) | instskip(NEXT) | instid1(VALU_DEP_1)
	v_mov_b32_dpp v31, v27 row_shr:1 row_mask:0xf bank_mask:0xf
	v_cndmask_b32_e64 v31, 0, v31, s15
	s_delay_alu instid0(VALU_DEP_1) | instskip(SKIP_1) | instid1(VALU_DEP_2)
	v_add_nc_u32_e32 v31, v31, v27
	v_cmp_lt_u32_e64 s15, 1, v14
	v_mov_b32_dpp v32, v31 row_shr:2 row_mask:0xf bank_mask:0xf
	s_delay_alu instid0(VALU_DEP_1) | instskip(SKIP_1) | instid1(VALU_DEP_2)
	v_cndmask_b32_e64 v32, 0, v32, s15
	v_cmp_lt_u32_e64 s15, 3, v14
	v_add_nc_u32_e32 v31, v31, v32
	s_delay_alu instid0(VALU_DEP_1) | instskip(NEXT) | instid1(VALU_DEP_1)
	v_mov_b32_dpp v32, v31 row_shr:4 row_mask:0xf bank_mask:0xf
	v_cndmask_b32_e64 v32, 0, v32, s15
	v_cmp_lt_u32_e64 s15, 7, v14
	s_delay_alu instid0(VALU_DEP_2) | instskip(NEXT) | instid1(VALU_DEP_1)
	v_add_nc_u32_e32 v31, v31, v32
	v_mov_b32_dpp v32, v31 row_shr:8 row_mask:0xf bank_mask:0xf
	s_delay_alu instid0(VALU_DEP_1) | instskip(SKIP_1) | instid1(VALU_DEP_2)
	v_cndmask_b32_e64 v14, 0, v32, s15
	v_bfe_i32 v32, v1, 4, 1
	v_add_nc_u32_e32 v14, v31, v14
	ds_swizzle_b32 v31, v14 offset:swizzle(BROADCAST,32,15)
	s_wait_dscnt 0x0
	v_dual_lshrrev_b32 v31, 5, v0 :: v_dual_bitop2_b32 v32, v32, v31 bitop3:0x40
	s_delay_alu instid0(VALU_DEP_1)
	v_add_nc_u32_e32 v14, v14, v32
	v_cmpx_eq_u32_e64 v0, v33
; %bb.29:
	s_delay_alu instid0(VALU_DEP_3)
	v_lshlrev_b32_e32 v32, 2, v31
	ds_store_b32 v32, v14
; %bb.30:
	s_or_b32 exec_lo, exec_lo, s16
	s_delay_alu instid0(SALU_CYCLE_1)
	s_mov_b32 s16, exec_lo
	s_wait_dscnt 0x0
	s_barrier_signal -1
	s_barrier_wait -1
	v_cmpx_gt_u32_e32 8, v0
	s_cbranch_execz .LBB18_32
; %bb.31:
	ds_load_b32 v32, v30
	s_wait_dscnt 0x0
	v_mov_b32_dpp v34, v32 row_shr:1 row_mask:0xf bank_mask:0xf
	v_and_b32_e32 v33, 7, v1
	s_delay_alu instid0(VALU_DEP_1) | instskip(NEXT) | instid1(VALU_DEP_1)
	v_cmp_ne_u32_e64 s15, 0, v33
	v_cndmask_b32_e64 v34, 0, v34, s15
	v_cmp_lt_u32_e64 s15, 1, v33
	s_delay_alu instid0(VALU_DEP_2) | instskip(NEXT) | instid1(VALU_DEP_1)
	v_add_nc_u32_e32 v32, v34, v32
	v_mov_b32_dpp v34, v32 row_shr:2 row_mask:0xf bank_mask:0xf
	s_delay_alu instid0(VALU_DEP_1) | instskip(SKIP_1) | instid1(VALU_DEP_2)
	v_cndmask_b32_e64 v34, 0, v34, s15
	v_cmp_lt_u32_e64 s15, 3, v33
	v_add_nc_u32_e32 v32, v32, v34
	s_delay_alu instid0(VALU_DEP_1) | instskip(NEXT) | instid1(VALU_DEP_1)
	v_mov_b32_dpp v34, v32 row_shr:4 row_mask:0xf bank_mask:0xf
	v_cndmask_b32_e64 v33, 0, v34, s15
	s_delay_alu instid0(VALU_DEP_1)
	v_add_nc_u32_e32 v32, v32, v33
	ds_store_b32 v30, v32
.LBB18_32:
	s_or_b32 exec_lo, exec_lo, s16
	s_delay_alu instid0(SALU_CYCLE_1)
	s_mov_b32 s16, exec_lo
	s_wait_dscnt 0x0
	s_barrier_signal -1
	s_barrier_wait -1
                                        ; implicit-def: $vgpr32
	v_cmpx_lt_u32_e32 31, v0
	s_cbranch_execz .LBB18_34
; %bb.33:
	v_lshl_add_u32 v31, v31, 2, -4
	ds_load_b32 v32, v31
	s_wait_dscnt 0x0
	v_add_nc_u32_e32 v14, v32, v14
.LBB18_34:
	s_or_b32 exec_lo, exec_lo, s16
	v_add_nc_u32_e32 v31, -1, v1
	s_load_b64 s[16:17], s[0:1], 0x18
	s_wait_xcnt 0x0
	s_mov_b32 s1, exec_lo
	s_delay_alu instid0(VALU_DEP_1) | instskip(NEXT) | instid1(VALU_DEP_1)
	v_cmp_gt_i32_e64 s15, 0, v31
	v_cndmask_b32_e64 v31, v31, v1, s15
	s_delay_alu instid0(VALU_DEP_1)
	v_lshlrev_b32_e32 v31, 2, v31
	ds_bpermute_b32 v33, v31, v14
	v_mul_u32_u24_e32 v31, 52, v0
	v_mov_b32_e32 v14, v6
	v_cmpx_ne_u32_e32 0, v0
	s_cbranch_execz .LBB18_36
; %bb.35:
	v_cmp_eq_u32_e64 s0, 0, v1
	;;#ASMSTART
	;;#ASMEND
	s_wait_dscnt 0x0
	s_delay_alu instid0(VALU_DEP_1) | instskip(NEXT) | instid1(VALU_DEP_1)
	v_cndmask_b32_e64 v1, v33, v32, s0
	v_add_nc_u32_e32 v14, v1, v6
	s_delay_alu instid0(VALU_DEP_1) | instskip(NEXT) | instid1(VALU_DEP_1)
	v_add_nc_u32_e32 v15, v14, v7
	v_add_nc_u32_e32 v18, v15, v8
	s_delay_alu instid0(VALU_DEP_1) | instskip(NEXT) | instid1(VALU_DEP_1)
	v_add_nc_u32_e32 v19, v18, v9
	;; [unrolled: 3-line block ×6, first 2 shown]
	v_add_nc_u32_e32 v26, v25, v28
	s_delay_alu instid0(VALU_DEP_1)
	v_add_nc_u32_e32 v27, v26, v29
.LBB18_36:
	s_or_b32 exec_lo, exec_lo, s1
	v_dual_add_nc_u32 v1, v30, v31 :: v_dual_lshlrev_b32 v0, 2, v0
	s_wait_dscnt 0x0
	s_barrier_signal -1
	s_barrier_wait -1
	ds_store_2addr_b64 v1, v[14:15], v[18:19] offset1:1
	ds_store_2addr_b64 v1, v[16:17], v[22:23] offset0:2 offset1:3
	ds_store_2addr_b64 v1, v[20:21], v[24:25] offset0:4 offset1:5
	ds_store_b64 v1, v[26:27] offset:48
	s_wait_dscnt 0x0
	s_barrier_signal -1
	s_barrier_wait -1
	ds_load_2addr_stride64_b32 v[12:13], v30 offset0:4 offset1:8
	ds_load_2addr_stride64_b32 v[10:11], v30 offset0:12 offset1:16
	;; [unrolled: 1-line block ×6, first 2 shown]
	ds_load_b32 v14, v30 offset:13312
	v_mov_b32_e32 v1, 0
	s_wait_kmcnt 0x0
	s_delay_alu instid0(VALU_DEP_1)
	v_add_nc_u64_e32 v[0:1], s[16:17], v[0:1]
	s_and_saveexec_b32 s0, vcc_lo
	s_cbranch_execnz .LBB18_51
; %bb.37:
	s_or_b32 exec_lo, exec_lo, s0
	s_and_saveexec_b32 s0, s2
	s_cbranch_execnz .LBB18_52
.LBB18_38:
	s_or_b32 exec_lo, exec_lo, s0
	s_and_saveexec_b32 s0, s3
	s_cbranch_execnz .LBB18_53
.LBB18_39:
	s_or_b32 exec_lo, exec_lo, s0
	s_and_saveexec_b32 s0, s4
	s_cbranch_execnz .LBB18_54
.LBB18_40:
	s_or_b32 exec_lo, exec_lo, s0
	s_and_saveexec_b32 s0, s5
	s_cbranch_execnz .LBB18_55
.LBB18_41:
	s_or_b32 exec_lo, exec_lo, s0
	s_and_saveexec_b32 s0, s6
	s_cbranch_execnz .LBB18_56
.LBB18_42:
	s_or_b32 exec_lo, exec_lo, s0
	s_and_saveexec_b32 s0, s7
	s_cbranch_execnz .LBB18_57
.LBB18_43:
	s_or_b32 exec_lo, exec_lo, s0
	s_and_saveexec_b32 s0, s8
	s_cbranch_execnz .LBB18_58
.LBB18_44:
	s_or_b32 exec_lo, exec_lo, s0
	s_and_saveexec_b32 s0, s9
	s_cbranch_execnz .LBB18_59
.LBB18_45:
	s_or_b32 exec_lo, exec_lo, s0
	s_and_saveexec_b32 s0, s10
	s_cbranch_execnz .LBB18_60
.LBB18_46:
	s_or_b32 exec_lo, exec_lo, s0
	s_and_saveexec_b32 s0, s11
	s_cbranch_execnz .LBB18_61
.LBB18_47:
	s_or_b32 exec_lo, exec_lo, s0
	s_and_saveexec_b32 s0, s12
	s_cbranch_execnz .LBB18_62
.LBB18_48:
	s_or_b32 exec_lo, exec_lo, s0
	s_and_saveexec_b32 s0, s13
	s_cbranch_execnz .LBB18_63
.LBB18_49:
	s_or_b32 exec_lo, exec_lo, s0
	s_and_saveexec_b32 s0, s14
	s_cbranch_execnz .LBB18_64
.LBB18_50:
	s_endpgm
.LBB18_51:
	ds_load_b32 v15, v30
	s_wait_dscnt 0x0
	global_store_b32 v[0:1], v15, off
	s_wait_xcnt 0x0
	s_or_b32 exec_lo, exec_lo, s0
	s_and_saveexec_b32 s0, s2
	s_cbranch_execz .LBB18_38
.LBB18_52:
	s_wait_dscnt 0x6
	global_store_b32 v[0:1], v12, off offset:1024
	s_wait_xcnt 0x0
	s_or_b32 exec_lo, exec_lo, s0
	s_and_saveexec_b32 s0, s3
	s_cbranch_execz .LBB18_39
.LBB18_53:
	s_wait_dscnt 0x6
	global_store_b32 v[0:1], v13, off offset:2048
	s_wait_xcnt 0x0
	s_or_b32 exec_lo, exec_lo, s0
	s_and_saveexec_b32 s0, s4
	s_cbranch_execz .LBB18_40
.LBB18_54:
	s_wait_dscnt 0x5
	global_store_b32 v[0:1], v10, off offset:3072
	s_wait_xcnt 0x0
	s_or_b32 exec_lo, exec_lo, s0
	s_and_saveexec_b32 s0, s5
	s_cbranch_execz .LBB18_41
.LBB18_55:
	s_wait_dscnt 0x5
	global_store_b32 v[0:1], v11, off offset:4096
	s_wait_xcnt 0x0
	s_or_b32 exec_lo, exec_lo, s0
	s_and_saveexec_b32 s0, s6
	s_cbranch_execz .LBB18_42
.LBB18_56:
	s_wait_dscnt 0x4
	global_store_b32 v[0:1], v8, off offset:5120
	s_wait_xcnt 0x0
	s_or_b32 exec_lo, exec_lo, s0
	s_and_saveexec_b32 s0, s7
	s_cbranch_execz .LBB18_43
.LBB18_57:
	s_wait_dscnt 0x4
	global_store_b32 v[0:1], v9, off offset:6144
	s_wait_xcnt 0x0
	s_or_b32 exec_lo, exec_lo, s0
	s_and_saveexec_b32 s0, s8
	s_cbranch_execz .LBB18_44
.LBB18_58:
	s_wait_dscnt 0x3
	global_store_b32 v[0:1], v6, off offset:7168
	s_wait_xcnt 0x0
	s_or_b32 exec_lo, exec_lo, s0
	s_and_saveexec_b32 s0, s9
	s_cbranch_execz .LBB18_45
.LBB18_59:
	s_wait_dscnt 0x3
	global_store_b32 v[0:1], v7, off offset:8192
	s_wait_xcnt 0x0
	s_or_b32 exec_lo, exec_lo, s0
	s_and_saveexec_b32 s0, s10
	s_cbranch_execz .LBB18_46
.LBB18_60:
	s_wait_dscnt 0x2
	global_store_b32 v[0:1], v4, off offset:9216
	s_wait_xcnt 0x0
	s_or_b32 exec_lo, exec_lo, s0
	s_and_saveexec_b32 s0, s11
	s_cbranch_execz .LBB18_47
.LBB18_61:
	s_wait_dscnt 0x2
	global_store_b32 v[0:1], v5, off offset:10240
	s_wait_xcnt 0x0
	s_or_b32 exec_lo, exec_lo, s0
	s_and_saveexec_b32 s0, s12
	s_cbranch_execz .LBB18_48
.LBB18_62:
	s_wait_dscnt 0x1
	global_store_b32 v[0:1], v2, off offset:11264
	s_wait_xcnt 0x0
	s_or_b32 exec_lo, exec_lo, s0
	s_and_saveexec_b32 s0, s13
	s_cbranch_execz .LBB18_49
.LBB18_63:
	s_wait_dscnt 0x1
	global_store_b32 v[0:1], v3, off offset:12288
	s_wait_xcnt 0x0
	s_or_b32 exec_lo, exec_lo, s0
	s_and_saveexec_b32 s0, s14
	s_cbranch_execz .LBB18_50
.LBB18_64:
	s_wait_dscnt 0x0
	global_store_b32 v[0:1], v14, off offset:13312
	s_endpgm
	.section	.rodata,"a",@progbits
	.p2align	6, 0x0
	.amdhsa_kernel _ZN7rocprim17ROCPRIM_400000_NS6detail17trampoline_kernelINS0_14default_configENS1_20scan_config_selectorIiEEZZNS1_9scan_implILNS1_25lookback_scan_determinismE0ELb0ELb0ES3_N6thrust23THRUST_200600_302600_NS6detail15normal_iteratorINS9_10device_ptrIiEEEESE_iNS9_4plusIvEEiEEDaPvRmT3_T4_T5_mT6_P12ihipStream_tbENKUlT_T0_E_clISt17integral_constantIbLb0EESU_EEDaSP_SQ_EUlSP_E0_NS1_11comp_targetILNS1_3genE0ELNS1_11target_archE4294967295ELNS1_3gpuE0ELNS1_3repE0EEENS1_30default_config_static_selectorELNS0_4arch9wavefront6targetE0EEEvT1_
		.amdhsa_group_segment_fixed_size 14336
		.amdhsa_private_segment_fixed_size 0
		.amdhsa_kernarg_size 32
		.amdhsa_user_sgpr_count 2
		.amdhsa_user_sgpr_dispatch_ptr 0
		.amdhsa_user_sgpr_queue_ptr 0
		.amdhsa_user_sgpr_kernarg_segment_ptr 1
		.amdhsa_user_sgpr_dispatch_id 0
		.amdhsa_user_sgpr_kernarg_preload_length 0
		.amdhsa_user_sgpr_kernarg_preload_offset 0
		.amdhsa_user_sgpr_private_segment_size 0
		.amdhsa_wavefront_size32 1
		.amdhsa_uses_dynamic_stack 0
		.amdhsa_enable_private_segment 0
		.amdhsa_system_sgpr_workgroup_id_x 1
		.amdhsa_system_sgpr_workgroup_id_y 0
		.amdhsa_system_sgpr_workgroup_id_z 0
		.amdhsa_system_sgpr_workgroup_info 0
		.amdhsa_system_vgpr_workitem_id 0
		.amdhsa_next_free_vgpr 35
		.amdhsa_next_free_sgpr 20
		.amdhsa_named_barrier_count 0
		.amdhsa_reserve_vcc 1
		.amdhsa_float_round_mode_32 0
		.amdhsa_float_round_mode_16_64 0
		.amdhsa_float_denorm_mode_32 3
		.amdhsa_float_denorm_mode_16_64 3
		.amdhsa_fp16_overflow 0
		.amdhsa_memory_ordered 1
		.amdhsa_forward_progress 1
		.amdhsa_inst_pref_size 19
		.amdhsa_round_robin_scheduling 0
		.amdhsa_exception_fp_ieee_invalid_op 0
		.amdhsa_exception_fp_denorm_src 0
		.amdhsa_exception_fp_ieee_div_zero 0
		.amdhsa_exception_fp_ieee_overflow 0
		.amdhsa_exception_fp_ieee_underflow 0
		.amdhsa_exception_fp_ieee_inexact 0
		.amdhsa_exception_int_div_zero 0
	.end_amdhsa_kernel
	.section	.text._ZN7rocprim17ROCPRIM_400000_NS6detail17trampoline_kernelINS0_14default_configENS1_20scan_config_selectorIiEEZZNS1_9scan_implILNS1_25lookback_scan_determinismE0ELb0ELb0ES3_N6thrust23THRUST_200600_302600_NS6detail15normal_iteratorINS9_10device_ptrIiEEEESE_iNS9_4plusIvEEiEEDaPvRmT3_T4_T5_mT6_P12ihipStream_tbENKUlT_T0_E_clISt17integral_constantIbLb0EESU_EEDaSP_SQ_EUlSP_E0_NS1_11comp_targetILNS1_3genE0ELNS1_11target_archE4294967295ELNS1_3gpuE0ELNS1_3repE0EEENS1_30default_config_static_selectorELNS0_4arch9wavefront6targetE0EEEvT1_,"axG",@progbits,_ZN7rocprim17ROCPRIM_400000_NS6detail17trampoline_kernelINS0_14default_configENS1_20scan_config_selectorIiEEZZNS1_9scan_implILNS1_25lookback_scan_determinismE0ELb0ELb0ES3_N6thrust23THRUST_200600_302600_NS6detail15normal_iteratorINS9_10device_ptrIiEEEESE_iNS9_4plusIvEEiEEDaPvRmT3_T4_T5_mT6_P12ihipStream_tbENKUlT_T0_E_clISt17integral_constantIbLb0EESU_EEDaSP_SQ_EUlSP_E0_NS1_11comp_targetILNS1_3genE0ELNS1_11target_archE4294967295ELNS1_3gpuE0ELNS1_3repE0EEENS1_30default_config_static_selectorELNS0_4arch9wavefront6targetE0EEEvT1_,comdat
.Lfunc_end18:
	.size	_ZN7rocprim17ROCPRIM_400000_NS6detail17trampoline_kernelINS0_14default_configENS1_20scan_config_selectorIiEEZZNS1_9scan_implILNS1_25lookback_scan_determinismE0ELb0ELb0ES3_N6thrust23THRUST_200600_302600_NS6detail15normal_iteratorINS9_10device_ptrIiEEEESE_iNS9_4plusIvEEiEEDaPvRmT3_T4_T5_mT6_P12ihipStream_tbENKUlT_T0_E_clISt17integral_constantIbLb0EESU_EEDaSP_SQ_EUlSP_E0_NS1_11comp_targetILNS1_3genE0ELNS1_11target_archE4294967295ELNS1_3gpuE0ELNS1_3repE0EEENS1_30default_config_static_selectorELNS0_4arch9wavefront6targetE0EEEvT1_, .Lfunc_end18-_ZN7rocprim17ROCPRIM_400000_NS6detail17trampoline_kernelINS0_14default_configENS1_20scan_config_selectorIiEEZZNS1_9scan_implILNS1_25lookback_scan_determinismE0ELb0ELb0ES3_N6thrust23THRUST_200600_302600_NS6detail15normal_iteratorINS9_10device_ptrIiEEEESE_iNS9_4plusIvEEiEEDaPvRmT3_T4_T5_mT6_P12ihipStream_tbENKUlT_T0_E_clISt17integral_constantIbLb0EESU_EEDaSP_SQ_EUlSP_E0_NS1_11comp_targetILNS1_3genE0ELNS1_11target_archE4294967295ELNS1_3gpuE0ELNS1_3repE0EEENS1_30default_config_static_selectorELNS0_4arch9wavefront6targetE0EEEvT1_
                                        ; -- End function
	.set _ZN7rocprim17ROCPRIM_400000_NS6detail17trampoline_kernelINS0_14default_configENS1_20scan_config_selectorIiEEZZNS1_9scan_implILNS1_25lookback_scan_determinismE0ELb0ELb0ES3_N6thrust23THRUST_200600_302600_NS6detail15normal_iteratorINS9_10device_ptrIiEEEESE_iNS9_4plusIvEEiEEDaPvRmT3_T4_T5_mT6_P12ihipStream_tbENKUlT_T0_E_clISt17integral_constantIbLb0EESU_EEDaSP_SQ_EUlSP_E0_NS1_11comp_targetILNS1_3genE0ELNS1_11target_archE4294967295ELNS1_3gpuE0ELNS1_3repE0EEENS1_30default_config_static_selectorELNS0_4arch9wavefront6targetE0EEEvT1_.num_vgpr, 35
	.set _ZN7rocprim17ROCPRIM_400000_NS6detail17trampoline_kernelINS0_14default_configENS1_20scan_config_selectorIiEEZZNS1_9scan_implILNS1_25lookback_scan_determinismE0ELb0ELb0ES3_N6thrust23THRUST_200600_302600_NS6detail15normal_iteratorINS9_10device_ptrIiEEEESE_iNS9_4plusIvEEiEEDaPvRmT3_T4_T5_mT6_P12ihipStream_tbENKUlT_T0_E_clISt17integral_constantIbLb0EESU_EEDaSP_SQ_EUlSP_E0_NS1_11comp_targetILNS1_3genE0ELNS1_11target_archE4294967295ELNS1_3gpuE0ELNS1_3repE0EEENS1_30default_config_static_selectorELNS0_4arch9wavefront6targetE0EEEvT1_.num_agpr, 0
	.set _ZN7rocprim17ROCPRIM_400000_NS6detail17trampoline_kernelINS0_14default_configENS1_20scan_config_selectorIiEEZZNS1_9scan_implILNS1_25lookback_scan_determinismE0ELb0ELb0ES3_N6thrust23THRUST_200600_302600_NS6detail15normal_iteratorINS9_10device_ptrIiEEEESE_iNS9_4plusIvEEiEEDaPvRmT3_T4_T5_mT6_P12ihipStream_tbENKUlT_T0_E_clISt17integral_constantIbLb0EESU_EEDaSP_SQ_EUlSP_E0_NS1_11comp_targetILNS1_3genE0ELNS1_11target_archE4294967295ELNS1_3gpuE0ELNS1_3repE0EEENS1_30default_config_static_selectorELNS0_4arch9wavefront6targetE0EEEvT1_.numbered_sgpr, 20
	.set _ZN7rocprim17ROCPRIM_400000_NS6detail17trampoline_kernelINS0_14default_configENS1_20scan_config_selectorIiEEZZNS1_9scan_implILNS1_25lookback_scan_determinismE0ELb0ELb0ES3_N6thrust23THRUST_200600_302600_NS6detail15normal_iteratorINS9_10device_ptrIiEEEESE_iNS9_4plusIvEEiEEDaPvRmT3_T4_T5_mT6_P12ihipStream_tbENKUlT_T0_E_clISt17integral_constantIbLb0EESU_EEDaSP_SQ_EUlSP_E0_NS1_11comp_targetILNS1_3genE0ELNS1_11target_archE4294967295ELNS1_3gpuE0ELNS1_3repE0EEENS1_30default_config_static_selectorELNS0_4arch9wavefront6targetE0EEEvT1_.num_named_barrier, 0
	.set _ZN7rocprim17ROCPRIM_400000_NS6detail17trampoline_kernelINS0_14default_configENS1_20scan_config_selectorIiEEZZNS1_9scan_implILNS1_25lookback_scan_determinismE0ELb0ELb0ES3_N6thrust23THRUST_200600_302600_NS6detail15normal_iteratorINS9_10device_ptrIiEEEESE_iNS9_4plusIvEEiEEDaPvRmT3_T4_T5_mT6_P12ihipStream_tbENKUlT_T0_E_clISt17integral_constantIbLb0EESU_EEDaSP_SQ_EUlSP_E0_NS1_11comp_targetILNS1_3genE0ELNS1_11target_archE4294967295ELNS1_3gpuE0ELNS1_3repE0EEENS1_30default_config_static_selectorELNS0_4arch9wavefront6targetE0EEEvT1_.private_seg_size, 0
	.set _ZN7rocprim17ROCPRIM_400000_NS6detail17trampoline_kernelINS0_14default_configENS1_20scan_config_selectorIiEEZZNS1_9scan_implILNS1_25lookback_scan_determinismE0ELb0ELb0ES3_N6thrust23THRUST_200600_302600_NS6detail15normal_iteratorINS9_10device_ptrIiEEEESE_iNS9_4plusIvEEiEEDaPvRmT3_T4_T5_mT6_P12ihipStream_tbENKUlT_T0_E_clISt17integral_constantIbLb0EESU_EEDaSP_SQ_EUlSP_E0_NS1_11comp_targetILNS1_3genE0ELNS1_11target_archE4294967295ELNS1_3gpuE0ELNS1_3repE0EEENS1_30default_config_static_selectorELNS0_4arch9wavefront6targetE0EEEvT1_.uses_vcc, 1
	.set _ZN7rocprim17ROCPRIM_400000_NS6detail17trampoline_kernelINS0_14default_configENS1_20scan_config_selectorIiEEZZNS1_9scan_implILNS1_25lookback_scan_determinismE0ELb0ELb0ES3_N6thrust23THRUST_200600_302600_NS6detail15normal_iteratorINS9_10device_ptrIiEEEESE_iNS9_4plusIvEEiEEDaPvRmT3_T4_T5_mT6_P12ihipStream_tbENKUlT_T0_E_clISt17integral_constantIbLb0EESU_EEDaSP_SQ_EUlSP_E0_NS1_11comp_targetILNS1_3genE0ELNS1_11target_archE4294967295ELNS1_3gpuE0ELNS1_3repE0EEENS1_30default_config_static_selectorELNS0_4arch9wavefront6targetE0EEEvT1_.uses_flat_scratch, 0
	.set _ZN7rocprim17ROCPRIM_400000_NS6detail17trampoline_kernelINS0_14default_configENS1_20scan_config_selectorIiEEZZNS1_9scan_implILNS1_25lookback_scan_determinismE0ELb0ELb0ES3_N6thrust23THRUST_200600_302600_NS6detail15normal_iteratorINS9_10device_ptrIiEEEESE_iNS9_4plusIvEEiEEDaPvRmT3_T4_T5_mT6_P12ihipStream_tbENKUlT_T0_E_clISt17integral_constantIbLb0EESU_EEDaSP_SQ_EUlSP_E0_NS1_11comp_targetILNS1_3genE0ELNS1_11target_archE4294967295ELNS1_3gpuE0ELNS1_3repE0EEENS1_30default_config_static_selectorELNS0_4arch9wavefront6targetE0EEEvT1_.has_dyn_sized_stack, 0
	.set _ZN7rocprim17ROCPRIM_400000_NS6detail17trampoline_kernelINS0_14default_configENS1_20scan_config_selectorIiEEZZNS1_9scan_implILNS1_25lookback_scan_determinismE0ELb0ELb0ES3_N6thrust23THRUST_200600_302600_NS6detail15normal_iteratorINS9_10device_ptrIiEEEESE_iNS9_4plusIvEEiEEDaPvRmT3_T4_T5_mT6_P12ihipStream_tbENKUlT_T0_E_clISt17integral_constantIbLb0EESU_EEDaSP_SQ_EUlSP_E0_NS1_11comp_targetILNS1_3genE0ELNS1_11target_archE4294967295ELNS1_3gpuE0ELNS1_3repE0EEENS1_30default_config_static_selectorELNS0_4arch9wavefront6targetE0EEEvT1_.has_recursion, 0
	.set _ZN7rocprim17ROCPRIM_400000_NS6detail17trampoline_kernelINS0_14default_configENS1_20scan_config_selectorIiEEZZNS1_9scan_implILNS1_25lookback_scan_determinismE0ELb0ELb0ES3_N6thrust23THRUST_200600_302600_NS6detail15normal_iteratorINS9_10device_ptrIiEEEESE_iNS9_4plusIvEEiEEDaPvRmT3_T4_T5_mT6_P12ihipStream_tbENKUlT_T0_E_clISt17integral_constantIbLb0EESU_EEDaSP_SQ_EUlSP_E0_NS1_11comp_targetILNS1_3genE0ELNS1_11target_archE4294967295ELNS1_3gpuE0ELNS1_3repE0EEENS1_30default_config_static_selectorELNS0_4arch9wavefront6targetE0EEEvT1_.has_indirect_call, 0
	.section	.AMDGPU.csdata,"",@progbits
; Kernel info:
; codeLenInByte = 2348
; TotalNumSgprs: 22
; NumVgprs: 35
; ScratchSize: 0
; MemoryBound: 0
; FloatMode: 240
; IeeeMode: 1
; LDSByteSize: 14336 bytes/workgroup (compile time only)
; SGPRBlocks: 0
; VGPRBlocks: 2
; NumSGPRsForWavesPerEU: 22
; NumVGPRsForWavesPerEU: 35
; NamedBarCnt: 0
; Occupancy: 16
; WaveLimiterHint : 0
; COMPUTE_PGM_RSRC2:SCRATCH_EN: 0
; COMPUTE_PGM_RSRC2:USER_SGPR: 2
; COMPUTE_PGM_RSRC2:TRAP_HANDLER: 0
; COMPUTE_PGM_RSRC2:TGID_X_EN: 1
; COMPUTE_PGM_RSRC2:TGID_Y_EN: 0
; COMPUTE_PGM_RSRC2:TGID_Z_EN: 0
; COMPUTE_PGM_RSRC2:TIDIG_COMP_CNT: 0
	.section	.text._ZN7rocprim17ROCPRIM_400000_NS6detail17trampoline_kernelINS0_14default_configENS1_20scan_config_selectorIiEEZZNS1_9scan_implILNS1_25lookback_scan_determinismE0ELb0ELb0ES3_N6thrust23THRUST_200600_302600_NS6detail15normal_iteratorINS9_10device_ptrIiEEEESE_iNS9_4plusIvEEiEEDaPvRmT3_T4_T5_mT6_P12ihipStream_tbENKUlT_T0_E_clISt17integral_constantIbLb0EESU_EEDaSP_SQ_EUlSP_E0_NS1_11comp_targetILNS1_3genE5ELNS1_11target_archE942ELNS1_3gpuE9ELNS1_3repE0EEENS1_30default_config_static_selectorELNS0_4arch9wavefront6targetE0EEEvT1_,"axG",@progbits,_ZN7rocprim17ROCPRIM_400000_NS6detail17trampoline_kernelINS0_14default_configENS1_20scan_config_selectorIiEEZZNS1_9scan_implILNS1_25lookback_scan_determinismE0ELb0ELb0ES3_N6thrust23THRUST_200600_302600_NS6detail15normal_iteratorINS9_10device_ptrIiEEEESE_iNS9_4plusIvEEiEEDaPvRmT3_T4_T5_mT6_P12ihipStream_tbENKUlT_T0_E_clISt17integral_constantIbLb0EESU_EEDaSP_SQ_EUlSP_E0_NS1_11comp_targetILNS1_3genE5ELNS1_11target_archE942ELNS1_3gpuE9ELNS1_3repE0EEENS1_30default_config_static_selectorELNS0_4arch9wavefront6targetE0EEEvT1_,comdat
	.protected	_ZN7rocprim17ROCPRIM_400000_NS6detail17trampoline_kernelINS0_14default_configENS1_20scan_config_selectorIiEEZZNS1_9scan_implILNS1_25lookback_scan_determinismE0ELb0ELb0ES3_N6thrust23THRUST_200600_302600_NS6detail15normal_iteratorINS9_10device_ptrIiEEEESE_iNS9_4plusIvEEiEEDaPvRmT3_T4_T5_mT6_P12ihipStream_tbENKUlT_T0_E_clISt17integral_constantIbLb0EESU_EEDaSP_SQ_EUlSP_E0_NS1_11comp_targetILNS1_3genE5ELNS1_11target_archE942ELNS1_3gpuE9ELNS1_3repE0EEENS1_30default_config_static_selectorELNS0_4arch9wavefront6targetE0EEEvT1_ ; -- Begin function _ZN7rocprim17ROCPRIM_400000_NS6detail17trampoline_kernelINS0_14default_configENS1_20scan_config_selectorIiEEZZNS1_9scan_implILNS1_25lookback_scan_determinismE0ELb0ELb0ES3_N6thrust23THRUST_200600_302600_NS6detail15normal_iteratorINS9_10device_ptrIiEEEESE_iNS9_4plusIvEEiEEDaPvRmT3_T4_T5_mT6_P12ihipStream_tbENKUlT_T0_E_clISt17integral_constantIbLb0EESU_EEDaSP_SQ_EUlSP_E0_NS1_11comp_targetILNS1_3genE5ELNS1_11target_archE942ELNS1_3gpuE9ELNS1_3repE0EEENS1_30default_config_static_selectorELNS0_4arch9wavefront6targetE0EEEvT1_
	.globl	_ZN7rocprim17ROCPRIM_400000_NS6detail17trampoline_kernelINS0_14default_configENS1_20scan_config_selectorIiEEZZNS1_9scan_implILNS1_25lookback_scan_determinismE0ELb0ELb0ES3_N6thrust23THRUST_200600_302600_NS6detail15normal_iteratorINS9_10device_ptrIiEEEESE_iNS9_4plusIvEEiEEDaPvRmT3_T4_T5_mT6_P12ihipStream_tbENKUlT_T0_E_clISt17integral_constantIbLb0EESU_EEDaSP_SQ_EUlSP_E0_NS1_11comp_targetILNS1_3genE5ELNS1_11target_archE942ELNS1_3gpuE9ELNS1_3repE0EEENS1_30default_config_static_selectorELNS0_4arch9wavefront6targetE0EEEvT1_
	.p2align	8
	.type	_ZN7rocprim17ROCPRIM_400000_NS6detail17trampoline_kernelINS0_14default_configENS1_20scan_config_selectorIiEEZZNS1_9scan_implILNS1_25lookback_scan_determinismE0ELb0ELb0ES3_N6thrust23THRUST_200600_302600_NS6detail15normal_iteratorINS9_10device_ptrIiEEEESE_iNS9_4plusIvEEiEEDaPvRmT3_T4_T5_mT6_P12ihipStream_tbENKUlT_T0_E_clISt17integral_constantIbLb0EESU_EEDaSP_SQ_EUlSP_E0_NS1_11comp_targetILNS1_3genE5ELNS1_11target_archE942ELNS1_3gpuE9ELNS1_3repE0EEENS1_30default_config_static_selectorELNS0_4arch9wavefront6targetE0EEEvT1_,@function
_ZN7rocprim17ROCPRIM_400000_NS6detail17trampoline_kernelINS0_14default_configENS1_20scan_config_selectorIiEEZZNS1_9scan_implILNS1_25lookback_scan_determinismE0ELb0ELb0ES3_N6thrust23THRUST_200600_302600_NS6detail15normal_iteratorINS9_10device_ptrIiEEEESE_iNS9_4plusIvEEiEEDaPvRmT3_T4_T5_mT6_P12ihipStream_tbENKUlT_T0_E_clISt17integral_constantIbLb0EESU_EEDaSP_SQ_EUlSP_E0_NS1_11comp_targetILNS1_3genE5ELNS1_11target_archE942ELNS1_3gpuE9ELNS1_3repE0EEENS1_30default_config_static_selectorELNS0_4arch9wavefront6targetE0EEEvT1_: ; @_ZN7rocprim17ROCPRIM_400000_NS6detail17trampoline_kernelINS0_14default_configENS1_20scan_config_selectorIiEEZZNS1_9scan_implILNS1_25lookback_scan_determinismE0ELb0ELb0ES3_N6thrust23THRUST_200600_302600_NS6detail15normal_iteratorINS9_10device_ptrIiEEEESE_iNS9_4plusIvEEiEEDaPvRmT3_T4_T5_mT6_P12ihipStream_tbENKUlT_T0_E_clISt17integral_constantIbLb0EESU_EEDaSP_SQ_EUlSP_E0_NS1_11comp_targetILNS1_3genE5ELNS1_11target_archE942ELNS1_3gpuE9ELNS1_3repE0EEENS1_30default_config_static_selectorELNS0_4arch9wavefront6targetE0EEEvT1_
; %bb.0:
	.section	.rodata,"a",@progbits
	.p2align	6, 0x0
	.amdhsa_kernel _ZN7rocprim17ROCPRIM_400000_NS6detail17trampoline_kernelINS0_14default_configENS1_20scan_config_selectorIiEEZZNS1_9scan_implILNS1_25lookback_scan_determinismE0ELb0ELb0ES3_N6thrust23THRUST_200600_302600_NS6detail15normal_iteratorINS9_10device_ptrIiEEEESE_iNS9_4plusIvEEiEEDaPvRmT3_T4_T5_mT6_P12ihipStream_tbENKUlT_T0_E_clISt17integral_constantIbLb0EESU_EEDaSP_SQ_EUlSP_E0_NS1_11comp_targetILNS1_3genE5ELNS1_11target_archE942ELNS1_3gpuE9ELNS1_3repE0EEENS1_30default_config_static_selectorELNS0_4arch9wavefront6targetE0EEEvT1_
		.amdhsa_group_segment_fixed_size 0
		.amdhsa_private_segment_fixed_size 0
		.amdhsa_kernarg_size 32
		.amdhsa_user_sgpr_count 2
		.amdhsa_user_sgpr_dispatch_ptr 0
		.amdhsa_user_sgpr_queue_ptr 0
		.amdhsa_user_sgpr_kernarg_segment_ptr 1
		.amdhsa_user_sgpr_dispatch_id 0
		.amdhsa_user_sgpr_kernarg_preload_length 0
		.amdhsa_user_sgpr_kernarg_preload_offset 0
		.amdhsa_user_sgpr_private_segment_size 0
		.amdhsa_wavefront_size32 1
		.amdhsa_uses_dynamic_stack 0
		.amdhsa_enable_private_segment 0
		.amdhsa_system_sgpr_workgroup_id_x 1
		.amdhsa_system_sgpr_workgroup_id_y 0
		.amdhsa_system_sgpr_workgroup_id_z 0
		.amdhsa_system_sgpr_workgroup_info 0
		.amdhsa_system_vgpr_workitem_id 0
		.amdhsa_next_free_vgpr 1
		.amdhsa_next_free_sgpr 1
		.amdhsa_named_barrier_count 0
		.amdhsa_reserve_vcc 0
		.amdhsa_float_round_mode_32 0
		.amdhsa_float_round_mode_16_64 0
		.amdhsa_float_denorm_mode_32 3
		.amdhsa_float_denorm_mode_16_64 3
		.amdhsa_fp16_overflow 0
		.amdhsa_memory_ordered 1
		.amdhsa_forward_progress 1
		.amdhsa_inst_pref_size 0
		.amdhsa_round_robin_scheduling 0
		.amdhsa_exception_fp_ieee_invalid_op 0
		.amdhsa_exception_fp_denorm_src 0
		.amdhsa_exception_fp_ieee_div_zero 0
		.amdhsa_exception_fp_ieee_overflow 0
		.amdhsa_exception_fp_ieee_underflow 0
		.amdhsa_exception_fp_ieee_inexact 0
		.amdhsa_exception_int_div_zero 0
	.end_amdhsa_kernel
	.section	.text._ZN7rocprim17ROCPRIM_400000_NS6detail17trampoline_kernelINS0_14default_configENS1_20scan_config_selectorIiEEZZNS1_9scan_implILNS1_25lookback_scan_determinismE0ELb0ELb0ES3_N6thrust23THRUST_200600_302600_NS6detail15normal_iteratorINS9_10device_ptrIiEEEESE_iNS9_4plusIvEEiEEDaPvRmT3_T4_T5_mT6_P12ihipStream_tbENKUlT_T0_E_clISt17integral_constantIbLb0EESU_EEDaSP_SQ_EUlSP_E0_NS1_11comp_targetILNS1_3genE5ELNS1_11target_archE942ELNS1_3gpuE9ELNS1_3repE0EEENS1_30default_config_static_selectorELNS0_4arch9wavefront6targetE0EEEvT1_,"axG",@progbits,_ZN7rocprim17ROCPRIM_400000_NS6detail17trampoline_kernelINS0_14default_configENS1_20scan_config_selectorIiEEZZNS1_9scan_implILNS1_25lookback_scan_determinismE0ELb0ELb0ES3_N6thrust23THRUST_200600_302600_NS6detail15normal_iteratorINS9_10device_ptrIiEEEESE_iNS9_4plusIvEEiEEDaPvRmT3_T4_T5_mT6_P12ihipStream_tbENKUlT_T0_E_clISt17integral_constantIbLb0EESU_EEDaSP_SQ_EUlSP_E0_NS1_11comp_targetILNS1_3genE5ELNS1_11target_archE942ELNS1_3gpuE9ELNS1_3repE0EEENS1_30default_config_static_selectorELNS0_4arch9wavefront6targetE0EEEvT1_,comdat
.Lfunc_end19:
	.size	_ZN7rocprim17ROCPRIM_400000_NS6detail17trampoline_kernelINS0_14default_configENS1_20scan_config_selectorIiEEZZNS1_9scan_implILNS1_25lookback_scan_determinismE0ELb0ELb0ES3_N6thrust23THRUST_200600_302600_NS6detail15normal_iteratorINS9_10device_ptrIiEEEESE_iNS9_4plusIvEEiEEDaPvRmT3_T4_T5_mT6_P12ihipStream_tbENKUlT_T0_E_clISt17integral_constantIbLb0EESU_EEDaSP_SQ_EUlSP_E0_NS1_11comp_targetILNS1_3genE5ELNS1_11target_archE942ELNS1_3gpuE9ELNS1_3repE0EEENS1_30default_config_static_selectorELNS0_4arch9wavefront6targetE0EEEvT1_, .Lfunc_end19-_ZN7rocprim17ROCPRIM_400000_NS6detail17trampoline_kernelINS0_14default_configENS1_20scan_config_selectorIiEEZZNS1_9scan_implILNS1_25lookback_scan_determinismE0ELb0ELb0ES3_N6thrust23THRUST_200600_302600_NS6detail15normal_iteratorINS9_10device_ptrIiEEEESE_iNS9_4plusIvEEiEEDaPvRmT3_T4_T5_mT6_P12ihipStream_tbENKUlT_T0_E_clISt17integral_constantIbLb0EESU_EEDaSP_SQ_EUlSP_E0_NS1_11comp_targetILNS1_3genE5ELNS1_11target_archE942ELNS1_3gpuE9ELNS1_3repE0EEENS1_30default_config_static_selectorELNS0_4arch9wavefront6targetE0EEEvT1_
                                        ; -- End function
	.set _ZN7rocprim17ROCPRIM_400000_NS6detail17trampoline_kernelINS0_14default_configENS1_20scan_config_selectorIiEEZZNS1_9scan_implILNS1_25lookback_scan_determinismE0ELb0ELb0ES3_N6thrust23THRUST_200600_302600_NS6detail15normal_iteratorINS9_10device_ptrIiEEEESE_iNS9_4plusIvEEiEEDaPvRmT3_T4_T5_mT6_P12ihipStream_tbENKUlT_T0_E_clISt17integral_constantIbLb0EESU_EEDaSP_SQ_EUlSP_E0_NS1_11comp_targetILNS1_3genE5ELNS1_11target_archE942ELNS1_3gpuE9ELNS1_3repE0EEENS1_30default_config_static_selectorELNS0_4arch9wavefront6targetE0EEEvT1_.num_vgpr, 0
	.set _ZN7rocprim17ROCPRIM_400000_NS6detail17trampoline_kernelINS0_14default_configENS1_20scan_config_selectorIiEEZZNS1_9scan_implILNS1_25lookback_scan_determinismE0ELb0ELb0ES3_N6thrust23THRUST_200600_302600_NS6detail15normal_iteratorINS9_10device_ptrIiEEEESE_iNS9_4plusIvEEiEEDaPvRmT3_T4_T5_mT6_P12ihipStream_tbENKUlT_T0_E_clISt17integral_constantIbLb0EESU_EEDaSP_SQ_EUlSP_E0_NS1_11comp_targetILNS1_3genE5ELNS1_11target_archE942ELNS1_3gpuE9ELNS1_3repE0EEENS1_30default_config_static_selectorELNS0_4arch9wavefront6targetE0EEEvT1_.num_agpr, 0
	.set _ZN7rocprim17ROCPRIM_400000_NS6detail17trampoline_kernelINS0_14default_configENS1_20scan_config_selectorIiEEZZNS1_9scan_implILNS1_25lookback_scan_determinismE0ELb0ELb0ES3_N6thrust23THRUST_200600_302600_NS6detail15normal_iteratorINS9_10device_ptrIiEEEESE_iNS9_4plusIvEEiEEDaPvRmT3_T4_T5_mT6_P12ihipStream_tbENKUlT_T0_E_clISt17integral_constantIbLb0EESU_EEDaSP_SQ_EUlSP_E0_NS1_11comp_targetILNS1_3genE5ELNS1_11target_archE942ELNS1_3gpuE9ELNS1_3repE0EEENS1_30default_config_static_selectorELNS0_4arch9wavefront6targetE0EEEvT1_.numbered_sgpr, 0
	.set _ZN7rocprim17ROCPRIM_400000_NS6detail17trampoline_kernelINS0_14default_configENS1_20scan_config_selectorIiEEZZNS1_9scan_implILNS1_25lookback_scan_determinismE0ELb0ELb0ES3_N6thrust23THRUST_200600_302600_NS6detail15normal_iteratorINS9_10device_ptrIiEEEESE_iNS9_4plusIvEEiEEDaPvRmT3_T4_T5_mT6_P12ihipStream_tbENKUlT_T0_E_clISt17integral_constantIbLb0EESU_EEDaSP_SQ_EUlSP_E0_NS1_11comp_targetILNS1_3genE5ELNS1_11target_archE942ELNS1_3gpuE9ELNS1_3repE0EEENS1_30default_config_static_selectorELNS0_4arch9wavefront6targetE0EEEvT1_.num_named_barrier, 0
	.set _ZN7rocprim17ROCPRIM_400000_NS6detail17trampoline_kernelINS0_14default_configENS1_20scan_config_selectorIiEEZZNS1_9scan_implILNS1_25lookback_scan_determinismE0ELb0ELb0ES3_N6thrust23THRUST_200600_302600_NS6detail15normal_iteratorINS9_10device_ptrIiEEEESE_iNS9_4plusIvEEiEEDaPvRmT3_T4_T5_mT6_P12ihipStream_tbENKUlT_T0_E_clISt17integral_constantIbLb0EESU_EEDaSP_SQ_EUlSP_E0_NS1_11comp_targetILNS1_3genE5ELNS1_11target_archE942ELNS1_3gpuE9ELNS1_3repE0EEENS1_30default_config_static_selectorELNS0_4arch9wavefront6targetE0EEEvT1_.private_seg_size, 0
	.set _ZN7rocprim17ROCPRIM_400000_NS6detail17trampoline_kernelINS0_14default_configENS1_20scan_config_selectorIiEEZZNS1_9scan_implILNS1_25lookback_scan_determinismE0ELb0ELb0ES3_N6thrust23THRUST_200600_302600_NS6detail15normal_iteratorINS9_10device_ptrIiEEEESE_iNS9_4plusIvEEiEEDaPvRmT3_T4_T5_mT6_P12ihipStream_tbENKUlT_T0_E_clISt17integral_constantIbLb0EESU_EEDaSP_SQ_EUlSP_E0_NS1_11comp_targetILNS1_3genE5ELNS1_11target_archE942ELNS1_3gpuE9ELNS1_3repE0EEENS1_30default_config_static_selectorELNS0_4arch9wavefront6targetE0EEEvT1_.uses_vcc, 0
	.set _ZN7rocprim17ROCPRIM_400000_NS6detail17trampoline_kernelINS0_14default_configENS1_20scan_config_selectorIiEEZZNS1_9scan_implILNS1_25lookback_scan_determinismE0ELb0ELb0ES3_N6thrust23THRUST_200600_302600_NS6detail15normal_iteratorINS9_10device_ptrIiEEEESE_iNS9_4plusIvEEiEEDaPvRmT3_T4_T5_mT6_P12ihipStream_tbENKUlT_T0_E_clISt17integral_constantIbLb0EESU_EEDaSP_SQ_EUlSP_E0_NS1_11comp_targetILNS1_3genE5ELNS1_11target_archE942ELNS1_3gpuE9ELNS1_3repE0EEENS1_30default_config_static_selectorELNS0_4arch9wavefront6targetE0EEEvT1_.uses_flat_scratch, 0
	.set _ZN7rocprim17ROCPRIM_400000_NS6detail17trampoline_kernelINS0_14default_configENS1_20scan_config_selectorIiEEZZNS1_9scan_implILNS1_25lookback_scan_determinismE0ELb0ELb0ES3_N6thrust23THRUST_200600_302600_NS6detail15normal_iteratorINS9_10device_ptrIiEEEESE_iNS9_4plusIvEEiEEDaPvRmT3_T4_T5_mT6_P12ihipStream_tbENKUlT_T0_E_clISt17integral_constantIbLb0EESU_EEDaSP_SQ_EUlSP_E0_NS1_11comp_targetILNS1_3genE5ELNS1_11target_archE942ELNS1_3gpuE9ELNS1_3repE0EEENS1_30default_config_static_selectorELNS0_4arch9wavefront6targetE0EEEvT1_.has_dyn_sized_stack, 0
	.set _ZN7rocprim17ROCPRIM_400000_NS6detail17trampoline_kernelINS0_14default_configENS1_20scan_config_selectorIiEEZZNS1_9scan_implILNS1_25lookback_scan_determinismE0ELb0ELb0ES3_N6thrust23THRUST_200600_302600_NS6detail15normal_iteratorINS9_10device_ptrIiEEEESE_iNS9_4plusIvEEiEEDaPvRmT3_T4_T5_mT6_P12ihipStream_tbENKUlT_T0_E_clISt17integral_constantIbLb0EESU_EEDaSP_SQ_EUlSP_E0_NS1_11comp_targetILNS1_3genE5ELNS1_11target_archE942ELNS1_3gpuE9ELNS1_3repE0EEENS1_30default_config_static_selectorELNS0_4arch9wavefront6targetE0EEEvT1_.has_recursion, 0
	.set _ZN7rocprim17ROCPRIM_400000_NS6detail17trampoline_kernelINS0_14default_configENS1_20scan_config_selectorIiEEZZNS1_9scan_implILNS1_25lookback_scan_determinismE0ELb0ELb0ES3_N6thrust23THRUST_200600_302600_NS6detail15normal_iteratorINS9_10device_ptrIiEEEESE_iNS9_4plusIvEEiEEDaPvRmT3_T4_T5_mT6_P12ihipStream_tbENKUlT_T0_E_clISt17integral_constantIbLb0EESU_EEDaSP_SQ_EUlSP_E0_NS1_11comp_targetILNS1_3genE5ELNS1_11target_archE942ELNS1_3gpuE9ELNS1_3repE0EEENS1_30default_config_static_selectorELNS0_4arch9wavefront6targetE0EEEvT1_.has_indirect_call, 0
	.section	.AMDGPU.csdata,"",@progbits
; Kernel info:
; codeLenInByte = 0
; TotalNumSgprs: 0
; NumVgprs: 0
; ScratchSize: 0
; MemoryBound: 0
; FloatMode: 240
; IeeeMode: 1
; LDSByteSize: 0 bytes/workgroup (compile time only)
; SGPRBlocks: 0
; VGPRBlocks: 0
; NumSGPRsForWavesPerEU: 1
; NumVGPRsForWavesPerEU: 1
; NamedBarCnt: 0
; Occupancy: 16
; WaveLimiterHint : 0
; COMPUTE_PGM_RSRC2:SCRATCH_EN: 0
; COMPUTE_PGM_RSRC2:USER_SGPR: 2
; COMPUTE_PGM_RSRC2:TRAP_HANDLER: 0
; COMPUTE_PGM_RSRC2:TGID_X_EN: 1
; COMPUTE_PGM_RSRC2:TGID_Y_EN: 0
; COMPUTE_PGM_RSRC2:TGID_Z_EN: 0
; COMPUTE_PGM_RSRC2:TIDIG_COMP_CNT: 0
	.section	.text._ZN7rocprim17ROCPRIM_400000_NS6detail17trampoline_kernelINS0_14default_configENS1_20scan_config_selectorIiEEZZNS1_9scan_implILNS1_25lookback_scan_determinismE0ELb0ELb0ES3_N6thrust23THRUST_200600_302600_NS6detail15normal_iteratorINS9_10device_ptrIiEEEESE_iNS9_4plusIvEEiEEDaPvRmT3_T4_T5_mT6_P12ihipStream_tbENKUlT_T0_E_clISt17integral_constantIbLb0EESU_EEDaSP_SQ_EUlSP_E0_NS1_11comp_targetILNS1_3genE4ELNS1_11target_archE910ELNS1_3gpuE8ELNS1_3repE0EEENS1_30default_config_static_selectorELNS0_4arch9wavefront6targetE0EEEvT1_,"axG",@progbits,_ZN7rocprim17ROCPRIM_400000_NS6detail17trampoline_kernelINS0_14default_configENS1_20scan_config_selectorIiEEZZNS1_9scan_implILNS1_25lookback_scan_determinismE0ELb0ELb0ES3_N6thrust23THRUST_200600_302600_NS6detail15normal_iteratorINS9_10device_ptrIiEEEESE_iNS9_4plusIvEEiEEDaPvRmT3_T4_T5_mT6_P12ihipStream_tbENKUlT_T0_E_clISt17integral_constantIbLb0EESU_EEDaSP_SQ_EUlSP_E0_NS1_11comp_targetILNS1_3genE4ELNS1_11target_archE910ELNS1_3gpuE8ELNS1_3repE0EEENS1_30default_config_static_selectorELNS0_4arch9wavefront6targetE0EEEvT1_,comdat
	.protected	_ZN7rocprim17ROCPRIM_400000_NS6detail17trampoline_kernelINS0_14default_configENS1_20scan_config_selectorIiEEZZNS1_9scan_implILNS1_25lookback_scan_determinismE0ELb0ELb0ES3_N6thrust23THRUST_200600_302600_NS6detail15normal_iteratorINS9_10device_ptrIiEEEESE_iNS9_4plusIvEEiEEDaPvRmT3_T4_T5_mT6_P12ihipStream_tbENKUlT_T0_E_clISt17integral_constantIbLb0EESU_EEDaSP_SQ_EUlSP_E0_NS1_11comp_targetILNS1_3genE4ELNS1_11target_archE910ELNS1_3gpuE8ELNS1_3repE0EEENS1_30default_config_static_selectorELNS0_4arch9wavefront6targetE0EEEvT1_ ; -- Begin function _ZN7rocprim17ROCPRIM_400000_NS6detail17trampoline_kernelINS0_14default_configENS1_20scan_config_selectorIiEEZZNS1_9scan_implILNS1_25lookback_scan_determinismE0ELb0ELb0ES3_N6thrust23THRUST_200600_302600_NS6detail15normal_iteratorINS9_10device_ptrIiEEEESE_iNS9_4plusIvEEiEEDaPvRmT3_T4_T5_mT6_P12ihipStream_tbENKUlT_T0_E_clISt17integral_constantIbLb0EESU_EEDaSP_SQ_EUlSP_E0_NS1_11comp_targetILNS1_3genE4ELNS1_11target_archE910ELNS1_3gpuE8ELNS1_3repE0EEENS1_30default_config_static_selectorELNS0_4arch9wavefront6targetE0EEEvT1_
	.globl	_ZN7rocprim17ROCPRIM_400000_NS6detail17trampoline_kernelINS0_14default_configENS1_20scan_config_selectorIiEEZZNS1_9scan_implILNS1_25lookback_scan_determinismE0ELb0ELb0ES3_N6thrust23THRUST_200600_302600_NS6detail15normal_iteratorINS9_10device_ptrIiEEEESE_iNS9_4plusIvEEiEEDaPvRmT3_T4_T5_mT6_P12ihipStream_tbENKUlT_T0_E_clISt17integral_constantIbLb0EESU_EEDaSP_SQ_EUlSP_E0_NS1_11comp_targetILNS1_3genE4ELNS1_11target_archE910ELNS1_3gpuE8ELNS1_3repE0EEENS1_30default_config_static_selectorELNS0_4arch9wavefront6targetE0EEEvT1_
	.p2align	8
	.type	_ZN7rocprim17ROCPRIM_400000_NS6detail17trampoline_kernelINS0_14default_configENS1_20scan_config_selectorIiEEZZNS1_9scan_implILNS1_25lookback_scan_determinismE0ELb0ELb0ES3_N6thrust23THRUST_200600_302600_NS6detail15normal_iteratorINS9_10device_ptrIiEEEESE_iNS9_4plusIvEEiEEDaPvRmT3_T4_T5_mT6_P12ihipStream_tbENKUlT_T0_E_clISt17integral_constantIbLb0EESU_EEDaSP_SQ_EUlSP_E0_NS1_11comp_targetILNS1_3genE4ELNS1_11target_archE910ELNS1_3gpuE8ELNS1_3repE0EEENS1_30default_config_static_selectorELNS0_4arch9wavefront6targetE0EEEvT1_,@function
_ZN7rocprim17ROCPRIM_400000_NS6detail17trampoline_kernelINS0_14default_configENS1_20scan_config_selectorIiEEZZNS1_9scan_implILNS1_25lookback_scan_determinismE0ELb0ELb0ES3_N6thrust23THRUST_200600_302600_NS6detail15normal_iteratorINS9_10device_ptrIiEEEESE_iNS9_4plusIvEEiEEDaPvRmT3_T4_T5_mT6_P12ihipStream_tbENKUlT_T0_E_clISt17integral_constantIbLb0EESU_EEDaSP_SQ_EUlSP_E0_NS1_11comp_targetILNS1_3genE4ELNS1_11target_archE910ELNS1_3gpuE8ELNS1_3repE0EEENS1_30default_config_static_selectorELNS0_4arch9wavefront6targetE0EEEvT1_: ; @_ZN7rocprim17ROCPRIM_400000_NS6detail17trampoline_kernelINS0_14default_configENS1_20scan_config_selectorIiEEZZNS1_9scan_implILNS1_25lookback_scan_determinismE0ELb0ELb0ES3_N6thrust23THRUST_200600_302600_NS6detail15normal_iteratorINS9_10device_ptrIiEEEESE_iNS9_4plusIvEEiEEDaPvRmT3_T4_T5_mT6_P12ihipStream_tbENKUlT_T0_E_clISt17integral_constantIbLb0EESU_EEDaSP_SQ_EUlSP_E0_NS1_11comp_targetILNS1_3genE4ELNS1_11target_archE910ELNS1_3gpuE8ELNS1_3repE0EEENS1_30default_config_static_selectorELNS0_4arch9wavefront6targetE0EEEvT1_
; %bb.0:
	.section	.rodata,"a",@progbits
	.p2align	6, 0x0
	.amdhsa_kernel _ZN7rocprim17ROCPRIM_400000_NS6detail17trampoline_kernelINS0_14default_configENS1_20scan_config_selectorIiEEZZNS1_9scan_implILNS1_25lookback_scan_determinismE0ELb0ELb0ES3_N6thrust23THRUST_200600_302600_NS6detail15normal_iteratorINS9_10device_ptrIiEEEESE_iNS9_4plusIvEEiEEDaPvRmT3_T4_T5_mT6_P12ihipStream_tbENKUlT_T0_E_clISt17integral_constantIbLb0EESU_EEDaSP_SQ_EUlSP_E0_NS1_11comp_targetILNS1_3genE4ELNS1_11target_archE910ELNS1_3gpuE8ELNS1_3repE0EEENS1_30default_config_static_selectorELNS0_4arch9wavefront6targetE0EEEvT1_
		.amdhsa_group_segment_fixed_size 0
		.amdhsa_private_segment_fixed_size 0
		.amdhsa_kernarg_size 32
		.amdhsa_user_sgpr_count 2
		.amdhsa_user_sgpr_dispatch_ptr 0
		.amdhsa_user_sgpr_queue_ptr 0
		.amdhsa_user_sgpr_kernarg_segment_ptr 1
		.amdhsa_user_sgpr_dispatch_id 0
		.amdhsa_user_sgpr_kernarg_preload_length 0
		.amdhsa_user_sgpr_kernarg_preload_offset 0
		.amdhsa_user_sgpr_private_segment_size 0
		.amdhsa_wavefront_size32 1
		.amdhsa_uses_dynamic_stack 0
		.amdhsa_enable_private_segment 0
		.amdhsa_system_sgpr_workgroup_id_x 1
		.amdhsa_system_sgpr_workgroup_id_y 0
		.amdhsa_system_sgpr_workgroup_id_z 0
		.amdhsa_system_sgpr_workgroup_info 0
		.amdhsa_system_vgpr_workitem_id 0
		.amdhsa_next_free_vgpr 1
		.amdhsa_next_free_sgpr 1
		.amdhsa_named_barrier_count 0
		.amdhsa_reserve_vcc 0
		.amdhsa_float_round_mode_32 0
		.amdhsa_float_round_mode_16_64 0
		.amdhsa_float_denorm_mode_32 3
		.amdhsa_float_denorm_mode_16_64 3
		.amdhsa_fp16_overflow 0
		.amdhsa_memory_ordered 1
		.amdhsa_forward_progress 1
		.amdhsa_inst_pref_size 0
		.amdhsa_round_robin_scheduling 0
		.amdhsa_exception_fp_ieee_invalid_op 0
		.amdhsa_exception_fp_denorm_src 0
		.amdhsa_exception_fp_ieee_div_zero 0
		.amdhsa_exception_fp_ieee_overflow 0
		.amdhsa_exception_fp_ieee_underflow 0
		.amdhsa_exception_fp_ieee_inexact 0
		.amdhsa_exception_int_div_zero 0
	.end_amdhsa_kernel
	.section	.text._ZN7rocprim17ROCPRIM_400000_NS6detail17trampoline_kernelINS0_14default_configENS1_20scan_config_selectorIiEEZZNS1_9scan_implILNS1_25lookback_scan_determinismE0ELb0ELb0ES3_N6thrust23THRUST_200600_302600_NS6detail15normal_iteratorINS9_10device_ptrIiEEEESE_iNS9_4plusIvEEiEEDaPvRmT3_T4_T5_mT6_P12ihipStream_tbENKUlT_T0_E_clISt17integral_constantIbLb0EESU_EEDaSP_SQ_EUlSP_E0_NS1_11comp_targetILNS1_3genE4ELNS1_11target_archE910ELNS1_3gpuE8ELNS1_3repE0EEENS1_30default_config_static_selectorELNS0_4arch9wavefront6targetE0EEEvT1_,"axG",@progbits,_ZN7rocprim17ROCPRIM_400000_NS6detail17trampoline_kernelINS0_14default_configENS1_20scan_config_selectorIiEEZZNS1_9scan_implILNS1_25lookback_scan_determinismE0ELb0ELb0ES3_N6thrust23THRUST_200600_302600_NS6detail15normal_iteratorINS9_10device_ptrIiEEEESE_iNS9_4plusIvEEiEEDaPvRmT3_T4_T5_mT6_P12ihipStream_tbENKUlT_T0_E_clISt17integral_constantIbLb0EESU_EEDaSP_SQ_EUlSP_E0_NS1_11comp_targetILNS1_3genE4ELNS1_11target_archE910ELNS1_3gpuE8ELNS1_3repE0EEENS1_30default_config_static_selectorELNS0_4arch9wavefront6targetE0EEEvT1_,comdat
.Lfunc_end20:
	.size	_ZN7rocprim17ROCPRIM_400000_NS6detail17trampoline_kernelINS0_14default_configENS1_20scan_config_selectorIiEEZZNS1_9scan_implILNS1_25lookback_scan_determinismE0ELb0ELb0ES3_N6thrust23THRUST_200600_302600_NS6detail15normal_iteratorINS9_10device_ptrIiEEEESE_iNS9_4plusIvEEiEEDaPvRmT3_T4_T5_mT6_P12ihipStream_tbENKUlT_T0_E_clISt17integral_constantIbLb0EESU_EEDaSP_SQ_EUlSP_E0_NS1_11comp_targetILNS1_3genE4ELNS1_11target_archE910ELNS1_3gpuE8ELNS1_3repE0EEENS1_30default_config_static_selectorELNS0_4arch9wavefront6targetE0EEEvT1_, .Lfunc_end20-_ZN7rocprim17ROCPRIM_400000_NS6detail17trampoline_kernelINS0_14default_configENS1_20scan_config_selectorIiEEZZNS1_9scan_implILNS1_25lookback_scan_determinismE0ELb0ELb0ES3_N6thrust23THRUST_200600_302600_NS6detail15normal_iteratorINS9_10device_ptrIiEEEESE_iNS9_4plusIvEEiEEDaPvRmT3_T4_T5_mT6_P12ihipStream_tbENKUlT_T0_E_clISt17integral_constantIbLb0EESU_EEDaSP_SQ_EUlSP_E0_NS1_11comp_targetILNS1_3genE4ELNS1_11target_archE910ELNS1_3gpuE8ELNS1_3repE0EEENS1_30default_config_static_selectorELNS0_4arch9wavefront6targetE0EEEvT1_
                                        ; -- End function
	.set _ZN7rocprim17ROCPRIM_400000_NS6detail17trampoline_kernelINS0_14default_configENS1_20scan_config_selectorIiEEZZNS1_9scan_implILNS1_25lookback_scan_determinismE0ELb0ELb0ES3_N6thrust23THRUST_200600_302600_NS6detail15normal_iteratorINS9_10device_ptrIiEEEESE_iNS9_4plusIvEEiEEDaPvRmT3_T4_T5_mT6_P12ihipStream_tbENKUlT_T0_E_clISt17integral_constantIbLb0EESU_EEDaSP_SQ_EUlSP_E0_NS1_11comp_targetILNS1_3genE4ELNS1_11target_archE910ELNS1_3gpuE8ELNS1_3repE0EEENS1_30default_config_static_selectorELNS0_4arch9wavefront6targetE0EEEvT1_.num_vgpr, 0
	.set _ZN7rocprim17ROCPRIM_400000_NS6detail17trampoline_kernelINS0_14default_configENS1_20scan_config_selectorIiEEZZNS1_9scan_implILNS1_25lookback_scan_determinismE0ELb0ELb0ES3_N6thrust23THRUST_200600_302600_NS6detail15normal_iteratorINS9_10device_ptrIiEEEESE_iNS9_4plusIvEEiEEDaPvRmT3_T4_T5_mT6_P12ihipStream_tbENKUlT_T0_E_clISt17integral_constantIbLb0EESU_EEDaSP_SQ_EUlSP_E0_NS1_11comp_targetILNS1_3genE4ELNS1_11target_archE910ELNS1_3gpuE8ELNS1_3repE0EEENS1_30default_config_static_selectorELNS0_4arch9wavefront6targetE0EEEvT1_.num_agpr, 0
	.set _ZN7rocprim17ROCPRIM_400000_NS6detail17trampoline_kernelINS0_14default_configENS1_20scan_config_selectorIiEEZZNS1_9scan_implILNS1_25lookback_scan_determinismE0ELb0ELb0ES3_N6thrust23THRUST_200600_302600_NS6detail15normal_iteratorINS9_10device_ptrIiEEEESE_iNS9_4plusIvEEiEEDaPvRmT3_T4_T5_mT6_P12ihipStream_tbENKUlT_T0_E_clISt17integral_constantIbLb0EESU_EEDaSP_SQ_EUlSP_E0_NS1_11comp_targetILNS1_3genE4ELNS1_11target_archE910ELNS1_3gpuE8ELNS1_3repE0EEENS1_30default_config_static_selectorELNS0_4arch9wavefront6targetE0EEEvT1_.numbered_sgpr, 0
	.set _ZN7rocprim17ROCPRIM_400000_NS6detail17trampoline_kernelINS0_14default_configENS1_20scan_config_selectorIiEEZZNS1_9scan_implILNS1_25lookback_scan_determinismE0ELb0ELb0ES3_N6thrust23THRUST_200600_302600_NS6detail15normal_iteratorINS9_10device_ptrIiEEEESE_iNS9_4plusIvEEiEEDaPvRmT3_T4_T5_mT6_P12ihipStream_tbENKUlT_T0_E_clISt17integral_constantIbLb0EESU_EEDaSP_SQ_EUlSP_E0_NS1_11comp_targetILNS1_3genE4ELNS1_11target_archE910ELNS1_3gpuE8ELNS1_3repE0EEENS1_30default_config_static_selectorELNS0_4arch9wavefront6targetE0EEEvT1_.num_named_barrier, 0
	.set _ZN7rocprim17ROCPRIM_400000_NS6detail17trampoline_kernelINS0_14default_configENS1_20scan_config_selectorIiEEZZNS1_9scan_implILNS1_25lookback_scan_determinismE0ELb0ELb0ES3_N6thrust23THRUST_200600_302600_NS6detail15normal_iteratorINS9_10device_ptrIiEEEESE_iNS9_4plusIvEEiEEDaPvRmT3_T4_T5_mT6_P12ihipStream_tbENKUlT_T0_E_clISt17integral_constantIbLb0EESU_EEDaSP_SQ_EUlSP_E0_NS1_11comp_targetILNS1_3genE4ELNS1_11target_archE910ELNS1_3gpuE8ELNS1_3repE0EEENS1_30default_config_static_selectorELNS0_4arch9wavefront6targetE0EEEvT1_.private_seg_size, 0
	.set _ZN7rocprim17ROCPRIM_400000_NS6detail17trampoline_kernelINS0_14default_configENS1_20scan_config_selectorIiEEZZNS1_9scan_implILNS1_25lookback_scan_determinismE0ELb0ELb0ES3_N6thrust23THRUST_200600_302600_NS6detail15normal_iteratorINS9_10device_ptrIiEEEESE_iNS9_4plusIvEEiEEDaPvRmT3_T4_T5_mT6_P12ihipStream_tbENKUlT_T0_E_clISt17integral_constantIbLb0EESU_EEDaSP_SQ_EUlSP_E0_NS1_11comp_targetILNS1_3genE4ELNS1_11target_archE910ELNS1_3gpuE8ELNS1_3repE0EEENS1_30default_config_static_selectorELNS0_4arch9wavefront6targetE0EEEvT1_.uses_vcc, 0
	.set _ZN7rocprim17ROCPRIM_400000_NS6detail17trampoline_kernelINS0_14default_configENS1_20scan_config_selectorIiEEZZNS1_9scan_implILNS1_25lookback_scan_determinismE0ELb0ELb0ES3_N6thrust23THRUST_200600_302600_NS6detail15normal_iteratorINS9_10device_ptrIiEEEESE_iNS9_4plusIvEEiEEDaPvRmT3_T4_T5_mT6_P12ihipStream_tbENKUlT_T0_E_clISt17integral_constantIbLb0EESU_EEDaSP_SQ_EUlSP_E0_NS1_11comp_targetILNS1_3genE4ELNS1_11target_archE910ELNS1_3gpuE8ELNS1_3repE0EEENS1_30default_config_static_selectorELNS0_4arch9wavefront6targetE0EEEvT1_.uses_flat_scratch, 0
	.set _ZN7rocprim17ROCPRIM_400000_NS6detail17trampoline_kernelINS0_14default_configENS1_20scan_config_selectorIiEEZZNS1_9scan_implILNS1_25lookback_scan_determinismE0ELb0ELb0ES3_N6thrust23THRUST_200600_302600_NS6detail15normal_iteratorINS9_10device_ptrIiEEEESE_iNS9_4plusIvEEiEEDaPvRmT3_T4_T5_mT6_P12ihipStream_tbENKUlT_T0_E_clISt17integral_constantIbLb0EESU_EEDaSP_SQ_EUlSP_E0_NS1_11comp_targetILNS1_3genE4ELNS1_11target_archE910ELNS1_3gpuE8ELNS1_3repE0EEENS1_30default_config_static_selectorELNS0_4arch9wavefront6targetE0EEEvT1_.has_dyn_sized_stack, 0
	.set _ZN7rocprim17ROCPRIM_400000_NS6detail17trampoline_kernelINS0_14default_configENS1_20scan_config_selectorIiEEZZNS1_9scan_implILNS1_25lookback_scan_determinismE0ELb0ELb0ES3_N6thrust23THRUST_200600_302600_NS6detail15normal_iteratorINS9_10device_ptrIiEEEESE_iNS9_4plusIvEEiEEDaPvRmT3_T4_T5_mT6_P12ihipStream_tbENKUlT_T0_E_clISt17integral_constantIbLb0EESU_EEDaSP_SQ_EUlSP_E0_NS1_11comp_targetILNS1_3genE4ELNS1_11target_archE910ELNS1_3gpuE8ELNS1_3repE0EEENS1_30default_config_static_selectorELNS0_4arch9wavefront6targetE0EEEvT1_.has_recursion, 0
	.set _ZN7rocprim17ROCPRIM_400000_NS6detail17trampoline_kernelINS0_14default_configENS1_20scan_config_selectorIiEEZZNS1_9scan_implILNS1_25lookback_scan_determinismE0ELb0ELb0ES3_N6thrust23THRUST_200600_302600_NS6detail15normal_iteratorINS9_10device_ptrIiEEEESE_iNS9_4plusIvEEiEEDaPvRmT3_T4_T5_mT6_P12ihipStream_tbENKUlT_T0_E_clISt17integral_constantIbLb0EESU_EEDaSP_SQ_EUlSP_E0_NS1_11comp_targetILNS1_3genE4ELNS1_11target_archE910ELNS1_3gpuE8ELNS1_3repE0EEENS1_30default_config_static_selectorELNS0_4arch9wavefront6targetE0EEEvT1_.has_indirect_call, 0
	.section	.AMDGPU.csdata,"",@progbits
; Kernel info:
; codeLenInByte = 0
; TotalNumSgprs: 0
; NumVgprs: 0
; ScratchSize: 0
; MemoryBound: 0
; FloatMode: 240
; IeeeMode: 1
; LDSByteSize: 0 bytes/workgroup (compile time only)
; SGPRBlocks: 0
; VGPRBlocks: 0
; NumSGPRsForWavesPerEU: 1
; NumVGPRsForWavesPerEU: 1
; NamedBarCnt: 0
; Occupancy: 16
; WaveLimiterHint : 0
; COMPUTE_PGM_RSRC2:SCRATCH_EN: 0
; COMPUTE_PGM_RSRC2:USER_SGPR: 2
; COMPUTE_PGM_RSRC2:TRAP_HANDLER: 0
; COMPUTE_PGM_RSRC2:TGID_X_EN: 1
; COMPUTE_PGM_RSRC2:TGID_Y_EN: 0
; COMPUTE_PGM_RSRC2:TGID_Z_EN: 0
; COMPUTE_PGM_RSRC2:TIDIG_COMP_CNT: 0
	.section	.text._ZN7rocprim17ROCPRIM_400000_NS6detail17trampoline_kernelINS0_14default_configENS1_20scan_config_selectorIiEEZZNS1_9scan_implILNS1_25lookback_scan_determinismE0ELb0ELb0ES3_N6thrust23THRUST_200600_302600_NS6detail15normal_iteratorINS9_10device_ptrIiEEEESE_iNS9_4plusIvEEiEEDaPvRmT3_T4_T5_mT6_P12ihipStream_tbENKUlT_T0_E_clISt17integral_constantIbLb0EESU_EEDaSP_SQ_EUlSP_E0_NS1_11comp_targetILNS1_3genE3ELNS1_11target_archE908ELNS1_3gpuE7ELNS1_3repE0EEENS1_30default_config_static_selectorELNS0_4arch9wavefront6targetE0EEEvT1_,"axG",@progbits,_ZN7rocprim17ROCPRIM_400000_NS6detail17trampoline_kernelINS0_14default_configENS1_20scan_config_selectorIiEEZZNS1_9scan_implILNS1_25lookback_scan_determinismE0ELb0ELb0ES3_N6thrust23THRUST_200600_302600_NS6detail15normal_iteratorINS9_10device_ptrIiEEEESE_iNS9_4plusIvEEiEEDaPvRmT3_T4_T5_mT6_P12ihipStream_tbENKUlT_T0_E_clISt17integral_constantIbLb0EESU_EEDaSP_SQ_EUlSP_E0_NS1_11comp_targetILNS1_3genE3ELNS1_11target_archE908ELNS1_3gpuE7ELNS1_3repE0EEENS1_30default_config_static_selectorELNS0_4arch9wavefront6targetE0EEEvT1_,comdat
	.protected	_ZN7rocprim17ROCPRIM_400000_NS6detail17trampoline_kernelINS0_14default_configENS1_20scan_config_selectorIiEEZZNS1_9scan_implILNS1_25lookback_scan_determinismE0ELb0ELb0ES3_N6thrust23THRUST_200600_302600_NS6detail15normal_iteratorINS9_10device_ptrIiEEEESE_iNS9_4plusIvEEiEEDaPvRmT3_T4_T5_mT6_P12ihipStream_tbENKUlT_T0_E_clISt17integral_constantIbLb0EESU_EEDaSP_SQ_EUlSP_E0_NS1_11comp_targetILNS1_3genE3ELNS1_11target_archE908ELNS1_3gpuE7ELNS1_3repE0EEENS1_30default_config_static_selectorELNS0_4arch9wavefront6targetE0EEEvT1_ ; -- Begin function _ZN7rocprim17ROCPRIM_400000_NS6detail17trampoline_kernelINS0_14default_configENS1_20scan_config_selectorIiEEZZNS1_9scan_implILNS1_25lookback_scan_determinismE0ELb0ELb0ES3_N6thrust23THRUST_200600_302600_NS6detail15normal_iteratorINS9_10device_ptrIiEEEESE_iNS9_4plusIvEEiEEDaPvRmT3_T4_T5_mT6_P12ihipStream_tbENKUlT_T0_E_clISt17integral_constantIbLb0EESU_EEDaSP_SQ_EUlSP_E0_NS1_11comp_targetILNS1_3genE3ELNS1_11target_archE908ELNS1_3gpuE7ELNS1_3repE0EEENS1_30default_config_static_selectorELNS0_4arch9wavefront6targetE0EEEvT1_
	.globl	_ZN7rocprim17ROCPRIM_400000_NS6detail17trampoline_kernelINS0_14default_configENS1_20scan_config_selectorIiEEZZNS1_9scan_implILNS1_25lookback_scan_determinismE0ELb0ELb0ES3_N6thrust23THRUST_200600_302600_NS6detail15normal_iteratorINS9_10device_ptrIiEEEESE_iNS9_4plusIvEEiEEDaPvRmT3_T4_T5_mT6_P12ihipStream_tbENKUlT_T0_E_clISt17integral_constantIbLb0EESU_EEDaSP_SQ_EUlSP_E0_NS1_11comp_targetILNS1_3genE3ELNS1_11target_archE908ELNS1_3gpuE7ELNS1_3repE0EEENS1_30default_config_static_selectorELNS0_4arch9wavefront6targetE0EEEvT1_
	.p2align	8
	.type	_ZN7rocprim17ROCPRIM_400000_NS6detail17trampoline_kernelINS0_14default_configENS1_20scan_config_selectorIiEEZZNS1_9scan_implILNS1_25lookback_scan_determinismE0ELb0ELb0ES3_N6thrust23THRUST_200600_302600_NS6detail15normal_iteratorINS9_10device_ptrIiEEEESE_iNS9_4plusIvEEiEEDaPvRmT3_T4_T5_mT6_P12ihipStream_tbENKUlT_T0_E_clISt17integral_constantIbLb0EESU_EEDaSP_SQ_EUlSP_E0_NS1_11comp_targetILNS1_3genE3ELNS1_11target_archE908ELNS1_3gpuE7ELNS1_3repE0EEENS1_30default_config_static_selectorELNS0_4arch9wavefront6targetE0EEEvT1_,@function
_ZN7rocprim17ROCPRIM_400000_NS6detail17trampoline_kernelINS0_14default_configENS1_20scan_config_selectorIiEEZZNS1_9scan_implILNS1_25lookback_scan_determinismE0ELb0ELb0ES3_N6thrust23THRUST_200600_302600_NS6detail15normal_iteratorINS9_10device_ptrIiEEEESE_iNS9_4plusIvEEiEEDaPvRmT3_T4_T5_mT6_P12ihipStream_tbENKUlT_T0_E_clISt17integral_constantIbLb0EESU_EEDaSP_SQ_EUlSP_E0_NS1_11comp_targetILNS1_3genE3ELNS1_11target_archE908ELNS1_3gpuE7ELNS1_3repE0EEENS1_30default_config_static_selectorELNS0_4arch9wavefront6targetE0EEEvT1_: ; @_ZN7rocprim17ROCPRIM_400000_NS6detail17trampoline_kernelINS0_14default_configENS1_20scan_config_selectorIiEEZZNS1_9scan_implILNS1_25lookback_scan_determinismE0ELb0ELb0ES3_N6thrust23THRUST_200600_302600_NS6detail15normal_iteratorINS9_10device_ptrIiEEEESE_iNS9_4plusIvEEiEEDaPvRmT3_T4_T5_mT6_P12ihipStream_tbENKUlT_T0_E_clISt17integral_constantIbLb0EESU_EEDaSP_SQ_EUlSP_E0_NS1_11comp_targetILNS1_3genE3ELNS1_11target_archE908ELNS1_3gpuE7ELNS1_3repE0EEENS1_30default_config_static_selectorELNS0_4arch9wavefront6targetE0EEEvT1_
; %bb.0:
	.section	.rodata,"a",@progbits
	.p2align	6, 0x0
	.amdhsa_kernel _ZN7rocprim17ROCPRIM_400000_NS6detail17trampoline_kernelINS0_14default_configENS1_20scan_config_selectorIiEEZZNS1_9scan_implILNS1_25lookback_scan_determinismE0ELb0ELb0ES3_N6thrust23THRUST_200600_302600_NS6detail15normal_iteratorINS9_10device_ptrIiEEEESE_iNS9_4plusIvEEiEEDaPvRmT3_T4_T5_mT6_P12ihipStream_tbENKUlT_T0_E_clISt17integral_constantIbLb0EESU_EEDaSP_SQ_EUlSP_E0_NS1_11comp_targetILNS1_3genE3ELNS1_11target_archE908ELNS1_3gpuE7ELNS1_3repE0EEENS1_30default_config_static_selectorELNS0_4arch9wavefront6targetE0EEEvT1_
		.amdhsa_group_segment_fixed_size 0
		.amdhsa_private_segment_fixed_size 0
		.amdhsa_kernarg_size 32
		.amdhsa_user_sgpr_count 2
		.amdhsa_user_sgpr_dispatch_ptr 0
		.amdhsa_user_sgpr_queue_ptr 0
		.amdhsa_user_sgpr_kernarg_segment_ptr 1
		.amdhsa_user_sgpr_dispatch_id 0
		.amdhsa_user_sgpr_kernarg_preload_length 0
		.amdhsa_user_sgpr_kernarg_preload_offset 0
		.amdhsa_user_sgpr_private_segment_size 0
		.amdhsa_wavefront_size32 1
		.amdhsa_uses_dynamic_stack 0
		.amdhsa_enable_private_segment 0
		.amdhsa_system_sgpr_workgroup_id_x 1
		.amdhsa_system_sgpr_workgroup_id_y 0
		.amdhsa_system_sgpr_workgroup_id_z 0
		.amdhsa_system_sgpr_workgroup_info 0
		.amdhsa_system_vgpr_workitem_id 0
		.amdhsa_next_free_vgpr 1
		.amdhsa_next_free_sgpr 1
		.amdhsa_named_barrier_count 0
		.amdhsa_reserve_vcc 0
		.amdhsa_float_round_mode_32 0
		.amdhsa_float_round_mode_16_64 0
		.amdhsa_float_denorm_mode_32 3
		.amdhsa_float_denorm_mode_16_64 3
		.amdhsa_fp16_overflow 0
		.amdhsa_memory_ordered 1
		.amdhsa_forward_progress 1
		.amdhsa_inst_pref_size 0
		.amdhsa_round_robin_scheduling 0
		.amdhsa_exception_fp_ieee_invalid_op 0
		.amdhsa_exception_fp_denorm_src 0
		.amdhsa_exception_fp_ieee_div_zero 0
		.amdhsa_exception_fp_ieee_overflow 0
		.amdhsa_exception_fp_ieee_underflow 0
		.amdhsa_exception_fp_ieee_inexact 0
		.amdhsa_exception_int_div_zero 0
	.end_amdhsa_kernel
	.section	.text._ZN7rocprim17ROCPRIM_400000_NS6detail17trampoline_kernelINS0_14default_configENS1_20scan_config_selectorIiEEZZNS1_9scan_implILNS1_25lookback_scan_determinismE0ELb0ELb0ES3_N6thrust23THRUST_200600_302600_NS6detail15normal_iteratorINS9_10device_ptrIiEEEESE_iNS9_4plusIvEEiEEDaPvRmT3_T4_T5_mT6_P12ihipStream_tbENKUlT_T0_E_clISt17integral_constantIbLb0EESU_EEDaSP_SQ_EUlSP_E0_NS1_11comp_targetILNS1_3genE3ELNS1_11target_archE908ELNS1_3gpuE7ELNS1_3repE0EEENS1_30default_config_static_selectorELNS0_4arch9wavefront6targetE0EEEvT1_,"axG",@progbits,_ZN7rocprim17ROCPRIM_400000_NS6detail17trampoline_kernelINS0_14default_configENS1_20scan_config_selectorIiEEZZNS1_9scan_implILNS1_25lookback_scan_determinismE0ELb0ELb0ES3_N6thrust23THRUST_200600_302600_NS6detail15normal_iteratorINS9_10device_ptrIiEEEESE_iNS9_4plusIvEEiEEDaPvRmT3_T4_T5_mT6_P12ihipStream_tbENKUlT_T0_E_clISt17integral_constantIbLb0EESU_EEDaSP_SQ_EUlSP_E0_NS1_11comp_targetILNS1_3genE3ELNS1_11target_archE908ELNS1_3gpuE7ELNS1_3repE0EEENS1_30default_config_static_selectorELNS0_4arch9wavefront6targetE0EEEvT1_,comdat
.Lfunc_end21:
	.size	_ZN7rocprim17ROCPRIM_400000_NS6detail17trampoline_kernelINS0_14default_configENS1_20scan_config_selectorIiEEZZNS1_9scan_implILNS1_25lookback_scan_determinismE0ELb0ELb0ES3_N6thrust23THRUST_200600_302600_NS6detail15normal_iteratorINS9_10device_ptrIiEEEESE_iNS9_4plusIvEEiEEDaPvRmT3_T4_T5_mT6_P12ihipStream_tbENKUlT_T0_E_clISt17integral_constantIbLb0EESU_EEDaSP_SQ_EUlSP_E0_NS1_11comp_targetILNS1_3genE3ELNS1_11target_archE908ELNS1_3gpuE7ELNS1_3repE0EEENS1_30default_config_static_selectorELNS0_4arch9wavefront6targetE0EEEvT1_, .Lfunc_end21-_ZN7rocprim17ROCPRIM_400000_NS6detail17trampoline_kernelINS0_14default_configENS1_20scan_config_selectorIiEEZZNS1_9scan_implILNS1_25lookback_scan_determinismE0ELb0ELb0ES3_N6thrust23THRUST_200600_302600_NS6detail15normal_iteratorINS9_10device_ptrIiEEEESE_iNS9_4plusIvEEiEEDaPvRmT3_T4_T5_mT6_P12ihipStream_tbENKUlT_T0_E_clISt17integral_constantIbLb0EESU_EEDaSP_SQ_EUlSP_E0_NS1_11comp_targetILNS1_3genE3ELNS1_11target_archE908ELNS1_3gpuE7ELNS1_3repE0EEENS1_30default_config_static_selectorELNS0_4arch9wavefront6targetE0EEEvT1_
                                        ; -- End function
	.set _ZN7rocprim17ROCPRIM_400000_NS6detail17trampoline_kernelINS0_14default_configENS1_20scan_config_selectorIiEEZZNS1_9scan_implILNS1_25lookback_scan_determinismE0ELb0ELb0ES3_N6thrust23THRUST_200600_302600_NS6detail15normal_iteratorINS9_10device_ptrIiEEEESE_iNS9_4plusIvEEiEEDaPvRmT3_T4_T5_mT6_P12ihipStream_tbENKUlT_T0_E_clISt17integral_constantIbLb0EESU_EEDaSP_SQ_EUlSP_E0_NS1_11comp_targetILNS1_3genE3ELNS1_11target_archE908ELNS1_3gpuE7ELNS1_3repE0EEENS1_30default_config_static_selectorELNS0_4arch9wavefront6targetE0EEEvT1_.num_vgpr, 0
	.set _ZN7rocprim17ROCPRIM_400000_NS6detail17trampoline_kernelINS0_14default_configENS1_20scan_config_selectorIiEEZZNS1_9scan_implILNS1_25lookback_scan_determinismE0ELb0ELb0ES3_N6thrust23THRUST_200600_302600_NS6detail15normal_iteratorINS9_10device_ptrIiEEEESE_iNS9_4plusIvEEiEEDaPvRmT3_T4_T5_mT6_P12ihipStream_tbENKUlT_T0_E_clISt17integral_constantIbLb0EESU_EEDaSP_SQ_EUlSP_E0_NS1_11comp_targetILNS1_3genE3ELNS1_11target_archE908ELNS1_3gpuE7ELNS1_3repE0EEENS1_30default_config_static_selectorELNS0_4arch9wavefront6targetE0EEEvT1_.num_agpr, 0
	.set _ZN7rocprim17ROCPRIM_400000_NS6detail17trampoline_kernelINS0_14default_configENS1_20scan_config_selectorIiEEZZNS1_9scan_implILNS1_25lookback_scan_determinismE0ELb0ELb0ES3_N6thrust23THRUST_200600_302600_NS6detail15normal_iteratorINS9_10device_ptrIiEEEESE_iNS9_4plusIvEEiEEDaPvRmT3_T4_T5_mT6_P12ihipStream_tbENKUlT_T0_E_clISt17integral_constantIbLb0EESU_EEDaSP_SQ_EUlSP_E0_NS1_11comp_targetILNS1_3genE3ELNS1_11target_archE908ELNS1_3gpuE7ELNS1_3repE0EEENS1_30default_config_static_selectorELNS0_4arch9wavefront6targetE0EEEvT1_.numbered_sgpr, 0
	.set _ZN7rocprim17ROCPRIM_400000_NS6detail17trampoline_kernelINS0_14default_configENS1_20scan_config_selectorIiEEZZNS1_9scan_implILNS1_25lookback_scan_determinismE0ELb0ELb0ES3_N6thrust23THRUST_200600_302600_NS6detail15normal_iteratorINS9_10device_ptrIiEEEESE_iNS9_4plusIvEEiEEDaPvRmT3_T4_T5_mT6_P12ihipStream_tbENKUlT_T0_E_clISt17integral_constantIbLb0EESU_EEDaSP_SQ_EUlSP_E0_NS1_11comp_targetILNS1_3genE3ELNS1_11target_archE908ELNS1_3gpuE7ELNS1_3repE0EEENS1_30default_config_static_selectorELNS0_4arch9wavefront6targetE0EEEvT1_.num_named_barrier, 0
	.set _ZN7rocprim17ROCPRIM_400000_NS6detail17trampoline_kernelINS0_14default_configENS1_20scan_config_selectorIiEEZZNS1_9scan_implILNS1_25lookback_scan_determinismE0ELb0ELb0ES3_N6thrust23THRUST_200600_302600_NS6detail15normal_iteratorINS9_10device_ptrIiEEEESE_iNS9_4plusIvEEiEEDaPvRmT3_T4_T5_mT6_P12ihipStream_tbENKUlT_T0_E_clISt17integral_constantIbLb0EESU_EEDaSP_SQ_EUlSP_E0_NS1_11comp_targetILNS1_3genE3ELNS1_11target_archE908ELNS1_3gpuE7ELNS1_3repE0EEENS1_30default_config_static_selectorELNS0_4arch9wavefront6targetE0EEEvT1_.private_seg_size, 0
	.set _ZN7rocprim17ROCPRIM_400000_NS6detail17trampoline_kernelINS0_14default_configENS1_20scan_config_selectorIiEEZZNS1_9scan_implILNS1_25lookback_scan_determinismE0ELb0ELb0ES3_N6thrust23THRUST_200600_302600_NS6detail15normal_iteratorINS9_10device_ptrIiEEEESE_iNS9_4plusIvEEiEEDaPvRmT3_T4_T5_mT6_P12ihipStream_tbENKUlT_T0_E_clISt17integral_constantIbLb0EESU_EEDaSP_SQ_EUlSP_E0_NS1_11comp_targetILNS1_3genE3ELNS1_11target_archE908ELNS1_3gpuE7ELNS1_3repE0EEENS1_30default_config_static_selectorELNS0_4arch9wavefront6targetE0EEEvT1_.uses_vcc, 0
	.set _ZN7rocprim17ROCPRIM_400000_NS6detail17trampoline_kernelINS0_14default_configENS1_20scan_config_selectorIiEEZZNS1_9scan_implILNS1_25lookback_scan_determinismE0ELb0ELb0ES3_N6thrust23THRUST_200600_302600_NS6detail15normal_iteratorINS9_10device_ptrIiEEEESE_iNS9_4plusIvEEiEEDaPvRmT3_T4_T5_mT6_P12ihipStream_tbENKUlT_T0_E_clISt17integral_constantIbLb0EESU_EEDaSP_SQ_EUlSP_E0_NS1_11comp_targetILNS1_3genE3ELNS1_11target_archE908ELNS1_3gpuE7ELNS1_3repE0EEENS1_30default_config_static_selectorELNS0_4arch9wavefront6targetE0EEEvT1_.uses_flat_scratch, 0
	.set _ZN7rocprim17ROCPRIM_400000_NS6detail17trampoline_kernelINS0_14default_configENS1_20scan_config_selectorIiEEZZNS1_9scan_implILNS1_25lookback_scan_determinismE0ELb0ELb0ES3_N6thrust23THRUST_200600_302600_NS6detail15normal_iteratorINS9_10device_ptrIiEEEESE_iNS9_4plusIvEEiEEDaPvRmT3_T4_T5_mT6_P12ihipStream_tbENKUlT_T0_E_clISt17integral_constantIbLb0EESU_EEDaSP_SQ_EUlSP_E0_NS1_11comp_targetILNS1_3genE3ELNS1_11target_archE908ELNS1_3gpuE7ELNS1_3repE0EEENS1_30default_config_static_selectorELNS0_4arch9wavefront6targetE0EEEvT1_.has_dyn_sized_stack, 0
	.set _ZN7rocprim17ROCPRIM_400000_NS6detail17trampoline_kernelINS0_14default_configENS1_20scan_config_selectorIiEEZZNS1_9scan_implILNS1_25lookback_scan_determinismE0ELb0ELb0ES3_N6thrust23THRUST_200600_302600_NS6detail15normal_iteratorINS9_10device_ptrIiEEEESE_iNS9_4plusIvEEiEEDaPvRmT3_T4_T5_mT6_P12ihipStream_tbENKUlT_T0_E_clISt17integral_constantIbLb0EESU_EEDaSP_SQ_EUlSP_E0_NS1_11comp_targetILNS1_3genE3ELNS1_11target_archE908ELNS1_3gpuE7ELNS1_3repE0EEENS1_30default_config_static_selectorELNS0_4arch9wavefront6targetE0EEEvT1_.has_recursion, 0
	.set _ZN7rocprim17ROCPRIM_400000_NS6detail17trampoline_kernelINS0_14default_configENS1_20scan_config_selectorIiEEZZNS1_9scan_implILNS1_25lookback_scan_determinismE0ELb0ELb0ES3_N6thrust23THRUST_200600_302600_NS6detail15normal_iteratorINS9_10device_ptrIiEEEESE_iNS9_4plusIvEEiEEDaPvRmT3_T4_T5_mT6_P12ihipStream_tbENKUlT_T0_E_clISt17integral_constantIbLb0EESU_EEDaSP_SQ_EUlSP_E0_NS1_11comp_targetILNS1_3genE3ELNS1_11target_archE908ELNS1_3gpuE7ELNS1_3repE0EEENS1_30default_config_static_selectorELNS0_4arch9wavefront6targetE0EEEvT1_.has_indirect_call, 0
	.section	.AMDGPU.csdata,"",@progbits
; Kernel info:
; codeLenInByte = 0
; TotalNumSgprs: 0
; NumVgprs: 0
; ScratchSize: 0
; MemoryBound: 0
; FloatMode: 240
; IeeeMode: 1
; LDSByteSize: 0 bytes/workgroup (compile time only)
; SGPRBlocks: 0
; VGPRBlocks: 0
; NumSGPRsForWavesPerEU: 1
; NumVGPRsForWavesPerEU: 1
; NamedBarCnt: 0
; Occupancy: 16
; WaveLimiterHint : 0
; COMPUTE_PGM_RSRC2:SCRATCH_EN: 0
; COMPUTE_PGM_RSRC2:USER_SGPR: 2
; COMPUTE_PGM_RSRC2:TRAP_HANDLER: 0
; COMPUTE_PGM_RSRC2:TGID_X_EN: 1
; COMPUTE_PGM_RSRC2:TGID_Y_EN: 0
; COMPUTE_PGM_RSRC2:TGID_Z_EN: 0
; COMPUTE_PGM_RSRC2:TIDIG_COMP_CNT: 0
	.section	.text._ZN7rocprim17ROCPRIM_400000_NS6detail17trampoline_kernelINS0_14default_configENS1_20scan_config_selectorIiEEZZNS1_9scan_implILNS1_25lookback_scan_determinismE0ELb0ELb0ES3_N6thrust23THRUST_200600_302600_NS6detail15normal_iteratorINS9_10device_ptrIiEEEESE_iNS9_4plusIvEEiEEDaPvRmT3_T4_T5_mT6_P12ihipStream_tbENKUlT_T0_E_clISt17integral_constantIbLb0EESU_EEDaSP_SQ_EUlSP_E0_NS1_11comp_targetILNS1_3genE2ELNS1_11target_archE906ELNS1_3gpuE6ELNS1_3repE0EEENS1_30default_config_static_selectorELNS0_4arch9wavefront6targetE0EEEvT1_,"axG",@progbits,_ZN7rocprim17ROCPRIM_400000_NS6detail17trampoline_kernelINS0_14default_configENS1_20scan_config_selectorIiEEZZNS1_9scan_implILNS1_25lookback_scan_determinismE0ELb0ELb0ES3_N6thrust23THRUST_200600_302600_NS6detail15normal_iteratorINS9_10device_ptrIiEEEESE_iNS9_4plusIvEEiEEDaPvRmT3_T4_T5_mT6_P12ihipStream_tbENKUlT_T0_E_clISt17integral_constantIbLb0EESU_EEDaSP_SQ_EUlSP_E0_NS1_11comp_targetILNS1_3genE2ELNS1_11target_archE906ELNS1_3gpuE6ELNS1_3repE0EEENS1_30default_config_static_selectorELNS0_4arch9wavefront6targetE0EEEvT1_,comdat
	.protected	_ZN7rocprim17ROCPRIM_400000_NS6detail17trampoline_kernelINS0_14default_configENS1_20scan_config_selectorIiEEZZNS1_9scan_implILNS1_25lookback_scan_determinismE0ELb0ELb0ES3_N6thrust23THRUST_200600_302600_NS6detail15normal_iteratorINS9_10device_ptrIiEEEESE_iNS9_4plusIvEEiEEDaPvRmT3_T4_T5_mT6_P12ihipStream_tbENKUlT_T0_E_clISt17integral_constantIbLb0EESU_EEDaSP_SQ_EUlSP_E0_NS1_11comp_targetILNS1_3genE2ELNS1_11target_archE906ELNS1_3gpuE6ELNS1_3repE0EEENS1_30default_config_static_selectorELNS0_4arch9wavefront6targetE0EEEvT1_ ; -- Begin function _ZN7rocprim17ROCPRIM_400000_NS6detail17trampoline_kernelINS0_14default_configENS1_20scan_config_selectorIiEEZZNS1_9scan_implILNS1_25lookback_scan_determinismE0ELb0ELb0ES3_N6thrust23THRUST_200600_302600_NS6detail15normal_iteratorINS9_10device_ptrIiEEEESE_iNS9_4plusIvEEiEEDaPvRmT3_T4_T5_mT6_P12ihipStream_tbENKUlT_T0_E_clISt17integral_constantIbLb0EESU_EEDaSP_SQ_EUlSP_E0_NS1_11comp_targetILNS1_3genE2ELNS1_11target_archE906ELNS1_3gpuE6ELNS1_3repE0EEENS1_30default_config_static_selectorELNS0_4arch9wavefront6targetE0EEEvT1_
	.globl	_ZN7rocprim17ROCPRIM_400000_NS6detail17trampoline_kernelINS0_14default_configENS1_20scan_config_selectorIiEEZZNS1_9scan_implILNS1_25lookback_scan_determinismE0ELb0ELb0ES3_N6thrust23THRUST_200600_302600_NS6detail15normal_iteratorINS9_10device_ptrIiEEEESE_iNS9_4plusIvEEiEEDaPvRmT3_T4_T5_mT6_P12ihipStream_tbENKUlT_T0_E_clISt17integral_constantIbLb0EESU_EEDaSP_SQ_EUlSP_E0_NS1_11comp_targetILNS1_3genE2ELNS1_11target_archE906ELNS1_3gpuE6ELNS1_3repE0EEENS1_30default_config_static_selectorELNS0_4arch9wavefront6targetE0EEEvT1_
	.p2align	8
	.type	_ZN7rocprim17ROCPRIM_400000_NS6detail17trampoline_kernelINS0_14default_configENS1_20scan_config_selectorIiEEZZNS1_9scan_implILNS1_25lookback_scan_determinismE0ELb0ELb0ES3_N6thrust23THRUST_200600_302600_NS6detail15normal_iteratorINS9_10device_ptrIiEEEESE_iNS9_4plusIvEEiEEDaPvRmT3_T4_T5_mT6_P12ihipStream_tbENKUlT_T0_E_clISt17integral_constantIbLb0EESU_EEDaSP_SQ_EUlSP_E0_NS1_11comp_targetILNS1_3genE2ELNS1_11target_archE906ELNS1_3gpuE6ELNS1_3repE0EEENS1_30default_config_static_selectorELNS0_4arch9wavefront6targetE0EEEvT1_,@function
_ZN7rocprim17ROCPRIM_400000_NS6detail17trampoline_kernelINS0_14default_configENS1_20scan_config_selectorIiEEZZNS1_9scan_implILNS1_25lookback_scan_determinismE0ELb0ELb0ES3_N6thrust23THRUST_200600_302600_NS6detail15normal_iteratorINS9_10device_ptrIiEEEESE_iNS9_4plusIvEEiEEDaPvRmT3_T4_T5_mT6_P12ihipStream_tbENKUlT_T0_E_clISt17integral_constantIbLb0EESU_EEDaSP_SQ_EUlSP_E0_NS1_11comp_targetILNS1_3genE2ELNS1_11target_archE906ELNS1_3gpuE6ELNS1_3repE0EEENS1_30default_config_static_selectorELNS0_4arch9wavefront6targetE0EEEvT1_: ; @_ZN7rocprim17ROCPRIM_400000_NS6detail17trampoline_kernelINS0_14default_configENS1_20scan_config_selectorIiEEZZNS1_9scan_implILNS1_25lookback_scan_determinismE0ELb0ELb0ES3_N6thrust23THRUST_200600_302600_NS6detail15normal_iteratorINS9_10device_ptrIiEEEESE_iNS9_4plusIvEEiEEDaPvRmT3_T4_T5_mT6_P12ihipStream_tbENKUlT_T0_E_clISt17integral_constantIbLb0EESU_EEDaSP_SQ_EUlSP_E0_NS1_11comp_targetILNS1_3genE2ELNS1_11target_archE906ELNS1_3gpuE6ELNS1_3repE0EEENS1_30default_config_static_selectorELNS0_4arch9wavefront6targetE0EEEvT1_
; %bb.0:
	.section	.rodata,"a",@progbits
	.p2align	6, 0x0
	.amdhsa_kernel _ZN7rocprim17ROCPRIM_400000_NS6detail17trampoline_kernelINS0_14default_configENS1_20scan_config_selectorIiEEZZNS1_9scan_implILNS1_25lookback_scan_determinismE0ELb0ELb0ES3_N6thrust23THRUST_200600_302600_NS6detail15normal_iteratorINS9_10device_ptrIiEEEESE_iNS9_4plusIvEEiEEDaPvRmT3_T4_T5_mT6_P12ihipStream_tbENKUlT_T0_E_clISt17integral_constantIbLb0EESU_EEDaSP_SQ_EUlSP_E0_NS1_11comp_targetILNS1_3genE2ELNS1_11target_archE906ELNS1_3gpuE6ELNS1_3repE0EEENS1_30default_config_static_selectorELNS0_4arch9wavefront6targetE0EEEvT1_
		.amdhsa_group_segment_fixed_size 0
		.amdhsa_private_segment_fixed_size 0
		.amdhsa_kernarg_size 32
		.amdhsa_user_sgpr_count 2
		.amdhsa_user_sgpr_dispatch_ptr 0
		.amdhsa_user_sgpr_queue_ptr 0
		.amdhsa_user_sgpr_kernarg_segment_ptr 1
		.amdhsa_user_sgpr_dispatch_id 0
		.amdhsa_user_sgpr_kernarg_preload_length 0
		.amdhsa_user_sgpr_kernarg_preload_offset 0
		.amdhsa_user_sgpr_private_segment_size 0
		.amdhsa_wavefront_size32 1
		.amdhsa_uses_dynamic_stack 0
		.amdhsa_enable_private_segment 0
		.amdhsa_system_sgpr_workgroup_id_x 1
		.amdhsa_system_sgpr_workgroup_id_y 0
		.amdhsa_system_sgpr_workgroup_id_z 0
		.amdhsa_system_sgpr_workgroup_info 0
		.amdhsa_system_vgpr_workitem_id 0
		.amdhsa_next_free_vgpr 1
		.amdhsa_next_free_sgpr 1
		.amdhsa_named_barrier_count 0
		.amdhsa_reserve_vcc 0
		.amdhsa_float_round_mode_32 0
		.amdhsa_float_round_mode_16_64 0
		.amdhsa_float_denorm_mode_32 3
		.amdhsa_float_denorm_mode_16_64 3
		.amdhsa_fp16_overflow 0
		.amdhsa_memory_ordered 1
		.amdhsa_forward_progress 1
		.amdhsa_inst_pref_size 0
		.amdhsa_round_robin_scheduling 0
		.amdhsa_exception_fp_ieee_invalid_op 0
		.amdhsa_exception_fp_denorm_src 0
		.amdhsa_exception_fp_ieee_div_zero 0
		.amdhsa_exception_fp_ieee_overflow 0
		.amdhsa_exception_fp_ieee_underflow 0
		.amdhsa_exception_fp_ieee_inexact 0
		.amdhsa_exception_int_div_zero 0
	.end_amdhsa_kernel
	.section	.text._ZN7rocprim17ROCPRIM_400000_NS6detail17trampoline_kernelINS0_14default_configENS1_20scan_config_selectorIiEEZZNS1_9scan_implILNS1_25lookback_scan_determinismE0ELb0ELb0ES3_N6thrust23THRUST_200600_302600_NS6detail15normal_iteratorINS9_10device_ptrIiEEEESE_iNS9_4plusIvEEiEEDaPvRmT3_T4_T5_mT6_P12ihipStream_tbENKUlT_T0_E_clISt17integral_constantIbLb0EESU_EEDaSP_SQ_EUlSP_E0_NS1_11comp_targetILNS1_3genE2ELNS1_11target_archE906ELNS1_3gpuE6ELNS1_3repE0EEENS1_30default_config_static_selectorELNS0_4arch9wavefront6targetE0EEEvT1_,"axG",@progbits,_ZN7rocprim17ROCPRIM_400000_NS6detail17trampoline_kernelINS0_14default_configENS1_20scan_config_selectorIiEEZZNS1_9scan_implILNS1_25lookback_scan_determinismE0ELb0ELb0ES3_N6thrust23THRUST_200600_302600_NS6detail15normal_iteratorINS9_10device_ptrIiEEEESE_iNS9_4plusIvEEiEEDaPvRmT3_T4_T5_mT6_P12ihipStream_tbENKUlT_T0_E_clISt17integral_constantIbLb0EESU_EEDaSP_SQ_EUlSP_E0_NS1_11comp_targetILNS1_3genE2ELNS1_11target_archE906ELNS1_3gpuE6ELNS1_3repE0EEENS1_30default_config_static_selectorELNS0_4arch9wavefront6targetE0EEEvT1_,comdat
.Lfunc_end22:
	.size	_ZN7rocprim17ROCPRIM_400000_NS6detail17trampoline_kernelINS0_14default_configENS1_20scan_config_selectorIiEEZZNS1_9scan_implILNS1_25lookback_scan_determinismE0ELb0ELb0ES3_N6thrust23THRUST_200600_302600_NS6detail15normal_iteratorINS9_10device_ptrIiEEEESE_iNS9_4plusIvEEiEEDaPvRmT3_T4_T5_mT6_P12ihipStream_tbENKUlT_T0_E_clISt17integral_constantIbLb0EESU_EEDaSP_SQ_EUlSP_E0_NS1_11comp_targetILNS1_3genE2ELNS1_11target_archE906ELNS1_3gpuE6ELNS1_3repE0EEENS1_30default_config_static_selectorELNS0_4arch9wavefront6targetE0EEEvT1_, .Lfunc_end22-_ZN7rocprim17ROCPRIM_400000_NS6detail17trampoline_kernelINS0_14default_configENS1_20scan_config_selectorIiEEZZNS1_9scan_implILNS1_25lookback_scan_determinismE0ELb0ELb0ES3_N6thrust23THRUST_200600_302600_NS6detail15normal_iteratorINS9_10device_ptrIiEEEESE_iNS9_4plusIvEEiEEDaPvRmT3_T4_T5_mT6_P12ihipStream_tbENKUlT_T0_E_clISt17integral_constantIbLb0EESU_EEDaSP_SQ_EUlSP_E0_NS1_11comp_targetILNS1_3genE2ELNS1_11target_archE906ELNS1_3gpuE6ELNS1_3repE0EEENS1_30default_config_static_selectorELNS0_4arch9wavefront6targetE0EEEvT1_
                                        ; -- End function
	.set _ZN7rocprim17ROCPRIM_400000_NS6detail17trampoline_kernelINS0_14default_configENS1_20scan_config_selectorIiEEZZNS1_9scan_implILNS1_25lookback_scan_determinismE0ELb0ELb0ES3_N6thrust23THRUST_200600_302600_NS6detail15normal_iteratorINS9_10device_ptrIiEEEESE_iNS9_4plusIvEEiEEDaPvRmT3_T4_T5_mT6_P12ihipStream_tbENKUlT_T0_E_clISt17integral_constantIbLb0EESU_EEDaSP_SQ_EUlSP_E0_NS1_11comp_targetILNS1_3genE2ELNS1_11target_archE906ELNS1_3gpuE6ELNS1_3repE0EEENS1_30default_config_static_selectorELNS0_4arch9wavefront6targetE0EEEvT1_.num_vgpr, 0
	.set _ZN7rocprim17ROCPRIM_400000_NS6detail17trampoline_kernelINS0_14default_configENS1_20scan_config_selectorIiEEZZNS1_9scan_implILNS1_25lookback_scan_determinismE0ELb0ELb0ES3_N6thrust23THRUST_200600_302600_NS6detail15normal_iteratorINS9_10device_ptrIiEEEESE_iNS9_4plusIvEEiEEDaPvRmT3_T4_T5_mT6_P12ihipStream_tbENKUlT_T0_E_clISt17integral_constantIbLb0EESU_EEDaSP_SQ_EUlSP_E0_NS1_11comp_targetILNS1_3genE2ELNS1_11target_archE906ELNS1_3gpuE6ELNS1_3repE0EEENS1_30default_config_static_selectorELNS0_4arch9wavefront6targetE0EEEvT1_.num_agpr, 0
	.set _ZN7rocprim17ROCPRIM_400000_NS6detail17trampoline_kernelINS0_14default_configENS1_20scan_config_selectorIiEEZZNS1_9scan_implILNS1_25lookback_scan_determinismE0ELb0ELb0ES3_N6thrust23THRUST_200600_302600_NS6detail15normal_iteratorINS9_10device_ptrIiEEEESE_iNS9_4plusIvEEiEEDaPvRmT3_T4_T5_mT6_P12ihipStream_tbENKUlT_T0_E_clISt17integral_constantIbLb0EESU_EEDaSP_SQ_EUlSP_E0_NS1_11comp_targetILNS1_3genE2ELNS1_11target_archE906ELNS1_3gpuE6ELNS1_3repE0EEENS1_30default_config_static_selectorELNS0_4arch9wavefront6targetE0EEEvT1_.numbered_sgpr, 0
	.set _ZN7rocprim17ROCPRIM_400000_NS6detail17trampoline_kernelINS0_14default_configENS1_20scan_config_selectorIiEEZZNS1_9scan_implILNS1_25lookback_scan_determinismE0ELb0ELb0ES3_N6thrust23THRUST_200600_302600_NS6detail15normal_iteratorINS9_10device_ptrIiEEEESE_iNS9_4plusIvEEiEEDaPvRmT3_T4_T5_mT6_P12ihipStream_tbENKUlT_T0_E_clISt17integral_constantIbLb0EESU_EEDaSP_SQ_EUlSP_E0_NS1_11comp_targetILNS1_3genE2ELNS1_11target_archE906ELNS1_3gpuE6ELNS1_3repE0EEENS1_30default_config_static_selectorELNS0_4arch9wavefront6targetE0EEEvT1_.num_named_barrier, 0
	.set _ZN7rocprim17ROCPRIM_400000_NS6detail17trampoline_kernelINS0_14default_configENS1_20scan_config_selectorIiEEZZNS1_9scan_implILNS1_25lookback_scan_determinismE0ELb0ELb0ES3_N6thrust23THRUST_200600_302600_NS6detail15normal_iteratorINS9_10device_ptrIiEEEESE_iNS9_4plusIvEEiEEDaPvRmT3_T4_T5_mT6_P12ihipStream_tbENKUlT_T0_E_clISt17integral_constantIbLb0EESU_EEDaSP_SQ_EUlSP_E0_NS1_11comp_targetILNS1_3genE2ELNS1_11target_archE906ELNS1_3gpuE6ELNS1_3repE0EEENS1_30default_config_static_selectorELNS0_4arch9wavefront6targetE0EEEvT1_.private_seg_size, 0
	.set _ZN7rocprim17ROCPRIM_400000_NS6detail17trampoline_kernelINS0_14default_configENS1_20scan_config_selectorIiEEZZNS1_9scan_implILNS1_25lookback_scan_determinismE0ELb0ELb0ES3_N6thrust23THRUST_200600_302600_NS6detail15normal_iteratorINS9_10device_ptrIiEEEESE_iNS9_4plusIvEEiEEDaPvRmT3_T4_T5_mT6_P12ihipStream_tbENKUlT_T0_E_clISt17integral_constantIbLb0EESU_EEDaSP_SQ_EUlSP_E0_NS1_11comp_targetILNS1_3genE2ELNS1_11target_archE906ELNS1_3gpuE6ELNS1_3repE0EEENS1_30default_config_static_selectorELNS0_4arch9wavefront6targetE0EEEvT1_.uses_vcc, 0
	.set _ZN7rocprim17ROCPRIM_400000_NS6detail17trampoline_kernelINS0_14default_configENS1_20scan_config_selectorIiEEZZNS1_9scan_implILNS1_25lookback_scan_determinismE0ELb0ELb0ES3_N6thrust23THRUST_200600_302600_NS6detail15normal_iteratorINS9_10device_ptrIiEEEESE_iNS9_4plusIvEEiEEDaPvRmT3_T4_T5_mT6_P12ihipStream_tbENKUlT_T0_E_clISt17integral_constantIbLb0EESU_EEDaSP_SQ_EUlSP_E0_NS1_11comp_targetILNS1_3genE2ELNS1_11target_archE906ELNS1_3gpuE6ELNS1_3repE0EEENS1_30default_config_static_selectorELNS0_4arch9wavefront6targetE0EEEvT1_.uses_flat_scratch, 0
	.set _ZN7rocprim17ROCPRIM_400000_NS6detail17trampoline_kernelINS0_14default_configENS1_20scan_config_selectorIiEEZZNS1_9scan_implILNS1_25lookback_scan_determinismE0ELb0ELb0ES3_N6thrust23THRUST_200600_302600_NS6detail15normal_iteratorINS9_10device_ptrIiEEEESE_iNS9_4plusIvEEiEEDaPvRmT3_T4_T5_mT6_P12ihipStream_tbENKUlT_T0_E_clISt17integral_constantIbLb0EESU_EEDaSP_SQ_EUlSP_E0_NS1_11comp_targetILNS1_3genE2ELNS1_11target_archE906ELNS1_3gpuE6ELNS1_3repE0EEENS1_30default_config_static_selectorELNS0_4arch9wavefront6targetE0EEEvT1_.has_dyn_sized_stack, 0
	.set _ZN7rocprim17ROCPRIM_400000_NS6detail17trampoline_kernelINS0_14default_configENS1_20scan_config_selectorIiEEZZNS1_9scan_implILNS1_25lookback_scan_determinismE0ELb0ELb0ES3_N6thrust23THRUST_200600_302600_NS6detail15normal_iteratorINS9_10device_ptrIiEEEESE_iNS9_4plusIvEEiEEDaPvRmT3_T4_T5_mT6_P12ihipStream_tbENKUlT_T0_E_clISt17integral_constantIbLb0EESU_EEDaSP_SQ_EUlSP_E0_NS1_11comp_targetILNS1_3genE2ELNS1_11target_archE906ELNS1_3gpuE6ELNS1_3repE0EEENS1_30default_config_static_selectorELNS0_4arch9wavefront6targetE0EEEvT1_.has_recursion, 0
	.set _ZN7rocprim17ROCPRIM_400000_NS6detail17trampoline_kernelINS0_14default_configENS1_20scan_config_selectorIiEEZZNS1_9scan_implILNS1_25lookback_scan_determinismE0ELb0ELb0ES3_N6thrust23THRUST_200600_302600_NS6detail15normal_iteratorINS9_10device_ptrIiEEEESE_iNS9_4plusIvEEiEEDaPvRmT3_T4_T5_mT6_P12ihipStream_tbENKUlT_T0_E_clISt17integral_constantIbLb0EESU_EEDaSP_SQ_EUlSP_E0_NS1_11comp_targetILNS1_3genE2ELNS1_11target_archE906ELNS1_3gpuE6ELNS1_3repE0EEENS1_30default_config_static_selectorELNS0_4arch9wavefront6targetE0EEEvT1_.has_indirect_call, 0
	.section	.AMDGPU.csdata,"",@progbits
; Kernel info:
; codeLenInByte = 0
; TotalNumSgprs: 0
; NumVgprs: 0
; ScratchSize: 0
; MemoryBound: 0
; FloatMode: 240
; IeeeMode: 1
; LDSByteSize: 0 bytes/workgroup (compile time only)
; SGPRBlocks: 0
; VGPRBlocks: 0
; NumSGPRsForWavesPerEU: 1
; NumVGPRsForWavesPerEU: 1
; NamedBarCnt: 0
; Occupancy: 16
; WaveLimiterHint : 0
; COMPUTE_PGM_RSRC2:SCRATCH_EN: 0
; COMPUTE_PGM_RSRC2:USER_SGPR: 2
; COMPUTE_PGM_RSRC2:TRAP_HANDLER: 0
; COMPUTE_PGM_RSRC2:TGID_X_EN: 1
; COMPUTE_PGM_RSRC2:TGID_Y_EN: 0
; COMPUTE_PGM_RSRC2:TGID_Z_EN: 0
; COMPUTE_PGM_RSRC2:TIDIG_COMP_CNT: 0
	.section	.text._ZN7rocprim17ROCPRIM_400000_NS6detail17trampoline_kernelINS0_14default_configENS1_20scan_config_selectorIiEEZZNS1_9scan_implILNS1_25lookback_scan_determinismE0ELb0ELb0ES3_N6thrust23THRUST_200600_302600_NS6detail15normal_iteratorINS9_10device_ptrIiEEEESE_iNS9_4plusIvEEiEEDaPvRmT3_T4_T5_mT6_P12ihipStream_tbENKUlT_T0_E_clISt17integral_constantIbLb0EESU_EEDaSP_SQ_EUlSP_E0_NS1_11comp_targetILNS1_3genE10ELNS1_11target_archE1201ELNS1_3gpuE5ELNS1_3repE0EEENS1_30default_config_static_selectorELNS0_4arch9wavefront6targetE0EEEvT1_,"axG",@progbits,_ZN7rocprim17ROCPRIM_400000_NS6detail17trampoline_kernelINS0_14default_configENS1_20scan_config_selectorIiEEZZNS1_9scan_implILNS1_25lookback_scan_determinismE0ELb0ELb0ES3_N6thrust23THRUST_200600_302600_NS6detail15normal_iteratorINS9_10device_ptrIiEEEESE_iNS9_4plusIvEEiEEDaPvRmT3_T4_T5_mT6_P12ihipStream_tbENKUlT_T0_E_clISt17integral_constantIbLb0EESU_EEDaSP_SQ_EUlSP_E0_NS1_11comp_targetILNS1_3genE10ELNS1_11target_archE1201ELNS1_3gpuE5ELNS1_3repE0EEENS1_30default_config_static_selectorELNS0_4arch9wavefront6targetE0EEEvT1_,comdat
	.protected	_ZN7rocprim17ROCPRIM_400000_NS6detail17trampoline_kernelINS0_14default_configENS1_20scan_config_selectorIiEEZZNS1_9scan_implILNS1_25lookback_scan_determinismE0ELb0ELb0ES3_N6thrust23THRUST_200600_302600_NS6detail15normal_iteratorINS9_10device_ptrIiEEEESE_iNS9_4plusIvEEiEEDaPvRmT3_T4_T5_mT6_P12ihipStream_tbENKUlT_T0_E_clISt17integral_constantIbLb0EESU_EEDaSP_SQ_EUlSP_E0_NS1_11comp_targetILNS1_3genE10ELNS1_11target_archE1201ELNS1_3gpuE5ELNS1_3repE0EEENS1_30default_config_static_selectorELNS0_4arch9wavefront6targetE0EEEvT1_ ; -- Begin function _ZN7rocprim17ROCPRIM_400000_NS6detail17trampoline_kernelINS0_14default_configENS1_20scan_config_selectorIiEEZZNS1_9scan_implILNS1_25lookback_scan_determinismE0ELb0ELb0ES3_N6thrust23THRUST_200600_302600_NS6detail15normal_iteratorINS9_10device_ptrIiEEEESE_iNS9_4plusIvEEiEEDaPvRmT3_T4_T5_mT6_P12ihipStream_tbENKUlT_T0_E_clISt17integral_constantIbLb0EESU_EEDaSP_SQ_EUlSP_E0_NS1_11comp_targetILNS1_3genE10ELNS1_11target_archE1201ELNS1_3gpuE5ELNS1_3repE0EEENS1_30default_config_static_selectorELNS0_4arch9wavefront6targetE0EEEvT1_
	.globl	_ZN7rocprim17ROCPRIM_400000_NS6detail17trampoline_kernelINS0_14default_configENS1_20scan_config_selectorIiEEZZNS1_9scan_implILNS1_25lookback_scan_determinismE0ELb0ELb0ES3_N6thrust23THRUST_200600_302600_NS6detail15normal_iteratorINS9_10device_ptrIiEEEESE_iNS9_4plusIvEEiEEDaPvRmT3_T4_T5_mT6_P12ihipStream_tbENKUlT_T0_E_clISt17integral_constantIbLb0EESU_EEDaSP_SQ_EUlSP_E0_NS1_11comp_targetILNS1_3genE10ELNS1_11target_archE1201ELNS1_3gpuE5ELNS1_3repE0EEENS1_30default_config_static_selectorELNS0_4arch9wavefront6targetE0EEEvT1_
	.p2align	8
	.type	_ZN7rocprim17ROCPRIM_400000_NS6detail17trampoline_kernelINS0_14default_configENS1_20scan_config_selectorIiEEZZNS1_9scan_implILNS1_25lookback_scan_determinismE0ELb0ELb0ES3_N6thrust23THRUST_200600_302600_NS6detail15normal_iteratorINS9_10device_ptrIiEEEESE_iNS9_4plusIvEEiEEDaPvRmT3_T4_T5_mT6_P12ihipStream_tbENKUlT_T0_E_clISt17integral_constantIbLb0EESU_EEDaSP_SQ_EUlSP_E0_NS1_11comp_targetILNS1_3genE10ELNS1_11target_archE1201ELNS1_3gpuE5ELNS1_3repE0EEENS1_30default_config_static_selectorELNS0_4arch9wavefront6targetE0EEEvT1_,@function
_ZN7rocprim17ROCPRIM_400000_NS6detail17trampoline_kernelINS0_14default_configENS1_20scan_config_selectorIiEEZZNS1_9scan_implILNS1_25lookback_scan_determinismE0ELb0ELb0ES3_N6thrust23THRUST_200600_302600_NS6detail15normal_iteratorINS9_10device_ptrIiEEEESE_iNS9_4plusIvEEiEEDaPvRmT3_T4_T5_mT6_P12ihipStream_tbENKUlT_T0_E_clISt17integral_constantIbLb0EESU_EEDaSP_SQ_EUlSP_E0_NS1_11comp_targetILNS1_3genE10ELNS1_11target_archE1201ELNS1_3gpuE5ELNS1_3repE0EEENS1_30default_config_static_selectorELNS0_4arch9wavefront6targetE0EEEvT1_: ; @_ZN7rocprim17ROCPRIM_400000_NS6detail17trampoline_kernelINS0_14default_configENS1_20scan_config_selectorIiEEZZNS1_9scan_implILNS1_25lookback_scan_determinismE0ELb0ELb0ES3_N6thrust23THRUST_200600_302600_NS6detail15normal_iteratorINS9_10device_ptrIiEEEESE_iNS9_4plusIvEEiEEDaPvRmT3_T4_T5_mT6_P12ihipStream_tbENKUlT_T0_E_clISt17integral_constantIbLb0EESU_EEDaSP_SQ_EUlSP_E0_NS1_11comp_targetILNS1_3genE10ELNS1_11target_archE1201ELNS1_3gpuE5ELNS1_3repE0EEENS1_30default_config_static_selectorELNS0_4arch9wavefront6targetE0EEEvT1_
; %bb.0:
	.section	.rodata,"a",@progbits
	.p2align	6, 0x0
	.amdhsa_kernel _ZN7rocprim17ROCPRIM_400000_NS6detail17trampoline_kernelINS0_14default_configENS1_20scan_config_selectorIiEEZZNS1_9scan_implILNS1_25lookback_scan_determinismE0ELb0ELb0ES3_N6thrust23THRUST_200600_302600_NS6detail15normal_iteratorINS9_10device_ptrIiEEEESE_iNS9_4plusIvEEiEEDaPvRmT3_T4_T5_mT6_P12ihipStream_tbENKUlT_T0_E_clISt17integral_constantIbLb0EESU_EEDaSP_SQ_EUlSP_E0_NS1_11comp_targetILNS1_3genE10ELNS1_11target_archE1201ELNS1_3gpuE5ELNS1_3repE0EEENS1_30default_config_static_selectorELNS0_4arch9wavefront6targetE0EEEvT1_
		.amdhsa_group_segment_fixed_size 0
		.amdhsa_private_segment_fixed_size 0
		.amdhsa_kernarg_size 32
		.amdhsa_user_sgpr_count 2
		.amdhsa_user_sgpr_dispatch_ptr 0
		.amdhsa_user_sgpr_queue_ptr 0
		.amdhsa_user_sgpr_kernarg_segment_ptr 1
		.amdhsa_user_sgpr_dispatch_id 0
		.amdhsa_user_sgpr_kernarg_preload_length 0
		.amdhsa_user_sgpr_kernarg_preload_offset 0
		.amdhsa_user_sgpr_private_segment_size 0
		.amdhsa_wavefront_size32 1
		.amdhsa_uses_dynamic_stack 0
		.amdhsa_enable_private_segment 0
		.amdhsa_system_sgpr_workgroup_id_x 1
		.amdhsa_system_sgpr_workgroup_id_y 0
		.amdhsa_system_sgpr_workgroup_id_z 0
		.amdhsa_system_sgpr_workgroup_info 0
		.amdhsa_system_vgpr_workitem_id 0
		.amdhsa_next_free_vgpr 1
		.amdhsa_next_free_sgpr 1
		.amdhsa_named_barrier_count 0
		.amdhsa_reserve_vcc 0
		.amdhsa_float_round_mode_32 0
		.amdhsa_float_round_mode_16_64 0
		.amdhsa_float_denorm_mode_32 3
		.amdhsa_float_denorm_mode_16_64 3
		.amdhsa_fp16_overflow 0
		.amdhsa_memory_ordered 1
		.amdhsa_forward_progress 1
		.amdhsa_inst_pref_size 0
		.amdhsa_round_robin_scheduling 0
		.amdhsa_exception_fp_ieee_invalid_op 0
		.amdhsa_exception_fp_denorm_src 0
		.amdhsa_exception_fp_ieee_div_zero 0
		.amdhsa_exception_fp_ieee_overflow 0
		.amdhsa_exception_fp_ieee_underflow 0
		.amdhsa_exception_fp_ieee_inexact 0
		.amdhsa_exception_int_div_zero 0
	.end_amdhsa_kernel
	.section	.text._ZN7rocprim17ROCPRIM_400000_NS6detail17trampoline_kernelINS0_14default_configENS1_20scan_config_selectorIiEEZZNS1_9scan_implILNS1_25lookback_scan_determinismE0ELb0ELb0ES3_N6thrust23THRUST_200600_302600_NS6detail15normal_iteratorINS9_10device_ptrIiEEEESE_iNS9_4plusIvEEiEEDaPvRmT3_T4_T5_mT6_P12ihipStream_tbENKUlT_T0_E_clISt17integral_constantIbLb0EESU_EEDaSP_SQ_EUlSP_E0_NS1_11comp_targetILNS1_3genE10ELNS1_11target_archE1201ELNS1_3gpuE5ELNS1_3repE0EEENS1_30default_config_static_selectorELNS0_4arch9wavefront6targetE0EEEvT1_,"axG",@progbits,_ZN7rocprim17ROCPRIM_400000_NS6detail17trampoline_kernelINS0_14default_configENS1_20scan_config_selectorIiEEZZNS1_9scan_implILNS1_25lookback_scan_determinismE0ELb0ELb0ES3_N6thrust23THRUST_200600_302600_NS6detail15normal_iteratorINS9_10device_ptrIiEEEESE_iNS9_4plusIvEEiEEDaPvRmT3_T4_T5_mT6_P12ihipStream_tbENKUlT_T0_E_clISt17integral_constantIbLb0EESU_EEDaSP_SQ_EUlSP_E0_NS1_11comp_targetILNS1_3genE10ELNS1_11target_archE1201ELNS1_3gpuE5ELNS1_3repE0EEENS1_30default_config_static_selectorELNS0_4arch9wavefront6targetE0EEEvT1_,comdat
.Lfunc_end23:
	.size	_ZN7rocprim17ROCPRIM_400000_NS6detail17trampoline_kernelINS0_14default_configENS1_20scan_config_selectorIiEEZZNS1_9scan_implILNS1_25lookback_scan_determinismE0ELb0ELb0ES3_N6thrust23THRUST_200600_302600_NS6detail15normal_iteratorINS9_10device_ptrIiEEEESE_iNS9_4plusIvEEiEEDaPvRmT3_T4_T5_mT6_P12ihipStream_tbENKUlT_T0_E_clISt17integral_constantIbLb0EESU_EEDaSP_SQ_EUlSP_E0_NS1_11comp_targetILNS1_3genE10ELNS1_11target_archE1201ELNS1_3gpuE5ELNS1_3repE0EEENS1_30default_config_static_selectorELNS0_4arch9wavefront6targetE0EEEvT1_, .Lfunc_end23-_ZN7rocprim17ROCPRIM_400000_NS6detail17trampoline_kernelINS0_14default_configENS1_20scan_config_selectorIiEEZZNS1_9scan_implILNS1_25lookback_scan_determinismE0ELb0ELb0ES3_N6thrust23THRUST_200600_302600_NS6detail15normal_iteratorINS9_10device_ptrIiEEEESE_iNS9_4plusIvEEiEEDaPvRmT3_T4_T5_mT6_P12ihipStream_tbENKUlT_T0_E_clISt17integral_constantIbLb0EESU_EEDaSP_SQ_EUlSP_E0_NS1_11comp_targetILNS1_3genE10ELNS1_11target_archE1201ELNS1_3gpuE5ELNS1_3repE0EEENS1_30default_config_static_selectorELNS0_4arch9wavefront6targetE0EEEvT1_
                                        ; -- End function
	.set _ZN7rocprim17ROCPRIM_400000_NS6detail17trampoline_kernelINS0_14default_configENS1_20scan_config_selectorIiEEZZNS1_9scan_implILNS1_25lookback_scan_determinismE0ELb0ELb0ES3_N6thrust23THRUST_200600_302600_NS6detail15normal_iteratorINS9_10device_ptrIiEEEESE_iNS9_4plusIvEEiEEDaPvRmT3_T4_T5_mT6_P12ihipStream_tbENKUlT_T0_E_clISt17integral_constantIbLb0EESU_EEDaSP_SQ_EUlSP_E0_NS1_11comp_targetILNS1_3genE10ELNS1_11target_archE1201ELNS1_3gpuE5ELNS1_3repE0EEENS1_30default_config_static_selectorELNS0_4arch9wavefront6targetE0EEEvT1_.num_vgpr, 0
	.set _ZN7rocprim17ROCPRIM_400000_NS6detail17trampoline_kernelINS0_14default_configENS1_20scan_config_selectorIiEEZZNS1_9scan_implILNS1_25lookback_scan_determinismE0ELb0ELb0ES3_N6thrust23THRUST_200600_302600_NS6detail15normal_iteratorINS9_10device_ptrIiEEEESE_iNS9_4plusIvEEiEEDaPvRmT3_T4_T5_mT6_P12ihipStream_tbENKUlT_T0_E_clISt17integral_constantIbLb0EESU_EEDaSP_SQ_EUlSP_E0_NS1_11comp_targetILNS1_3genE10ELNS1_11target_archE1201ELNS1_3gpuE5ELNS1_3repE0EEENS1_30default_config_static_selectorELNS0_4arch9wavefront6targetE0EEEvT1_.num_agpr, 0
	.set _ZN7rocprim17ROCPRIM_400000_NS6detail17trampoline_kernelINS0_14default_configENS1_20scan_config_selectorIiEEZZNS1_9scan_implILNS1_25lookback_scan_determinismE0ELb0ELb0ES3_N6thrust23THRUST_200600_302600_NS6detail15normal_iteratorINS9_10device_ptrIiEEEESE_iNS9_4plusIvEEiEEDaPvRmT3_T4_T5_mT6_P12ihipStream_tbENKUlT_T0_E_clISt17integral_constantIbLb0EESU_EEDaSP_SQ_EUlSP_E0_NS1_11comp_targetILNS1_3genE10ELNS1_11target_archE1201ELNS1_3gpuE5ELNS1_3repE0EEENS1_30default_config_static_selectorELNS0_4arch9wavefront6targetE0EEEvT1_.numbered_sgpr, 0
	.set _ZN7rocprim17ROCPRIM_400000_NS6detail17trampoline_kernelINS0_14default_configENS1_20scan_config_selectorIiEEZZNS1_9scan_implILNS1_25lookback_scan_determinismE0ELb0ELb0ES3_N6thrust23THRUST_200600_302600_NS6detail15normal_iteratorINS9_10device_ptrIiEEEESE_iNS9_4plusIvEEiEEDaPvRmT3_T4_T5_mT6_P12ihipStream_tbENKUlT_T0_E_clISt17integral_constantIbLb0EESU_EEDaSP_SQ_EUlSP_E0_NS1_11comp_targetILNS1_3genE10ELNS1_11target_archE1201ELNS1_3gpuE5ELNS1_3repE0EEENS1_30default_config_static_selectorELNS0_4arch9wavefront6targetE0EEEvT1_.num_named_barrier, 0
	.set _ZN7rocprim17ROCPRIM_400000_NS6detail17trampoline_kernelINS0_14default_configENS1_20scan_config_selectorIiEEZZNS1_9scan_implILNS1_25lookback_scan_determinismE0ELb0ELb0ES3_N6thrust23THRUST_200600_302600_NS6detail15normal_iteratorINS9_10device_ptrIiEEEESE_iNS9_4plusIvEEiEEDaPvRmT3_T4_T5_mT6_P12ihipStream_tbENKUlT_T0_E_clISt17integral_constantIbLb0EESU_EEDaSP_SQ_EUlSP_E0_NS1_11comp_targetILNS1_3genE10ELNS1_11target_archE1201ELNS1_3gpuE5ELNS1_3repE0EEENS1_30default_config_static_selectorELNS0_4arch9wavefront6targetE0EEEvT1_.private_seg_size, 0
	.set _ZN7rocprim17ROCPRIM_400000_NS6detail17trampoline_kernelINS0_14default_configENS1_20scan_config_selectorIiEEZZNS1_9scan_implILNS1_25lookback_scan_determinismE0ELb0ELb0ES3_N6thrust23THRUST_200600_302600_NS6detail15normal_iteratorINS9_10device_ptrIiEEEESE_iNS9_4plusIvEEiEEDaPvRmT3_T4_T5_mT6_P12ihipStream_tbENKUlT_T0_E_clISt17integral_constantIbLb0EESU_EEDaSP_SQ_EUlSP_E0_NS1_11comp_targetILNS1_3genE10ELNS1_11target_archE1201ELNS1_3gpuE5ELNS1_3repE0EEENS1_30default_config_static_selectorELNS0_4arch9wavefront6targetE0EEEvT1_.uses_vcc, 0
	.set _ZN7rocprim17ROCPRIM_400000_NS6detail17trampoline_kernelINS0_14default_configENS1_20scan_config_selectorIiEEZZNS1_9scan_implILNS1_25lookback_scan_determinismE0ELb0ELb0ES3_N6thrust23THRUST_200600_302600_NS6detail15normal_iteratorINS9_10device_ptrIiEEEESE_iNS9_4plusIvEEiEEDaPvRmT3_T4_T5_mT6_P12ihipStream_tbENKUlT_T0_E_clISt17integral_constantIbLb0EESU_EEDaSP_SQ_EUlSP_E0_NS1_11comp_targetILNS1_3genE10ELNS1_11target_archE1201ELNS1_3gpuE5ELNS1_3repE0EEENS1_30default_config_static_selectorELNS0_4arch9wavefront6targetE0EEEvT1_.uses_flat_scratch, 0
	.set _ZN7rocprim17ROCPRIM_400000_NS6detail17trampoline_kernelINS0_14default_configENS1_20scan_config_selectorIiEEZZNS1_9scan_implILNS1_25lookback_scan_determinismE0ELb0ELb0ES3_N6thrust23THRUST_200600_302600_NS6detail15normal_iteratorINS9_10device_ptrIiEEEESE_iNS9_4plusIvEEiEEDaPvRmT3_T4_T5_mT6_P12ihipStream_tbENKUlT_T0_E_clISt17integral_constantIbLb0EESU_EEDaSP_SQ_EUlSP_E0_NS1_11comp_targetILNS1_3genE10ELNS1_11target_archE1201ELNS1_3gpuE5ELNS1_3repE0EEENS1_30default_config_static_selectorELNS0_4arch9wavefront6targetE0EEEvT1_.has_dyn_sized_stack, 0
	.set _ZN7rocprim17ROCPRIM_400000_NS6detail17trampoline_kernelINS0_14default_configENS1_20scan_config_selectorIiEEZZNS1_9scan_implILNS1_25lookback_scan_determinismE0ELb0ELb0ES3_N6thrust23THRUST_200600_302600_NS6detail15normal_iteratorINS9_10device_ptrIiEEEESE_iNS9_4plusIvEEiEEDaPvRmT3_T4_T5_mT6_P12ihipStream_tbENKUlT_T0_E_clISt17integral_constantIbLb0EESU_EEDaSP_SQ_EUlSP_E0_NS1_11comp_targetILNS1_3genE10ELNS1_11target_archE1201ELNS1_3gpuE5ELNS1_3repE0EEENS1_30default_config_static_selectorELNS0_4arch9wavefront6targetE0EEEvT1_.has_recursion, 0
	.set _ZN7rocprim17ROCPRIM_400000_NS6detail17trampoline_kernelINS0_14default_configENS1_20scan_config_selectorIiEEZZNS1_9scan_implILNS1_25lookback_scan_determinismE0ELb0ELb0ES3_N6thrust23THRUST_200600_302600_NS6detail15normal_iteratorINS9_10device_ptrIiEEEESE_iNS9_4plusIvEEiEEDaPvRmT3_T4_T5_mT6_P12ihipStream_tbENKUlT_T0_E_clISt17integral_constantIbLb0EESU_EEDaSP_SQ_EUlSP_E0_NS1_11comp_targetILNS1_3genE10ELNS1_11target_archE1201ELNS1_3gpuE5ELNS1_3repE0EEENS1_30default_config_static_selectorELNS0_4arch9wavefront6targetE0EEEvT1_.has_indirect_call, 0
	.section	.AMDGPU.csdata,"",@progbits
; Kernel info:
; codeLenInByte = 0
; TotalNumSgprs: 0
; NumVgprs: 0
; ScratchSize: 0
; MemoryBound: 0
; FloatMode: 240
; IeeeMode: 1
; LDSByteSize: 0 bytes/workgroup (compile time only)
; SGPRBlocks: 0
; VGPRBlocks: 0
; NumSGPRsForWavesPerEU: 1
; NumVGPRsForWavesPerEU: 1
; NamedBarCnt: 0
; Occupancy: 16
; WaveLimiterHint : 0
; COMPUTE_PGM_RSRC2:SCRATCH_EN: 0
; COMPUTE_PGM_RSRC2:USER_SGPR: 2
; COMPUTE_PGM_RSRC2:TRAP_HANDLER: 0
; COMPUTE_PGM_RSRC2:TGID_X_EN: 1
; COMPUTE_PGM_RSRC2:TGID_Y_EN: 0
; COMPUTE_PGM_RSRC2:TGID_Z_EN: 0
; COMPUTE_PGM_RSRC2:TIDIG_COMP_CNT: 0
	.section	.text._ZN7rocprim17ROCPRIM_400000_NS6detail17trampoline_kernelINS0_14default_configENS1_20scan_config_selectorIiEEZZNS1_9scan_implILNS1_25lookback_scan_determinismE0ELb0ELb0ES3_N6thrust23THRUST_200600_302600_NS6detail15normal_iteratorINS9_10device_ptrIiEEEESE_iNS9_4plusIvEEiEEDaPvRmT3_T4_T5_mT6_P12ihipStream_tbENKUlT_T0_E_clISt17integral_constantIbLb0EESU_EEDaSP_SQ_EUlSP_E0_NS1_11comp_targetILNS1_3genE10ELNS1_11target_archE1200ELNS1_3gpuE4ELNS1_3repE0EEENS1_30default_config_static_selectorELNS0_4arch9wavefront6targetE0EEEvT1_,"axG",@progbits,_ZN7rocprim17ROCPRIM_400000_NS6detail17trampoline_kernelINS0_14default_configENS1_20scan_config_selectorIiEEZZNS1_9scan_implILNS1_25lookback_scan_determinismE0ELb0ELb0ES3_N6thrust23THRUST_200600_302600_NS6detail15normal_iteratorINS9_10device_ptrIiEEEESE_iNS9_4plusIvEEiEEDaPvRmT3_T4_T5_mT6_P12ihipStream_tbENKUlT_T0_E_clISt17integral_constantIbLb0EESU_EEDaSP_SQ_EUlSP_E0_NS1_11comp_targetILNS1_3genE10ELNS1_11target_archE1200ELNS1_3gpuE4ELNS1_3repE0EEENS1_30default_config_static_selectorELNS0_4arch9wavefront6targetE0EEEvT1_,comdat
	.protected	_ZN7rocprim17ROCPRIM_400000_NS6detail17trampoline_kernelINS0_14default_configENS1_20scan_config_selectorIiEEZZNS1_9scan_implILNS1_25lookback_scan_determinismE0ELb0ELb0ES3_N6thrust23THRUST_200600_302600_NS6detail15normal_iteratorINS9_10device_ptrIiEEEESE_iNS9_4plusIvEEiEEDaPvRmT3_T4_T5_mT6_P12ihipStream_tbENKUlT_T0_E_clISt17integral_constantIbLb0EESU_EEDaSP_SQ_EUlSP_E0_NS1_11comp_targetILNS1_3genE10ELNS1_11target_archE1200ELNS1_3gpuE4ELNS1_3repE0EEENS1_30default_config_static_selectorELNS0_4arch9wavefront6targetE0EEEvT1_ ; -- Begin function _ZN7rocprim17ROCPRIM_400000_NS6detail17trampoline_kernelINS0_14default_configENS1_20scan_config_selectorIiEEZZNS1_9scan_implILNS1_25lookback_scan_determinismE0ELb0ELb0ES3_N6thrust23THRUST_200600_302600_NS6detail15normal_iteratorINS9_10device_ptrIiEEEESE_iNS9_4plusIvEEiEEDaPvRmT3_T4_T5_mT6_P12ihipStream_tbENKUlT_T0_E_clISt17integral_constantIbLb0EESU_EEDaSP_SQ_EUlSP_E0_NS1_11comp_targetILNS1_3genE10ELNS1_11target_archE1200ELNS1_3gpuE4ELNS1_3repE0EEENS1_30default_config_static_selectorELNS0_4arch9wavefront6targetE0EEEvT1_
	.globl	_ZN7rocprim17ROCPRIM_400000_NS6detail17trampoline_kernelINS0_14default_configENS1_20scan_config_selectorIiEEZZNS1_9scan_implILNS1_25lookback_scan_determinismE0ELb0ELb0ES3_N6thrust23THRUST_200600_302600_NS6detail15normal_iteratorINS9_10device_ptrIiEEEESE_iNS9_4plusIvEEiEEDaPvRmT3_T4_T5_mT6_P12ihipStream_tbENKUlT_T0_E_clISt17integral_constantIbLb0EESU_EEDaSP_SQ_EUlSP_E0_NS1_11comp_targetILNS1_3genE10ELNS1_11target_archE1200ELNS1_3gpuE4ELNS1_3repE0EEENS1_30default_config_static_selectorELNS0_4arch9wavefront6targetE0EEEvT1_
	.p2align	8
	.type	_ZN7rocprim17ROCPRIM_400000_NS6detail17trampoline_kernelINS0_14default_configENS1_20scan_config_selectorIiEEZZNS1_9scan_implILNS1_25lookback_scan_determinismE0ELb0ELb0ES3_N6thrust23THRUST_200600_302600_NS6detail15normal_iteratorINS9_10device_ptrIiEEEESE_iNS9_4plusIvEEiEEDaPvRmT3_T4_T5_mT6_P12ihipStream_tbENKUlT_T0_E_clISt17integral_constantIbLb0EESU_EEDaSP_SQ_EUlSP_E0_NS1_11comp_targetILNS1_3genE10ELNS1_11target_archE1200ELNS1_3gpuE4ELNS1_3repE0EEENS1_30default_config_static_selectorELNS0_4arch9wavefront6targetE0EEEvT1_,@function
_ZN7rocprim17ROCPRIM_400000_NS6detail17trampoline_kernelINS0_14default_configENS1_20scan_config_selectorIiEEZZNS1_9scan_implILNS1_25lookback_scan_determinismE0ELb0ELb0ES3_N6thrust23THRUST_200600_302600_NS6detail15normal_iteratorINS9_10device_ptrIiEEEESE_iNS9_4plusIvEEiEEDaPvRmT3_T4_T5_mT6_P12ihipStream_tbENKUlT_T0_E_clISt17integral_constantIbLb0EESU_EEDaSP_SQ_EUlSP_E0_NS1_11comp_targetILNS1_3genE10ELNS1_11target_archE1200ELNS1_3gpuE4ELNS1_3repE0EEENS1_30default_config_static_selectorELNS0_4arch9wavefront6targetE0EEEvT1_: ; @_ZN7rocprim17ROCPRIM_400000_NS6detail17trampoline_kernelINS0_14default_configENS1_20scan_config_selectorIiEEZZNS1_9scan_implILNS1_25lookback_scan_determinismE0ELb0ELb0ES3_N6thrust23THRUST_200600_302600_NS6detail15normal_iteratorINS9_10device_ptrIiEEEESE_iNS9_4plusIvEEiEEDaPvRmT3_T4_T5_mT6_P12ihipStream_tbENKUlT_T0_E_clISt17integral_constantIbLb0EESU_EEDaSP_SQ_EUlSP_E0_NS1_11comp_targetILNS1_3genE10ELNS1_11target_archE1200ELNS1_3gpuE4ELNS1_3repE0EEENS1_30default_config_static_selectorELNS0_4arch9wavefront6targetE0EEEvT1_
; %bb.0:
	.section	.rodata,"a",@progbits
	.p2align	6, 0x0
	.amdhsa_kernel _ZN7rocprim17ROCPRIM_400000_NS6detail17trampoline_kernelINS0_14default_configENS1_20scan_config_selectorIiEEZZNS1_9scan_implILNS1_25lookback_scan_determinismE0ELb0ELb0ES3_N6thrust23THRUST_200600_302600_NS6detail15normal_iteratorINS9_10device_ptrIiEEEESE_iNS9_4plusIvEEiEEDaPvRmT3_T4_T5_mT6_P12ihipStream_tbENKUlT_T0_E_clISt17integral_constantIbLb0EESU_EEDaSP_SQ_EUlSP_E0_NS1_11comp_targetILNS1_3genE10ELNS1_11target_archE1200ELNS1_3gpuE4ELNS1_3repE0EEENS1_30default_config_static_selectorELNS0_4arch9wavefront6targetE0EEEvT1_
		.amdhsa_group_segment_fixed_size 0
		.amdhsa_private_segment_fixed_size 0
		.amdhsa_kernarg_size 32
		.amdhsa_user_sgpr_count 2
		.amdhsa_user_sgpr_dispatch_ptr 0
		.amdhsa_user_sgpr_queue_ptr 0
		.amdhsa_user_sgpr_kernarg_segment_ptr 1
		.amdhsa_user_sgpr_dispatch_id 0
		.amdhsa_user_sgpr_kernarg_preload_length 0
		.amdhsa_user_sgpr_kernarg_preload_offset 0
		.amdhsa_user_sgpr_private_segment_size 0
		.amdhsa_wavefront_size32 1
		.amdhsa_uses_dynamic_stack 0
		.amdhsa_enable_private_segment 0
		.amdhsa_system_sgpr_workgroup_id_x 1
		.amdhsa_system_sgpr_workgroup_id_y 0
		.amdhsa_system_sgpr_workgroup_id_z 0
		.amdhsa_system_sgpr_workgroup_info 0
		.amdhsa_system_vgpr_workitem_id 0
		.amdhsa_next_free_vgpr 1
		.amdhsa_next_free_sgpr 1
		.amdhsa_named_barrier_count 0
		.amdhsa_reserve_vcc 0
		.amdhsa_float_round_mode_32 0
		.amdhsa_float_round_mode_16_64 0
		.amdhsa_float_denorm_mode_32 3
		.amdhsa_float_denorm_mode_16_64 3
		.amdhsa_fp16_overflow 0
		.amdhsa_memory_ordered 1
		.amdhsa_forward_progress 1
		.amdhsa_inst_pref_size 0
		.amdhsa_round_robin_scheduling 0
		.amdhsa_exception_fp_ieee_invalid_op 0
		.amdhsa_exception_fp_denorm_src 0
		.amdhsa_exception_fp_ieee_div_zero 0
		.amdhsa_exception_fp_ieee_overflow 0
		.amdhsa_exception_fp_ieee_underflow 0
		.amdhsa_exception_fp_ieee_inexact 0
		.amdhsa_exception_int_div_zero 0
	.end_amdhsa_kernel
	.section	.text._ZN7rocprim17ROCPRIM_400000_NS6detail17trampoline_kernelINS0_14default_configENS1_20scan_config_selectorIiEEZZNS1_9scan_implILNS1_25lookback_scan_determinismE0ELb0ELb0ES3_N6thrust23THRUST_200600_302600_NS6detail15normal_iteratorINS9_10device_ptrIiEEEESE_iNS9_4plusIvEEiEEDaPvRmT3_T4_T5_mT6_P12ihipStream_tbENKUlT_T0_E_clISt17integral_constantIbLb0EESU_EEDaSP_SQ_EUlSP_E0_NS1_11comp_targetILNS1_3genE10ELNS1_11target_archE1200ELNS1_3gpuE4ELNS1_3repE0EEENS1_30default_config_static_selectorELNS0_4arch9wavefront6targetE0EEEvT1_,"axG",@progbits,_ZN7rocprim17ROCPRIM_400000_NS6detail17trampoline_kernelINS0_14default_configENS1_20scan_config_selectorIiEEZZNS1_9scan_implILNS1_25lookback_scan_determinismE0ELb0ELb0ES3_N6thrust23THRUST_200600_302600_NS6detail15normal_iteratorINS9_10device_ptrIiEEEESE_iNS9_4plusIvEEiEEDaPvRmT3_T4_T5_mT6_P12ihipStream_tbENKUlT_T0_E_clISt17integral_constantIbLb0EESU_EEDaSP_SQ_EUlSP_E0_NS1_11comp_targetILNS1_3genE10ELNS1_11target_archE1200ELNS1_3gpuE4ELNS1_3repE0EEENS1_30default_config_static_selectorELNS0_4arch9wavefront6targetE0EEEvT1_,comdat
.Lfunc_end24:
	.size	_ZN7rocprim17ROCPRIM_400000_NS6detail17trampoline_kernelINS0_14default_configENS1_20scan_config_selectorIiEEZZNS1_9scan_implILNS1_25lookback_scan_determinismE0ELb0ELb0ES3_N6thrust23THRUST_200600_302600_NS6detail15normal_iteratorINS9_10device_ptrIiEEEESE_iNS9_4plusIvEEiEEDaPvRmT3_T4_T5_mT6_P12ihipStream_tbENKUlT_T0_E_clISt17integral_constantIbLb0EESU_EEDaSP_SQ_EUlSP_E0_NS1_11comp_targetILNS1_3genE10ELNS1_11target_archE1200ELNS1_3gpuE4ELNS1_3repE0EEENS1_30default_config_static_selectorELNS0_4arch9wavefront6targetE0EEEvT1_, .Lfunc_end24-_ZN7rocprim17ROCPRIM_400000_NS6detail17trampoline_kernelINS0_14default_configENS1_20scan_config_selectorIiEEZZNS1_9scan_implILNS1_25lookback_scan_determinismE0ELb0ELb0ES3_N6thrust23THRUST_200600_302600_NS6detail15normal_iteratorINS9_10device_ptrIiEEEESE_iNS9_4plusIvEEiEEDaPvRmT3_T4_T5_mT6_P12ihipStream_tbENKUlT_T0_E_clISt17integral_constantIbLb0EESU_EEDaSP_SQ_EUlSP_E0_NS1_11comp_targetILNS1_3genE10ELNS1_11target_archE1200ELNS1_3gpuE4ELNS1_3repE0EEENS1_30default_config_static_selectorELNS0_4arch9wavefront6targetE0EEEvT1_
                                        ; -- End function
	.set _ZN7rocprim17ROCPRIM_400000_NS6detail17trampoline_kernelINS0_14default_configENS1_20scan_config_selectorIiEEZZNS1_9scan_implILNS1_25lookback_scan_determinismE0ELb0ELb0ES3_N6thrust23THRUST_200600_302600_NS6detail15normal_iteratorINS9_10device_ptrIiEEEESE_iNS9_4plusIvEEiEEDaPvRmT3_T4_T5_mT6_P12ihipStream_tbENKUlT_T0_E_clISt17integral_constantIbLb0EESU_EEDaSP_SQ_EUlSP_E0_NS1_11comp_targetILNS1_3genE10ELNS1_11target_archE1200ELNS1_3gpuE4ELNS1_3repE0EEENS1_30default_config_static_selectorELNS0_4arch9wavefront6targetE0EEEvT1_.num_vgpr, 0
	.set _ZN7rocprim17ROCPRIM_400000_NS6detail17trampoline_kernelINS0_14default_configENS1_20scan_config_selectorIiEEZZNS1_9scan_implILNS1_25lookback_scan_determinismE0ELb0ELb0ES3_N6thrust23THRUST_200600_302600_NS6detail15normal_iteratorINS9_10device_ptrIiEEEESE_iNS9_4plusIvEEiEEDaPvRmT3_T4_T5_mT6_P12ihipStream_tbENKUlT_T0_E_clISt17integral_constantIbLb0EESU_EEDaSP_SQ_EUlSP_E0_NS1_11comp_targetILNS1_3genE10ELNS1_11target_archE1200ELNS1_3gpuE4ELNS1_3repE0EEENS1_30default_config_static_selectorELNS0_4arch9wavefront6targetE0EEEvT1_.num_agpr, 0
	.set _ZN7rocprim17ROCPRIM_400000_NS6detail17trampoline_kernelINS0_14default_configENS1_20scan_config_selectorIiEEZZNS1_9scan_implILNS1_25lookback_scan_determinismE0ELb0ELb0ES3_N6thrust23THRUST_200600_302600_NS6detail15normal_iteratorINS9_10device_ptrIiEEEESE_iNS9_4plusIvEEiEEDaPvRmT3_T4_T5_mT6_P12ihipStream_tbENKUlT_T0_E_clISt17integral_constantIbLb0EESU_EEDaSP_SQ_EUlSP_E0_NS1_11comp_targetILNS1_3genE10ELNS1_11target_archE1200ELNS1_3gpuE4ELNS1_3repE0EEENS1_30default_config_static_selectorELNS0_4arch9wavefront6targetE0EEEvT1_.numbered_sgpr, 0
	.set _ZN7rocprim17ROCPRIM_400000_NS6detail17trampoline_kernelINS0_14default_configENS1_20scan_config_selectorIiEEZZNS1_9scan_implILNS1_25lookback_scan_determinismE0ELb0ELb0ES3_N6thrust23THRUST_200600_302600_NS6detail15normal_iteratorINS9_10device_ptrIiEEEESE_iNS9_4plusIvEEiEEDaPvRmT3_T4_T5_mT6_P12ihipStream_tbENKUlT_T0_E_clISt17integral_constantIbLb0EESU_EEDaSP_SQ_EUlSP_E0_NS1_11comp_targetILNS1_3genE10ELNS1_11target_archE1200ELNS1_3gpuE4ELNS1_3repE0EEENS1_30default_config_static_selectorELNS0_4arch9wavefront6targetE0EEEvT1_.num_named_barrier, 0
	.set _ZN7rocprim17ROCPRIM_400000_NS6detail17trampoline_kernelINS0_14default_configENS1_20scan_config_selectorIiEEZZNS1_9scan_implILNS1_25lookback_scan_determinismE0ELb0ELb0ES3_N6thrust23THRUST_200600_302600_NS6detail15normal_iteratorINS9_10device_ptrIiEEEESE_iNS9_4plusIvEEiEEDaPvRmT3_T4_T5_mT6_P12ihipStream_tbENKUlT_T0_E_clISt17integral_constantIbLb0EESU_EEDaSP_SQ_EUlSP_E0_NS1_11comp_targetILNS1_3genE10ELNS1_11target_archE1200ELNS1_3gpuE4ELNS1_3repE0EEENS1_30default_config_static_selectorELNS0_4arch9wavefront6targetE0EEEvT1_.private_seg_size, 0
	.set _ZN7rocprim17ROCPRIM_400000_NS6detail17trampoline_kernelINS0_14default_configENS1_20scan_config_selectorIiEEZZNS1_9scan_implILNS1_25lookback_scan_determinismE0ELb0ELb0ES3_N6thrust23THRUST_200600_302600_NS6detail15normal_iteratorINS9_10device_ptrIiEEEESE_iNS9_4plusIvEEiEEDaPvRmT3_T4_T5_mT6_P12ihipStream_tbENKUlT_T0_E_clISt17integral_constantIbLb0EESU_EEDaSP_SQ_EUlSP_E0_NS1_11comp_targetILNS1_3genE10ELNS1_11target_archE1200ELNS1_3gpuE4ELNS1_3repE0EEENS1_30default_config_static_selectorELNS0_4arch9wavefront6targetE0EEEvT1_.uses_vcc, 0
	.set _ZN7rocprim17ROCPRIM_400000_NS6detail17trampoline_kernelINS0_14default_configENS1_20scan_config_selectorIiEEZZNS1_9scan_implILNS1_25lookback_scan_determinismE0ELb0ELb0ES3_N6thrust23THRUST_200600_302600_NS6detail15normal_iteratorINS9_10device_ptrIiEEEESE_iNS9_4plusIvEEiEEDaPvRmT3_T4_T5_mT6_P12ihipStream_tbENKUlT_T0_E_clISt17integral_constantIbLb0EESU_EEDaSP_SQ_EUlSP_E0_NS1_11comp_targetILNS1_3genE10ELNS1_11target_archE1200ELNS1_3gpuE4ELNS1_3repE0EEENS1_30default_config_static_selectorELNS0_4arch9wavefront6targetE0EEEvT1_.uses_flat_scratch, 0
	.set _ZN7rocprim17ROCPRIM_400000_NS6detail17trampoline_kernelINS0_14default_configENS1_20scan_config_selectorIiEEZZNS1_9scan_implILNS1_25lookback_scan_determinismE0ELb0ELb0ES3_N6thrust23THRUST_200600_302600_NS6detail15normal_iteratorINS9_10device_ptrIiEEEESE_iNS9_4plusIvEEiEEDaPvRmT3_T4_T5_mT6_P12ihipStream_tbENKUlT_T0_E_clISt17integral_constantIbLb0EESU_EEDaSP_SQ_EUlSP_E0_NS1_11comp_targetILNS1_3genE10ELNS1_11target_archE1200ELNS1_3gpuE4ELNS1_3repE0EEENS1_30default_config_static_selectorELNS0_4arch9wavefront6targetE0EEEvT1_.has_dyn_sized_stack, 0
	.set _ZN7rocprim17ROCPRIM_400000_NS6detail17trampoline_kernelINS0_14default_configENS1_20scan_config_selectorIiEEZZNS1_9scan_implILNS1_25lookback_scan_determinismE0ELb0ELb0ES3_N6thrust23THRUST_200600_302600_NS6detail15normal_iteratorINS9_10device_ptrIiEEEESE_iNS9_4plusIvEEiEEDaPvRmT3_T4_T5_mT6_P12ihipStream_tbENKUlT_T0_E_clISt17integral_constantIbLb0EESU_EEDaSP_SQ_EUlSP_E0_NS1_11comp_targetILNS1_3genE10ELNS1_11target_archE1200ELNS1_3gpuE4ELNS1_3repE0EEENS1_30default_config_static_selectorELNS0_4arch9wavefront6targetE0EEEvT1_.has_recursion, 0
	.set _ZN7rocprim17ROCPRIM_400000_NS6detail17trampoline_kernelINS0_14default_configENS1_20scan_config_selectorIiEEZZNS1_9scan_implILNS1_25lookback_scan_determinismE0ELb0ELb0ES3_N6thrust23THRUST_200600_302600_NS6detail15normal_iteratorINS9_10device_ptrIiEEEESE_iNS9_4plusIvEEiEEDaPvRmT3_T4_T5_mT6_P12ihipStream_tbENKUlT_T0_E_clISt17integral_constantIbLb0EESU_EEDaSP_SQ_EUlSP_E0_NS1_11comp_targetILNS1_3genE10ELNS1_11target_archE1200ELNS1_3gpuE4ELNS1_3repE0EEENS1_30default_config_static_selectorELNS0_4arch9wavefront6targetE0EEEvT1_.has_indirect_call, 0
	.section	.AMDGPU.csdata,"",@progbits
; Kernel info:
; codeLenInByte = 0
; TotalNumSgprs: 0
; NumVgprs: 0
; ScratchSize: 0
; MemoryBound: 0
; FloatMode: 240
; IeeeMode: 1
; LDSByteSize: 0 bytes/workgroup (compile time only)
; SGPRBlocks: 0
; VGPRBlocks: 0
; NumSGPRsForWavesPerEU: 1
; NumVGPRsForWavesPerEU: 1
; NamedBarCnt: 0
; Occupancy: 16
; WaveLimiterHint : 0
; COMPUTE_PGM_RSRC2:SCRATCH_EN: 0
; COMPUTE_PGM_RSRC2:USER_SGPR: 2
; COMPUTE_PGM_RSRC2:TRAP_HANDLER: 0
; COMPUTE_PGM_RSRC2:TGID_X_EN: 1
; COMPUTE_PGM_RSRC2:TGID_Y_EN: 0
; COMPUTE_PGM_RSRC2:TGID_Z_EN: 0
; COMPUTE_PGM_RSRC2:TIDIG_COMP_CNT: 0
	.section	.text._ZN7rocprim17ROCPRIM_400000_NS6detail17trampoline_kernelINS0_14default_configENS1_20scan_config_selectorIiEEZZNS1_9scan_implILNS1_25lookback_scan_determinismE0ELb0ELb0ES3_N6thrust23THRUST_200600_302600_NS6detail15normal_iteratorINS9_10device_ptrIiEEEESE_iNS9_4plusIvEEiEEDaPvRmT3_T4_T5_mT6_P12ihipStream_tbENKUlT_T0_E_clISt17integral_constantIbLb0EESU_EEDaSP_SQ_EUlSP_E0_NS1_11comp_targetILNS1_3genE9ELNS1_11target_archE1100ELNS1_3gpuE3ELNS1_3repE0EEENS1_30default_config_static_selectorELNS0_4arch9wavefront6targetE0EEEvT1_,"axG",@progbits,_ZN7rocprim17ROCPRIM_400000_NS6detail17trampoline_kernelINS0_14default_configENS1_20scan_config_selectorIiEEZZNS1_9scan_implILNS1_25lookback_scan_determinismE0ELb0ELb0ES3_N6thrust23THRUST_200600_302600_NS6detail15normal_iteratorINS9_10device_ptrIiEEEESE_iNS9_4plusIvEEiEEDaPvRmT3_T4_T5_mT6_P12ihipStream_tbENKUlT_T0_E_clISt17integral_constantIbLb0EESU_EEDaSP_SQ_EUlSP_E0_NS1_11comp_targetILNS1_3genE9ELNS1_11target_archE1100ELNS1_3gpuE3ELNS1_3repE0EEENS1_30default_config_static_selectorELNS0_4arch9wavefront6targetE0EEEvT1_,comdat
	.protected	_ZN7rocprim17ROCPRIM_400000_NS6detail17trampoline_kernelINS0_14default_configENS1_20scan_config_selectorIiEEZZNS1_9scan_implILNS1_25lookback_scan_determinismE0ELb0ELb0ES3_N6thrust23THRUST_200600_302600_NS6detail15normal_iteratorINS9_10device_ptrIiEEEESE_iNS9_4plusIvEEiEEDaPvRmT3_T4_T5_mT6_P12ihipStream_tbENKUlT_T0_E_clISt17integral_constantIbLb0EESU_EEDaSP_SQ_EUlSP_E0_NS1_11comp_targetILNS1_3genE9ELNS1_11target_archE1100ELNS1_3gpuE3ELNS1_3repE0EEENS1_30default_config_static_selectorELNS0_4arch9wavefront6targetE0EEEvT1_ ; -- Begin function _ZN7rocprim17ROCPRIM_400000_NS6detail17trampoline_kernelINS0_14default_configENS1_20scan_config_selectorIiEEZZNS1_9scan_implILNS1_25lookback_scan_determinismE0ELb0ELb0ES3_N6thrust23THRUST_200600_302600_NS6detail15normal_iteratorINS9_10device_ptrIiEEEESE_iNS9_4plusIvEEiEEDaPvRmT3_T4_T5_mT6_P12ihipStream_tbENKUlT_T0_E_clISt17integral_constantIbLb0EESU_EEDaSP_SQ_EUlSP_E0_NS1_11comp_targetILNS1_3genE9ELNS1_11target_archE1100ELNS1_3gpuE3ELNS1_3repE0EEENS1_30default_config_static_selectorELNS0_4arch9wavefront6targetE0EEEvT1_
	.globl	_ZN7rocprim17ROCPRIM_400000_NS6detail17trampoline_kernelINS0_14default_configENS1_20scan_config_selectorIiEEZZNS1_9scan_implILNS1_25lookback_scan_determinismE0ELb0ELb0ES3_N6thrust23THRUST_200600_302600_NS6detail15normal_iteratorINS9_10device_ptrIiEEEESE_iNS9_4plusIvEEiEEDaPvRmT3_T4_T5_mT6_P12ihipStream_tbENKUlT_T0_E_clISt17integral_constantIbLb0EESU_EEDaSP_SQ_EUlSP_E0_NS1_11comp_targetILNS1_3genE9ELNS1_11target_archE1100ELNS1_3gpuE3ELNS1_3repE0EEENS1_30default_config_static_selectorELNS0_4arch9wavefront6targetE0EEEvT1_
	.p2align	8
	.type	_ZN7rocprim17ROCPRIM_400000_NS6detail17trampoline_kernelINS0_14default_configENS1_20scan_config_selectorIiEEZZNS1_9scan_implILNS1_25lookback_scan_determinismE0ELb0ELb0ES3_N6thrust23THRUST_200600_302600_NS6detail15normal_iteratorINS9_10device_ptrIiEEEESE_iNS9_4plusIvEEiEEDaPvRmT3_T4_T5_mT6_P12ihipStream_tbENKUlT_T0_E_clISt17integral_constantIbLb0EESU_EEDaSP_SQ_EUlSP_E0_NS1_11comp_targetILNS1_3genE9ELNS1_11target_archE1100ELNS1_3gpuE3ELNS1_3repE0EEENS1_30default_config_static_selectorELNS0_4arch9wavefront6targetE0EEEvT1_,@function
_ZN7rocprim17ROCPRIM_400000_NS6detail17trampoline_kernelINS0_14default_configENS1_20scan_config_selectorIiEEZZNS1_9scan_implILNS1_25lookback_scan_determinismE0ELb0ELb0ES3_N6thrust23THRUST_200600_302600_NS6detail15normal_iteratorINS9_10device_ptrIiEEEESE_iNS9_4plusIvEEiEEDaPvRmT3_T4_T5_mT6_P12ihipStream_tbENKUlT_T0_E_clISt17integral_constantIbLb0EESU_EEDaSP_SQ_EUlSP_E0_NS1_11comp_targetILNS1_3genE9ELNS1_11target_archE1100ELNS1_3gpuE3ELNS1_3repE0EEENS1_30default_config_static_selectorELNS0_4arch9wavefront6targetE0EEEvT1_: ; @_ZN7rocprim17ROCPRIM_400000_NS6detail17trampoline_kernelINS0_14default_configENS1_20scan_config_selectorIiEEZZNS1_9scan_implILNS1_25lookback_scan_determinismE0ELb0ELb0ES3_N6thrust23THRUST_200600_302600_NS6detail15normal_iteratorINS9_10device_ptrIiEEEESE_iNS9_4plusIvEEiEEDaPvRmT3_T4_T5_mT6_P12ihipStream_tbENKUlT_T0_E_clISt17integral_constantIbLb0EESU_EEDaSP_SQ_EUlSP_E0_NS1_11comp_targetILNS1_3genE9ELNS1_11target_archE1100ELNS1_3gpuE3ELNS1_3repE0EEENS1_30default_config_static_selectorELNS0_4arch9wavefront6targetE0EEEvT1_
; %bb.0:
	.section	.rodata,"a",@progbits
	.p2align	6, 0x0
	.amdhsa_kernel _ZN7rocprim17ROCPRIM_400000_NS6detail17trampoline_kernelINS0_14default_configENS1_20scan_config_selectorIiEEZZNS1_9scan_implILNS1_25lookback_scan_determinismE0ELb0ELb0ES3_N6thrust23THRUST_200600_302600_NS6detail15normal_iteratorINS9_10device_ptrIiEEEESE_iNS9_4plusIvEEiEEDaPvRmT3_T4_T5_mT6_P12ihipStream_tbENKUlT_T0_E_clISt17integral_constantIbLb0EESU_EEDaSP_SQ_EUlSP_E0_NS1_11comp_targetILNS1_3genE9ELNS1_11target_archE1100ELNS1_3gpuE3ELNS1_3repE0EEENS1_30default_config_static_selectorELNS0_4arch9wavefront6targetE0EEEvT1_
		.amdhsa_group_segment_fixed_size 0
		.amdhsa_private_segment_fixed_size 0
		.amdhsa_kernarg_size 32
		.amdhsa_user_sgpr_count 2
		.amdhsa_user_sgpr_dispatch_ptr 0
		.amdhsa_user_sgpr_queue_ptr 0
		.amdhsa_user_sgpr_kernarg_segment_ptr 1
		.amdhsa_user_sgpr_dispatch_id 0
		.amdhsa_user_sgpr_kernarg_preload_length 0
		.amdhsa_user_sgpr_kernarg_preload_offset 0
		.amdhsa_user_sgpr_private_segment_size 0
		.amdhsa_wavefront_size32 1
		.amdhsa_uses_dynamic_stack 0
		.amdhsa_enable_private_segment 0
		.amdhsa_system_sgpr_workgroup_id_x 1
		.amdhsa_system_sgpr_workgroup_id_y 0
		.amdhsa_system_sgpr_workgroup_id_z 0
		.amdhsa_system_sgpr_workgroup_info 0
		.amdhsa_system_vgpr_workitem_id 0
		.amdhsa_next_free_vgpr 1
		.amdhsa_next_free_sgpr 1
		.amdhsa_named_barrier_count 0
		.amdhsa_reserve_vcc 0
		.amdhsa_float_round_mode_32 0
		.amdhsa_float_round_mode_16_64 0
		.amdhsa_float_denorm_mode_32 3
		.amdhsa_float_denorm_mode_16_64 3
		.amdhsa_fp16_overflow 0
		.amdhsa_memory_ordered 1
		.amdhsa_forward_progress 1
		.amdhsa_inst_pref_size 0
		.amdhsa_round_robin_scheduling 0
		.amdhsa_exception_fp_ieee_invalid_op 0
		.amdhsa_exception_fp_denorm_src 0
		.amdhsa_exception_fp_ieee_div_zero 0
		.amdhsa_exception_fp_ieee_overflow 0
		.amdhsa_exception_fp_ieee_underflow 0
		.amdhsa_exception_fp_ieee_inexact 0
		.amdhsa_exception_int_div_zero 0
	.end_amdhsa_kernel
	.section	.text._ZN7rocprim17ROCPRIM_400000_NS6detail17trampoline_kernelINS0_14default_configENS1_20scan_config_selectorIiEEZZNS1_9scan_implILNS1_25lookback_scan_determinismE0ELb0ELb0ES3_N6thrust23THRUST_200600_302600_NS6detail15normal_iteratorINS9_10device_ptrIiEEEESE_iNS9_4plusIvEEiEEDaPvRmT3_T4_T5_mT6_P12ihipStream_tbENKUlT_T0_E_clISt17integral_constantIbLb0EESU_EEDaSP_SQ_EUlSP_E0_NS1_11comp_targetILNS1_3genE9ELNS1_11target_archE1100ELNS1_3gpuE3ELNS1_3repE0EEENS1_30default_config_static_selectorELNS0_4arch9wavefront6targetE0EEEvT1_,"axG",@progbits,_ZN7rocprim17ROCPRIM_400000_NS6detail17trampoline_kernelINS0_14default_configENS1_20scan_config_selectorIiEEZZNS1_9scan_implILNS1_25lookback_scan_determinismE0ELb0ELb0ES3_N6thrust23THRUST_200600_302600_NS6detail15normal_iteratorINS9_10device_ptrIiEEEESE_iNS9_4plusIvEEiEEDaPvRmT3_T4_T5_mT6_P12ihipStream_tbENKUlT_T0_E_clISt17integral_constantIbLb0EESU_EEDaSP_SQ_EUlSP_E0_NS1_11comp_targetILNS1_3genE9ELNS1_11target_archE1100ELNS1_3gpuE3ELNS1_3repE0EEENS1_30default_config_static_selectorELNS0_4arch9wavefront6targetE0EEEvT1_,comdat
.Lfunc_end25:
	.size	_ZN7rocprim17ROCPRIM_400000_NS6detail17trampoline_kernelINS0_14default_configENS1_20scan_config_selectorIiEEZZNS1_9scan_implILNS1_25lookback_scan_determinismE0ELb0ELb0ES3_N6thrust23THRUST_200600_302600_NS6detail15normal_iteratorINS9_10device_ptrIiEEEESE_iNS9_4plusIvEEiEEDaPvRmT3_T4_T5_mT6_P12ihipStream_tbENKUlT_T0_E_clISt17integral_constantIbLb0EESU_EEDaSP_SQ_EUlSP_E0_NS1_11comp_targetILNS1_3genE9ELNS1_11target_archE1100ELNS1_3gpuE3ELNS1_3repE0EEENS1_30default_config_static_selectorELNS0_4arch9wavefront6targetE0EEEvT1_, .Lfunc_end25-_ZN7rocprim17ROCPRIM_400000_NS6detail17trampoline_kernelINS0_14default_configENS1_20scan_config_selectorIiEEZZNS1_9scan_implILNS1_25lookback_scan_determinismE0ELb0ELb0ES3_N6thrust23THRUST_200600_302600_NS6detail15normal_iteratorINS9_10device_ptrIiEEEESE_iNS9_4plusIvEEiEEDaPvRmT3_T4_T5_mT6_P12ihipStream_tbENKUlT_T0_E_clISt17integral_constantIbLb0EESU_EEDaSP_SQ_EUlSP_E0_NS1_11comp_targetILNS1_3genE9ELNS1_11target_archE1100ELNS1_3gpuE3ELNS1_3repE0EEENS1_30default_config_static_selectorELNS0_4arch9wavefront6targetE0EEEvT1_
                                        ; -- End function
	.set _ZN7rocprim17ROCPRIM_400000_NS6detail17trampoline_kernelINS0_14default_configENS1_20scan_config_selectorIiEEZZNS1_9scan_implILNS1_25lookback_scan_determinismE0ELb0ELb0ES3_N6thrust23THRUST_200600_302600_NS6detail15normal_iteratorINS9_10device_ptrIiEEEESE_iNS9_4plusIvEEiEEDaPvRmT3_T4_T5_mT6_P12ihipStream_tbENKUlT_T0_E_clISt17integral_constantIbLb0EESU_EEDaSP_SQ_EUlSP_E0_NS1_11comp_targetILNS1_3genE9ELNS1_11target_archE1100ELNS1_3gpuE3ELNS1_3repE0EEENS1_30default_config_static_selectorELNS0_4arch9wavefront6targetE0EEEvT1_.num_vgpr, 0
	.set _ZN7rocprim17ROCPRIM_400000_NS6detail17trampoline_kernelINS0_14default_configENS1_20scan_config_selectorIiEEZZNS1_9scan_implILNS1_25lookback_scan_determinismE0ELb0ELb0ES3_N6thrust23THRUST_200600_302600_NS6detail15normal_iteratorINS9_10device_ptrIiEEEESE_iNS9_4plusIvEEiEEDaPvRmT3_T4_T5_mT6_P12ihipStream_tbENKUlT_T0_E_clISt17integral_constantIbLb0EESU_EEDaSP_SQ_EUlSP_E0_NS1_11comp_targetILNS1_3genE9ELNS1_11target_archE1100ELNS1_3gpuE3ELNS1_3repE0EEENS1_30default_config_static_selectorELNS0_4arch9wavefront6targetE0EEEvT1_.num_agpr, 0
	.set _ZN7rocprim17ROCPRIM_400000_NS6detail17trampoline_kernelINS0_14default_configENS1_20scan_config_selectorIiEEZZNS1_9scan_implILNS1_25lookback_scan_determinismE0ELb0ELb0ES3_N6thrust23THRUST_200600_302600_NS6detail15normal_iteratorINS9_10device_ptrIiEEEESE_iNS9_4plusIvEEiEEDaPvRmT3_T4_T5_mT6_P12ihipStream_tbENKUlT_T0_E_clISt17integral_constantIbLb0EESU_EEDaSP_SQ_EUlSP_E0_NS1_11comp_targetILNS1_3genE9ELNS1_11target_archE1100ELNS1_3gpuE3ELNS1_3repE0EEENS1_30default_config_static_selectorELNS0_4arch9wavefront6targetE0EEEvT1_.numbered_sgpr, 0
	.set _ZN7rocprim17ROCPRIM_400000_NS6detail17trampoline_kernelINS0_14default_configENS1_20scan_config_selectorIiEEZZNS1_9scan_implILNS1_25lookback_scan_determinismE0ELb0ELb0ES3_N6thrust23THRUST_200600_302600_NS6detail15normal_iteratorINS9_10device_ptrIiEEEESE_iNS9_4plusIvEEiEEDaPvRmT3_T4_T5_mT6_P12ihipStream_tbENKUlT_T0_E_clISt17integral_constantIbLb0EESU_EEDaSP_SQ_EUlSP_E0_NS1_11comp_targetILNS1_3genE9ELNS1_11target_archE1100ELNS1_3gpuE3ELNS1_3repE0EEENS1_30default_config_static_selectorELNS0_4arch9wavefront6targetE0EEEvT1_.num_named_barrier, 0
	.set _ZN7rocprim17ROCPRIM_400000_NS6detail17trampoline_kernelINS0_14default_configENS1_20scan_config_selectorIiEEZZNS1_9scan_implILNS1_25lookback_scan_determinismE0ELb0ELb0ES3_N6thrust23THRUST_200600_302600_NS6detail15normal_iteratorINS9_10device_ptrIiEEEESE_iNS9_4plusIvEEiEEDaPvRmT3_T4_T5_mT6_P12ihipStream_tbENKUlT_T0_E_clISt17integral_constantIbLb0EESU_EEDaSP_SQ_EUlSP_E0_NS1_11comp_targetILNS1_3genE9ELNS1_11target_archE1100ELNS1_3gpuE3ELNS1_3repE0EEENS1_30default_config_static_selectorELNS0_4arch9wavefront6targetE0EEEvT1_.private_seg_size, 0
	.set _ZN7rocprim17ROCPRIM_400000_NS6detail17trampoline_kernelINS0_14default_configENS1_20scan_config_selectorIiEEZZNS1_9scan_implILNS1_25lookback_scan_determinismE0ELb0ELb0ES3_N6thrust23THRUST_200600_302600_NS6detail15normal_iteratorINS9_10device_ptrIiEEEESE_iNS9_4plusIvEEiEEDaPvRmT3_T4_T5_mT6_P12ihipStream_tbENKUlT_T0_E_clISt17integral_constantIbLb0EESU_EEDaSP_SQ_EUlSP_E0_NS1_11comp_targetILNS1_3genE9ELNS1_11target_archE1100ELNS1_3gpuE3ELNS1_3repE0EEENS1_30default_config_static_selectorELNS0_4arch9wavefront6targetE0EEEvT1_.uses_vcc, 0
	.set _ZN7rocprim17ROCPRIM_400000_NS6detail17trampoline_kernelINS0_14default_configENS1_20scan_config_selectorIiEEZZNS1_9scan_implILNS1_25lookback_scan_determinismE0ELb0ELb0ES3_N6thrust23THRUST_200600_302600_NS6detail15normal_iteratorINS9_10device_ptrIiEEEESE_iNS9_4plusIvEEiEEDaPvRmT3_T4_T5_mT6_P12ihipStream_tbENKUlT_T0_E_clISt17integral_constantIbLb0EESU_EEDaSP_SQ_EUlSP_E0_NS1_11comp_targetILNS1_3genE9ELNS1_11target_archE1100ELNS1_3gpuE3ELNS1_3repE0EEENS1_30default_config_static_selectorELNS0_4arch9wavefront6targetE0EEEvT1_.uses_flat_scratch, 0
	.set _ZN7rocprim17ROCPRIM_400000_NS6detail17trampoline_kernelINS0_14default_configENS1_20scan_config_selectorIiEEZZNS1_9scan_implILNS1_25lookback_scan_determinismE0ELb0ELb0ES3_N6thrust23THRUST_200600_302600_NS6detail15normal_iteratorINS9_10device_ptrIiEEEESE_iNS9_4plusIvEEiEEDaPvRmT3_T4_T5_mT6_P12ihipStream_tbENKUlT_T0_E_clISt17integral_constantIbLb0EESU_EEDaSP_SQ_EUlSP_E0_NS1_11comp_targetILNS1_3genE9ELNS1_11target_archE1100ELNS1_3gpuE3ELNS1_3repE0EEENS1_30default_config_static_selectorELNS0_4arch9wavefront6targetE0EEEvT1_.has_dyn_sized_stack, 0
	.set _ZN7rocprim17ROCPRIM_400000_NS6detail17trampoline_kernelINS0_14default_configENS1_20scan_config_selectorIiEEZZNS1_9scan_implILNS1_25lookback_scan_determinismE0ELb0ELb0ES3_N6thrust23THRUST_200600_302600_NS6detail15normal_iteratorINS9_10device_ptrIiEEEESE_iNS9_4plusIvEEiEEDaPvRmT3_T4_T5_mT6_P12ihipStream_tbENKUlT_T0_E_clISt17integral_constantIbLb0EESU_EEDaSP_SQ_EUlSP_E0_NS1_11comp_targetILNS1_3genE9ELNS1_11target_archE1100ELNS1_3gpuE3ELNS1_3repE0EEENS1_30default_config_static_selectorELNS0_4arch9wavefront6targetE0EEEvT1_.has_recursion, 0
	.set _ZN7rocprim17ROCPRIM_400000_NS6detail17trampoline_kernelINS0_14default_configENS1_20scan_config_selectorIiEEZZNS1_9scan_implILNS1_25lookback_scan_determinismE0ELb0ELb0ES3_N6thrust23THRUST_200600_302600_NS6detail15normal_iteratorINS9_10device_ptrIiEEEESE_iNS9_4plusIvEEiEEDaPvRmT3_T4_T5_mT6_P12ihipStream_tbENKUlT_T0_E_clISt17integral_constantIbLb0EESU_EEDaSP_SQ_EUlSP_E0_NS1_11comp_targetILNS1_3genE9ELNS1_11target_archE1100ELNS1_3gpuE3ELNS1_3repE0EEENS1_30default_config_static_selectorELNS0_4arch9wavefront6targetE0EEEvT1_.has_indirect_call, 0
	.section	.AMDGPU.csdata,"",@progbits
; Kernel info:
; codeLenInByte = 0
; TotalNumSgprs: 0
; NumVgprs: 0
; ScratchSize: 0
; MemoryBound: 0
; FloatMode: 240
; IeeeMode: 1
; LDSByteSize: 0 bytes/workgroup (compile time only)
; SGPRBlocks: 0
; VGPRBlocks: 0
; NumSGPRsForWavesPerEU: 1
; NumVGPRsForWavesPerEU: 1
; NamedBarCnt: 0
; Occupancy: 16
; WaveLimiterHint : 0
; COMPUTE_PGM_RSRC2:SCRATCH_EN: 0
; COMPUTE_PGM_RSRC2:USER_SGPR: 2
; COMPUTE_PGM_RSRC2:TRAP_HANDLER: 0
; COMPUTE_PGM_RSRC2:TGID_X_EN: 1
; COMPUTE_PGM_RSRC2:TGID_Y_EN: 0
; COMPUTE_PGM_RSRC2:TGID_Z_EN: 0
; COMPUTE_PGM_RSRC2:TIDIG_COMP_CNT: 0
	.section	.text._ZN7rocprim17ROCPRIM_400000_NS6detail17trampoline_kernelINS0_14default_configENS1_20scan_config_selectorIiEEZZNS1_9scan_implILNS1_25lookback_scan_determinismE0ELb0ELb0ES3_N6thrust23THRUST_200600_302600_NS6detail15normal_iteratorINS9_10device_ptrIiEEEESE_iNS9_4plusIvEEiEEDaPvRmT3_T4_T5_mT6_P12ihipStream_tbENKUlT_T0_E_clISt17integral_constantIbLb0EESU_EEDaSP_SQ_EUlSP_E0_NS1_11comp_targetILNS1_3genE8ELNS1_11target_archE1030ELNS1_3gpuE2ELNS1_3repE0EEENS1_30default_config_static_selectorELNS0_4arch9wavefront6targetE0EEEvT1_,"axG",@progbits,_ZN7rocprim17ROCPRIM_400000_NS6detail17trampoline_kernelINS0_14default_configENS1_20scan_config_selectorIiEEZZNS1_9scan_implILNS1_25lookback_scan_determinismE0ELb0ELb0ES3_N6thrust23THRUST_200600_302600_NS6detail15normal_iteratorINS9_10device_ptrIiEEEESE_iNS9_4plusIvEEiEEDaPvRmT3_T4_T5_mT6_P12ihipStream_tbENKUlT_T0_E_clISt17integral_constantIbLb0EESU_EEDaSP_SQ_EUlSP_E0_NS1_11comp_targetILNS1_3genE8ELNS1_11target_archE1030ELNS1_3gpuE2ELNS1_3repE0EEENS1_30default_config_static_selectorELNS0_4arch9wavefront6targetE0EEEvT1_,comdat
	.protected	_ZN7rocprim17ROCPRIM_400000_NS6detail17trampoline_kernelINS0_14default_configENS1_20scan_config_selectorIiEEZZNS1_9scan_implILNS1_25lookback_scan_determinismE0ELb0ELb0ES3_N6thrust23THRUST_200600_302600_NS6detail15normal_iteratorINS9_10device_ptrIiEEEESE_iNS9_4plusIvEEiEEDaPvRmT3_T4_T5_mT6_P12ihipStream_tbENKUlT_T0_E_clISt17integral_constantIbLb0EESU_EEDaSP_SQ_EUlSP_E0_NS1_11comp_targetILNS1_3genE8ELNS1_11target_archE1030ELNS1_3gpuE2ELNS1_3repE0EEENS1_30default_config_static_selectorELNS0_4arch9wavefront6targetE0EEEvT1_ ; -- Begin function _ZN7rocprim17ROCPRIM_400000_NS6detail17trampoline_kernelINS0_14default_configENS1_20scan_config_selectorIiEEZZNS1_9scan_implILNS1_25lookback_scan_determinismE0ELb0ELb0ES3_N6thrust23THRUST_200600_302600_NS6detail15normal_iteratorINS9_10device_ptrIiEEEESE_iNS9_4plusIvEEiEEDaPvRmT3_T4_T5_mT6_P12ihipStream_tbENKUlT_T0_E_clISt17integral_constantIbLb0EESU_EEDaSP_SQ_EUlSP_E0_NS1_11comp_targetILNS1_3genE8ELNS1_11target_archE1030ELNS1_3gpuE2ELNS1_3repE0EEENS1_30default_config_static_selectorELNS0_4arch9wavefront6targetE0EEEvT1_
	.globl	_ZN7rocprim17ROCPRIM_400000_NS6detail17trampoline_kernelINS0_14default_configENS1_20scan_config_selectorIiEEZZNS1_9scan_implILNS1_25lookback_scan_determinismE0ELb0ELb0ES3_N6thrust23THRUST_200600_302600_NS6detail15normal_iteratorINS9_10device_ptrIiEEEESE_iNS9_4plusIvEEiEEDaPvRmT3_T4_T5_mT6_P12ihipStream_tbENKUlT_T0_E_clISt17integral_constantIbLb0EESU_EEDaSP_SQ_EUlSP_E0_NS1_11comp_targetILNS1_3genE8ELNS1_11target_archE1030ELNS1_3gpuE2ELNS1_3repE0EEENS1_30default_config_static_selectorELNS0_4arch9wavefront6targetE0EEEvT1_
	.p2align	8
	.type	_ZN7rocprim17ROCPRIM_400000_NS6detail17trampoline_kernelINS0_14default_configENS1_20scan_config_selectorIiEEZZNS1_9scan_implILNS1_25lookback_scan_determinismE0ELb0ELb0ES3_N6thrust23THRUST_200600_302600_NS6detail15normal_iteratorINS9_10device_ptrIiEEEESE_iNS9_4plusIvEEiEEDaPvRmT3_T4_T5_mT6_P12ihipStream_tbENKUlT_T0_E_clISt17integral_constantIbLb0EESU_EEDaSP_SQ_EUlSP_E0_NS1_11comp_targetILNS1_3genE8ELNS1_11target_archE1030ELNS1_3gpuE2ELNS1_3repE0EEENS1_30default_config_static_selectorELNS0_4arch9wavefront6targetE0EEEvT1_,@function
_ZN7rocprim17ROCPRIM_400000_NS6detail17trampoline_kernelINS0_14default_configENS1_20scan_config_selectorIiEEZZNS1_9scan_implILNS1_25lookback_scan_determinismE0ELb0ELb0ES3_N6thrust23THRUST_200600_302600_NS6detail15normal_iteratorINS9_10device_ptrIiEEEESE_iNS9_4plusIvEEiEEDaPvRmT3_T4_T5_mT6_P12ihipStream_tbENKUlT_T0_E_clISt17integral_constantIbLb0EESU_EEDaSP_SQ_EUlSP_E0_NS1_11comp_targetILNS1_3genE8ELNS1_11target_archE1030ELNS1_3gpuE2ELNS1_3repE0EEENS1_30default_config_static_selectorELNS0_4arch9wavefront6targetE0EEEvT1_: ; @_ZN7rocprim17ROCPRIM_400000_NS6detail17trampoline_kernelINS0_14default_configENS1_20scan_config_selectorIiEEZZNS1_9scan_implILNS1_25lookback_scan_determinismE0ELb0ELb0ES3_N6thrust23THRUST_200600_302600_NS6detail15normal_iteratorINS9_10device_ptrIiEEEESE_iNS9_4plusIvEEiEEDaPvRmT3_T4_T5_mT6_P12ihipStream_tbENKUlT_T0_E_clISt17integral_constantIbLb0EESU_EEDaSP_SQ_EUlSP_E0_NS1_11comp_targetILNS1_3genE8ELNS1_11target_archE1030ELNS1_3gpuE2ELNS1_3repE0EEENS1_30default_config_static_selectorELNS0_4arch9wavefront6targetE0EEEvT1_
; %bb.0:
	.section	.rodata,"a",@progbits
	.p2align	6, 0x0
	.amdhsa_kernel _ZN7rocprim17ROCPRIM_400000_NS6detail17trampoline_kernelINS0_14default_configENS1_20scan_config_selectorIiEEZZNS1_9scan_implILNS1_25lookback_scan_determinismE0ELb0ELb0ES3_N6thrust23THRUST_200600_302600_NS6detail15normal_iteratorINS9_10device_ptrIiEEEESE_iNS9_4plusIvEEiEEDaPvRmT3_T4_T5_mT6_P12ihipStream_tbENKUlT_T0_E_clISt17integral_constantIbLb0EESU_EEDaSP_SQ_EUlSP_E0_NS1_11comp_targetILNS1_3genE8ELNS1_11target_archE1030ELNS1_3gpuE2ELNS1_3repE0EEENS1_30default_config_static_selectorELNS0_4arch9wavefront6targetE0EEEvT1_
		.amdhsa_group_segment_fixed_size 0
		.amdhsa_private_segment_fixed_size 0
		.amdhsa_kernarg_size 32
		.amdhsa_user_sgpr_count 2
		.amdhsa_user_sgpr_dispatch_ptr 0
		.amdhsa_user_sgpr_queue_ptr 0
		.amdhsa_user_sgpr_kernarg_segment_ptr 1
		.amdhsa_user_sgpr_dispatch_id 0
		.amdhsa_user_sgpr_kernarg_preload_length 0
		.amdhsa_user_sgpr_kernarg_preload_offset 0
		.amdhsa_user_sgpr_private_segment_size 0
		.amdhsa_wavefront_size32 1
		.amdhsa_uses_dynamic_stack 0
		.amdhsa_enable_private_segment 0
		.amdhsa_system_sgpr_workgroup_id_x 1
		.amdhsa_system_sgpr_workgroup_id_y 0
		.amdhsa_system_sgpr_workgroup_id_z 0
		.amdhsa_system_sgpr_workgroup_info 0
		.amdhsa_system_vgpr_workitem_id 0
		.amdhsa_next_free_vgpr 1
		.amdhsa_next_free_sgpr 1
		.amdhsa_named_barrier_count 0
		.amdhsa_reserve_vcc 0
		.amdhsa_float_round_mode_32 0
		.amdhsa_float_round_mode_16_64 0
		.amdhsa_float_denorm_mode_32 3
		.amdhsa_float_denorm_mode_16_64 3
		.amdhsa_fp16_overflow 0
		.amdhsa_memory_ordered 1
		.amdhsa_forward_progress 1
		.amdhsa_inst_pref_size 0
		.amdhsa_round_robin_scheduling 0
		.amdhsa_exception_fp_ieee_invalid_op 0
		.amdhsa_exception_fp_denorm_src 0
		.amdhsa_exception_fp_ieee_div_zero 0
		.amdhsa_exception_fp_ieee_overflow 0
		.amdhsa_exception_fp_ieee_underflow 0
		.amdhsa_exception_fp_ieee_inexact 0
		.amdhsa_exception_int_div_zero 0
	.end_amdhsa_kernel
	.section	.text._ZN7rocprim17ROCPRIM_400000_NS6detail17trampoline_kernelINS0_14default_configENS1_20scan_config_selectorIiEEZZNS1_9scan_implILNS1_25lookback_scan_determinismE0ELb0ELb0ES3_N6thrust23THRUST_200600_302600_NS6detail15normal_iteratorINS9_10device_ptrIiEEEESE_iNS9_4plusIvEEiEEDaPvRmT3_T4_T5_mT6_P12ihipStream_tbENKUlT_T0_E_clISt17integral_constantIbLb0EESU_EEDaSP_SQ_EUlSP_E0_NS1_11comp_targetILNS1_3genE8ELNS1_11target_archE1030ELNS1_3gpuE2ELNS1_3repE0EEENS1_30default_config_static_selectorELNS0_4arch9wavefront6targetE0EEEvT1_,"axG",@progbits,_ZN7rocprim17ROCPRIM_400000_NS6detail17trampoline_kernelINS0_14default_configENS1_20scan_config_selectorIiEEZZNS1_9scan_implILNS1_25lookback_scan_determinismE0ELb0ELb0ES3_N6thrust23THRUST_200600_302600_NS6detail15normal_iteratorINS9_10device_ptrIiEEEESE_iNS9_4plusIvEEiEEDaPvRmT3_T4_T5_mT6_P12ihipStream_tbENKUlT_T0_E_clISt17integral_constantIbLb0EESU_EEDaSP_SQ_EUlSP_E0_NS1_11comp_targetILNS1_3genE8ELNS1_11target_archE1030ELNS1_3gpuE2ELNS1_3repE0EEENS1_30default_config_static_selectorELNS0_4arch9wavefront6targetE0EEEvT1_,comdat
.Lfunc_end26:
	.size	_ZN7rocprim17ROCPRIM_400000_NS6detail17trampoline_kernelINS0_14default_configENS1_20scan_config_selectorIiEEZZNS1_9scan_implILNS1_25lookback_scan_determinismE0ELb0ELb0ES3_N6thrust23THRUST_200600_302600_NS6detail15normal_iteratorINS9_10device_ptrIiEEEESE_iNS9_4plusIvEEiEEDaPvRmT3_T4_T5_mT6_P12ihipStream_tbENKUlT_T0_E_clISt17integral_constantIbLb0EESU_EEDaSP_SQ_EUlSP_E0_NS1_11comp_targetILNS1_3genE8ELNS1_11target_archE1030ELNS1_3gpuE2ELNS1_3repE0EEENS1_30default_config_static_selectorELNS0_4arch9wavefront6targetE0EEEvT1_, .Lfunc_end26-_ZN7rocprim17ROCPRIM_400000_NS6detail17trampoline_kernelINS0_14default_configENS1_20scan_config_selectorIiEEZZNS1_9scan_implILNS1_25lookback_scan_determinismE0ELb0ELb0ES3_N6thrust23THRUST_200600_302600_NS6detail15normal_iteratorINS9_10device_ptrIiEEEESE_iNS9_4plusIvEEiEEDaPvRmT3_T4_T5_mT6_P12ihipStream_tbENKUlT_T0_E_clISt17integral_constantIbLb0EESU_EEDaSP_SQ_EUlSP_E0_NS1_11comp_targetILNS1_3genE8ELNS1_11target_archE1030ELNS1_3gpuE2ELNS1_3repE0EEENS1_30default_config_static_selectorELNS0_4arch9wavefront6targetE0EEEvT1_
                                        ; -- End function
	.set _ZN7rocprim17ROCPRIM_400000_NS6detail17trampoline_kernelINS0_14default_configENS1_20scan_config_selectorIiEEZZNS1_9scan_implILNS1_25lookback_scan_determinismE0ELb0ELb0ES3_N6thrust23THRUST_200600_302600_NS6detail15normal_iteratorINS9_10device_ptrIiEEEESE_iNS9_4plusIvEEiEEDaPvRmT3_T4_T5_mT6_P12ihipStream_tbENKUlT_T0_E_clISt17integral_constantIbLb0EESU_EEDaSP_SQ_EUlSP_E0_NS1_11comp_targetILNS1_3genE8ELNS1_11target_archE1030ELNS1_3gpuE2ELNS1_3repE0EEENS1_30default_config_static_selectorELNS0_4arch9wavefront6targetE0EEEvT1_.num_vgpr, 0
	.set _ZN7rocprim17ROCPRIM_400000_NS6detail17trampoline_kernelINS0_14default_configENS1_20scan_config_selectorIiEEZZNS1_9scan_implILNS1_25lookback_scan_determinismE0ELb0ELb0ES3_N6thrust23THRUST_200600_302600_NS6detail15normal_iteratorINS9_10device_ptrIiEEEESE_iNS9_4plusIvEEiEEDaPvRmT3_T4_T5_mT6_P12ihipStream_tbENKUlT_T0_E_clISt17integral_constantIbLb0EESU_EEDaSP_SQ_EUlSP_E0_NS1_11comp_targetILNS1_3genE8ELNS1_11target_archE1030ELNS1_3gpuE2ELNS1_3repE0EEENS1_30default_config_static_selectorELNS0_4arch9wavefront6targetE0EEEvT1_.num_agpr, 0
	.set _ZN7rocprim17ROCPRIM_400000_NS6detail17trampoline_kernelINS0_14default_configENS1_20scan_config_selectorIiEEZZNS1_9scan_implILNS1_25lookback_scan_determinismE0ELb0ELb0ES3_N6thrust23THRUST_200600_302600_NS6detail15normal_iteratorINS9_10device_ptrIiEEEESE_iNS9_4plusIvEEiEEDaPvRmT3_T4_T5_mT6_P12ihipStream_tbENKUlT_T0_E_clISt17integral_constantIbLb0EESU_EEDaSP_SQ_EUlSP_E0_NS1_11comp_targetILNS1_3genE8ELNS1_11target_archE1030ELNS1_3gpuE2ELNS1_3repE0EEENS1_30default_config_static_selectorELNS0_4arch9wavefront6targetE0EEEvT1_.numbered_sgpr, 0
	.set _ZN7rocprim17ROCPRIM_400000_NS6detail17trampoline_kernelINS0_14default_configENS1_20scan_config_selectorIiEEZZNS1_9scan_implILNS1_25lookback_scan_determinismE0ELb0ELb0ES3_N6thrust23THRUST_200600_302600_NS6detail15normal_iteratorINS9_10device_ptrIiEEEESE_iNS9_4plusIvEEiEEDaPvRmT3_T4_T5_mT6_P12ihipStream_tbENKUlT_T0_E_clISt17integral_constantIbLb0EESU_EEDaSP_SQ_EUlSP_E0_NS1_11comp_targetILNS1_3genE8ELNS1_11target_archE1030ELNS1_3gpuE2ELNS1_3repE0EEENS1_30default_config_static_selectorELNS0_4arch9wavefront6targetE0EEEvT1_.num_named_barrier, 0
	.set _ZN7rocprim17ROCPRIM_400000_NS6detail17trampoline_kernelINS0_14default_configENS1_20scan_config_selectorIiEEZZNS1_9scan_implILNS1_25lookback_scan_determinismE0ELb0ELb0ES3_N6thrust23THRUST_200600_302600_NS6detail15normal_iteratorINS9_10device_ptrIiEEEESE_iNS9_4plusIvEEiEEDaPvRmT3_T4_T5_mT6_P12ihipStream_tbENKUlT_T0_E_clISt17integral_constantIbLb0EESU_EEDaSP_SQ_EUlSP_E0_NS1_11comp_targetILNS1_3genE8ELNS1_11target_archE1030ELNS1_3gpuE2ELNS1_3repE0EEENS1_30default_config_static_selectorELNS0_4arch9wavefront6targetE0EEEvT1_.private_seg_size, 0
	.set _ZN7rocprim17ROCPRIM_400000_NS6detail17trampoline_kernelINS0_14default_configENS1_20scan_config_selectorIiEEZZNS1_9scan_implILNS1_25lookback_scan_determinismE0ELb0ELb0ES3_N6thrust23THRUST_200600_302600_NS6detail15normal_iteratorINS9_10device_ptrIiEEEESE_iNS9_4plusIvEEiEEDaPvRmT3_T4_T5_mT6_P12ihipStream_tbENKUlT_T0_E_clISt17integral_constantIbLb0EESU_EEDaSP_SQ_EUlSP_E0_NS1_11comp_targetILNS1_3genE8ELNS1_11target_archE1030ELNS1_3gpuE2ELNS1_3repE0EEENS1_30default_config_static_selectorELNS0_4arch9wavefront6targetE0EEEvT1_.uses_vcc, 0
	.set _ZN7rocprim17ROCPRIM_400000_NS6detail17trampoline_kernelINS0_14default_configENS1_20scan_config_selectorIiEEZZNS1_9scan_implILNS1_25lookback_scan_determinismE0ELb0ELb0ES3_N6thrust23THRUST_200600_302600_NS6detail15normal_iteratorINS9_10device_ptrIiEEEESE_iNS9_4plusIvEEiEEDaPvRmT3_T4_T5_mT6_P12ihipStream_tbENKUlT_T0_E_clISt17integral_constantIbLb0EESU_EEDaSP_SQ_EUlSP_E0_NS1_11comp_targetILNS1_3genE8ELNS1_11target_archE1030ELNS1_3gpuE2ELNS1_3repE0EEENS1_30default_config_static_selectorELNS0_4arch9wavefront6targetE0EEEvT1_.uses_flat_scratch, 0
	.set _ZN7rocprim17ROCPRIM_400000_NS6detail17trampoline_kernelINS0_14default_configENS1_20scan_config_selectorIiEEZZNS1_9scan_implILNS1_25lookback_scan_determinismE0ELb0ELb0ES3_N6thrust23THRUST_200600_302600_NS6detail15normal_iteratorINS9_10device_ptrIiEEEESE_iNS9_4plusIvEEiEEDaPvRmT3_T4_T5_mT6_P12ihipStream_tbENKUlT_T0_E_clISt17integral_constantIbLb0EESU_EEDaSP_SQ_EUlSP_E0_NS1_11comp_targetILNS1_3genE8ELNS1_11target_archE1030ELNS1_3gpuE2ELNS1_3repE0EEENS1_30default_config_static_selectorELNS0_4arch9wavefront6targetE0EEEvT1_.has_dyn_sized_stack, 0
	.set _ZN7rocprim17ROCPRIM_400000_NS6detail17trampoline_kernelINS0_14default_configENS1_20scan_config_selectorIiEEZZNS1_9scan_implILNS1_25lookback_scan_determinismE0ELb0ELb0ES3_N6thrust23THRUST_200600_302600_NS6detail15normal_iteratorINS9_10device_ptrIiEEEESE_iNS9_4plusIvEEiEEDaPvRmT3_T4_T5_mT6_P12ihipStream_tbENKUlT_T0_E_clISt17integral_constantIbLb0EESU_EEDaSP_SQ_EUlSP_E0_NS1_11comp_targetILNS1_3genE8ELNS1_11target_archE1030ELNS1_3gpuE2ELNS1_3repE0EEENS1_30default_config_static_selectorELNS0_4arch9wavefront6targetE0EEEvT1_.has_recursion, 0
	.set _ZN7rocprim17ROCPRIM_400000_NS6detail17trampoline_kernelINS0_14default_configENS1_20scan_config_selectorIiEEZZNS1_9scan_implILNS1_25lookback_scan_determinismE0ELb0ELb0ES3_N6thrust23THRUST_200600_302600_NS6detail15normal_iteratorINS9_10device_ptrIiEEEESE_iNS9_4plusIvEEiEEDaPvRmT3_T4_T5_mT6_P12ihipStream_tbENKUlT_T0_E_clISt17integral_constantIbLb0EESU_EEDaSP_SQ_EUlSP_E0_NS1_11comp_targetILNS1_3genE8ELNS1_11target_archE1030ELNS1_3gpuE2ELNS1_3repE0EEENS1_30default_config_static_selectorELNS0_4arch9wavefront6targetE0EEEvT1_.has_indirect_call, 0
	.section	.AMDGPU.csdata,"",@progbits
; Kernel info:
; codeLenInByte = 0
; TotalNumSgprs: 0
; NumVgprs: 0
; ScratchSize: 0
; MemoryBound: 0
; FloatMode: 240
; IeeeMode: 1
; LDSByteSize: 0 bytes/workgroup (compile time only)
; SGPRBlocks: 0
; VGPRBlocks: 0
; NumSGPRsForWavesPerEU: 1
; NumVGPRsForWavesPerEU: 1
; NamedBarCnt: 0
; Occupancy: 16
; WaveLimiterHint : 0
; COMPUTE_PGM_RSRC2:SCRATCH_EN: 0
; COMPUTE_PGM_RSRC2:USER_SGPR: 2
; COMPUTE_PGM_RSRC2:TRAP_HANDLER: 0
; COMPUTE_PGM_RSRC2:TGID_X_EN: 1
; COMPUTE_PGM_RSRC2:TGID_Y_EN: 0
; COMPUTE_PGM_RSRC2:TGID_Z_EN: 0
; COMPUTE_PGM_RSRC2:TIDIG_COMP_CNT: 0
	.section	.text._ZN7rocprim17ROCPRIM_400000_NS6detail31init_lookback_scan_state_kernelINS1_19lookback_scan_stateIiLb1ELb1EEENS1_16block_id_wrapperIjLb1EEEEEvT_jT0_jPNS7_10value_typeE,"axG",@progbits,_ZN7rocprim17ROCPRIM_400000_NS6detail31init_lookback_scan_state_kernelINS1_19lookback_scan_stateIiLb1ELb1EEENS1_16block_id_wrapperIjLb1EEEEEvT_jT0_jPNS7_10value_typeE,comdat
	.protected	_ZN7rocprim17ROCPRIM_400000_NS6detail31init_lookback_scan_state_kernelINS1_19lookback_scan_stateIiLb1ELb1EEENS1_16block_id_wrapperIjLb1EEEEEvT_jT0_jPNS7_10value_typeE ; -- Begin function _ZN7rocprim17ROCPRIM_400000_NS6detail31init_lookback_scan_state_kernelINS1_19lookback_scan_stateIiLb1ELb1EEENS1_16block_id_wrapperIjLb1EEEEEvT_jT0_jPNS7_10value_typeE
	.globl	_ZN7rocprim17ROCPRIM_400000_NS6detail31init_lookback_scan_state_kernelINS1_19lookback_scan_stateIiLb1ELb1EEENS1_16block_id_wrapperIjLb1EEEEEvT_jT0_jPNS7_10value_typeE
	.p2align	8
	.type	_ZN7rocprim17ROCPRIM_400000_NS6detail31init_lookback_scan_state_kernelINS1_19lookback_scan_stateIiLb1ELb1EEENS1_16block_id_wrapperIjLb1EEEEEvT_jT0_jPNS7_10value_typeE,@function
_ZN7rocprim17ROCPRIM_400000_NS6detail31init_lookback_scan_state_kernelINS1_19lookback_scan_stateIiLb1ELb1EEENS1_16block_id_wrapperIjLb1EEEEEvT_jT0_jPNS7_10value_typeE: ; @_ZN7rocprim17ROCPRIM_400000_NS6detail31init_lookback_scan_state_kernelINS1_19lookback_scan_stateIiLb1ELb1EEENS1_16block_id_wrapperIjLb1EEEEEvT_jT0_jPNS7_10value_typeE
; %bb.0:
	s_clause 0x2
	s_load_b32 s7, s[0:1], 0x34
	s_load_b96 s[4:6], s[0:1], 0x0
	s_load_b64 s[2:3], s[0:1], 0x20
	s_bfe_u32 s8, ttmp6, 0x4000c
	s_and_b32 s9, ttmp6, 15
	s_add_co_i32 s8, s8, 1
	s_getreg_b32 s10, hwreg(HW_REG_IB_STS2, 6, 4)
	s_mul_i32 s8, ttmp9, s8
	s_delay_alu instid0(SALU_CYCLE_1)
	s_add_co_i32 s9, s9, s8
	s_wait_kmcnt 0x0
	s_and_b32 s7, s7, 0xffff
	s_cmp_eq_u32 s10, 0
	s_cselect_b32 s8, ttmp9, s9
	s_cmp_eq_u64 s[2:3], 0
	v_mad_u32 v4, s8, s7, v0
	s_cbranch_scc1 .LBB27_9
; %bb.1:
	s_load_b32 s8, s[0:1], 0x18
	s_wait_kmcnt 0x0
	s_cmp_lt_u32 s8, s6
	s_cselect_b32 s7, s8, 0
	s_delay_alu instid0(VALU_DEP_1) | instid1(SALU_CYCLE_1)
	v_cmp_eq_u32_e32 vcc_lo, s7, v4
	s_and_saveexec_b32 s7, vcc_lo
	s_cbranch_execz .LBB27_8
; %bb.2:
	s_add_co_i32 s8, s8, 32
	s_delay_alu instid0(SALU_CYCLE_1)
	v_mov_b32_e32 v0, s8
	global_load_b64 v[2:3], v0, s[4:5] scale_offset scope:SCOPE_DEV
	s_wait_xcnt 0x0
	v_mov_b32_e32 v0, 0
	s_wait_loadcnt 0x0
	v_and_b32_e32 v1, 0xff, v3
	s_delay_alu instid0(VALU_DEP_1)
	v_cmp_ne_u64_e32 vcc_lo, 0, v[0:1]
	s_cbranch_vccnz .LBB27_7
; %bb.3:
	s_mov_b32 s9, 0
	s_mov_b32 s10, 1
	s_lshl_b64 s[8:9], s[8:9], 3
	s_delay_alu instid0(SALU_CYCLE_1)
	s_add_nc_u64 s[8:9], s[4:5], s[8:9]
.LBB27_4:                               ; =>This Loop Header: Depth=1
                                        ;     Child Loop BB27_5 Depth 2
	s_mov_b32 s11, s10
.LBB27_5:                               ;   Parent Loop BB27_4 Depth=1
                                        ; =>  This Inner Loop Header: Depth=2
	s_delay_alu instid0(SALU_CYCLE_1)
	s_add_co_i32 s11, s11, -1
	s_sleep 1
	s_cmp_eq_u32 s11, 0
	s_cbranch_scc0 .LBB27_5
; %bb.6:                                ;   in Loop: Header=BB27_4 Depth=1
	global_load_b64 v[2:3], v0, s[8:9] scope:SCOPE_DEV
	s_cmp_lt_u32 s10, 32
	s_cselect_b32 s11, -1, 0
	s_delay_alu instid0(SALU_CYCLE_1) | instskip(SKIP_3) | instid1(VALU_DEP_1)
	s_cmp_lg_u32 s11, 0
	s_add_co_ci_u32 s10, s10, 0
	s_wait_loadcnt 0x0
	v_and_b32_e32 v1, 0xff, v3
	v_cmp_ne_u64_e32 vcc_lo, 0, v[0:1]
	s_cbranch_vccz .LBB27_4
.LBB27_7:
	v_mov_b32_e32 v0, 0
	global_store_b32 v0, v2, s[2:3]
.LBB27_8:
	s_wait_xcnt 0x0
	s_or_b32 exec_lo, exec_lo, s7
.LBB27_9:
	s_delay_alu instid0(SALU_CYCLE_1) | instskip(NEXT) | instid1(VALU_DEP_1)
	s_mov_b32 s2, exec_lo
	v_cmpx_eq_u32_e32 0, v4
	s_cbranch_execz .LBB27_11
; %bb.10:
	s_load_b64 s[0:1], s[0:1], 0x10
	v_mov_b32_e32 v0, 0
	s_wait_kmcnt 0x0
	global_store_b32 v0, v0, s[0:1]
.LBB27_11:
	s_wait_xcnt 0x0
	s_or_b32 exec_lo, exec_lo, s2
	s_delay_alu instid0(SALU_CYCLE_1)
	s_mov_b32 s0, exec_lo
	v_cmpx_gt_u32_e64 s6, v4
	s_cbranch_execz .LBB27_13
; %bb.12:
	v_mov_b64_e32 v[0:1], 0
	v_add_nc_u32_e32 v2, 32, v4
	global_store_b64 v2, v[0:1], s[4:5] scale_offset
.LBB27_13:
	s_wait_xcnt 0x0
	s_or_b32 exec_lo, exec_lo, s0
	s_delay_alu instid0(SALU_CYCLE_1)
	s_mov_b32 s0, exec_lo
	v_cmpx_gt_u32_e32 32, v4
	s_cbranch_execz .LBB27_15
; %bb.14:
	v_mov_b64_e32 v[0:1], 0xff00000000
	global_store_b64 v4, v[0:1], s[4:5] scale_offset
.LBB27_15:
	s_endpgm
	.section	.rodata,"a",@progbits
	.p2align	6, 0x0
	.amdhsa_kernel _ZN7rocprim17ROCPRIM_400000_NS6detail31init_lookback_scan_state_kernelINS1_19lookback_scan_stateIiLb1ELb1EEENS1_16block_id_wrapperIjLb1EEEEEvT_jT0_jPNS7_10value_typeE
		.amdhsa_group_segment_fixed_size 0
		.amdhsa_private_segment_fixed_size 0
		.amdhsa_kernarg_size 296
		.amdhsa_user_sgpr_count 2
		.amdhsa_user_sgpr_dispatch_ptr 0
		.amdhsa_user_sgpr_queue_ptr 0
		.amdhsa_user_sgpr_kernarg_segment_ptr 1
		.amdhsa_user_sgpr_dispatch_id 0
		.amdhsa_user_sgpr_kernarg_preload_length 0
		.amdhsa_user_sgpr_kernarg_preload_offset 0
		.amdhsa_user_sgpr_private_segment_size 0
		.amdhsa_wavefront_size32 1
		.amdhsa_uses_dynamic_stack 0
		.amdhsa_enable_private_segment 0
		.amdhsa_system_sgpr_workgroup_id_x 1
		.amdhsa_system_sgpr_workgroup_id_y 0
		.amdhsa_system_sgpr_workgroup_id_z 0
		.amdhsa_system_sgpr_workgroup_info 0
		.amdhsa_system_vgpr_workitem_id 0
		.amdhsa_next_free_vgpr 5
		.amdhsa_next_free_sgpr 12
		.amdhsa_named_barrier_count 0
		.amdhsa_reserve_vcc 1
		.amdhsa_float_round_mode_32 0
		.amdhsa_float_round_mode_16_64 0
		.amdhsa_float_denorm_mode_32 3
		.amdhsa_float_denorm_mode_16_64 3
		.amdhsa_fp16_overflow 0
		.amdhsa_memory_ordered 1
		.amdhsa_forward_progress 1
		.amdhsa_inst_pref_size 4
		.amdhsa_round_robin_scheduling 0
		.amdhsa_exception_fp_ieee_invalid_op 0
		.amdhsa_exception_fp_denorm_src 0
		.amdhsa_exception_fp_ieee_div_zero 0
		.amdhsa_exception_fp_ieee_overflow 0
		.amdhsa_exception_fp_ieee_underflow 0
		.amdhsa_exception_fp_ieee_inexact 0
		.amdhsa_exception_int_div_zero 0
	.end_amdhsa_kernel
	.section	.text._ZN7rocprim17ROCPRIM_400000_NS6detail31init_lookback_scan_state_kernelINS1_19lookback_scan_stateIiLb1ELb1EEENS1_16block_id_wrapperIjLb1EEEEEvT_jT0_jPNS7_10value_typeE,"axG",@progbits,_ZN7rocprim17ROCPRIM_400000_NS6detail31init_lookback_scan_state_kernelINS1_19lookback_scan_stateIiLb1ELb1EEENS1_16block_id_wrapperIjLb1EEEEEvT_jT0_jPNS7_10value_typeE,comdat
.Lfunc_end27:
	.size	_ZN7rocprim17ROCPRIM_400000_NS6detail31init_lookback_scan_state_kernelINS1_19lookback_scan_stateIiLb1ELb1EEENS1_16block_id_wrapperIjLb1EEEEEvT_jT0_jPNS7_10value_typeE, .Lfunc_end27-_ZN7rocprim17ROCPRIM_400000_NS6detail31init_lookback_scan_state_kernelINS1_19lookback_scan_stateIiLb1ELb1EEENS1_16block_id_wrapperIjLb1EEEEEvT_jT0_jPNS7_10value_typeE
                                        ; -- End function
	.set _ZN7rocprim17ROCPRIM_400000_NS6detail31init_lookback_scan_state_kernelINS1_19lookback_scan_stateIiLb1ELb1EEENS1_16block_id_wrapperIjLb1EEEEEvT_jT0_jPNS7_10value_typeE.num_vgpr, 5
	.set _ZN7rocprim17ROCPRIM_400000_NS6detail31init_lookback_scan_state_kernelINS1_19lookback_scan_stateIiLb1ELb1EEENS1_16block_id_wrapperIjLb1EEEEEvT_jT0_jPNS7_10value_typeE.num_agpr, 0
	.set _ZN7rocprim17ROCPRIM_400000_NS6detail31init_lookback_scan_state_kernelINS1_19lookback_scan_stateIiLb1ELb1EEENS1_16block_id_wrapperIjLb1EEEEEvT_jT0_jPNS7_10value_typeE.numbered_sgpr, 12
	.set _ZN7rocprim17ROCPRIM_400000_NS6detail31init_lookback_scan_state_kernelINS1_19lookback_scan_stateIiLb1ELb1EEENS1_16block_id_wrapperIjLb1EEEEEvT_jT0_jPNS7_10value_typeE.num_named_barrier, 0
	.set _ZN7rocprim17ROCPRIM_400000_NS6detail31init_lookback_scan_state_kernelINS1_19lookback_scan_stateIiLb1ELb1EEENS1_16block_id_wrapperIjLb1EEEEEvT_jT0_jPNS7_10value_typeE.private_seg_size, 0
	.set _ZN7rocprim17ROCPRIM_400000_NS6detail31init_lookback_scan_state_kernelINS1_19lookback_scan_stateIiLb1ELb1EEENS1_16block_id_wrapperIjLb1EEEEEvT_jT0_jPNS7_10value_typeE.uses_vcc, 1
	.set _ZN7rocprim17ROCPRIM_400000_NS6detail31init_lookback_scan_state_kernelINS1_19lookback_scan_stateIiLb1ELb1EEENS1_16block_id_wrapperIjLb1EEEEEvT_jT0_jPNS7_10value_typeE.uses_flat_scratch, 0
	.set _ZN7rocprim17ROCPRIM_400000_NS6detail31init_lookback_scan_state_kernelINS1_19lookback_scan_stateIiLb1ELb1EEENS1_16block_id_wrapperIjLb1EEEEEvT_jT0_jPNS7_10value_typeE.has_dyn_sized_stack, 0
	.set _ZN7rocprim17ROCPRIM_400000_NS6detail31init_lookback_scan_state_kernelINS1_19lookback_scan_stateIiLb1ELb1EEENS1_16block_id_wrapperIjLb1EEEEEvT_jT0_jPNS7_10value_typeE.has_recursion, 0
	.set _ZN7rocprim17ROCPRIM_400000_NS6detail31init_lookback_scan_state_kernelINS1_19lookback_scan_stateIiLb1ELb1EEENS1_16block_id_wrapperIjLb1EEEEEvT_jT0_jPNS7_10value_typeE.has_indirect_call, 0
	.section	.AMDGPU.csdata,"",@progbits
; Kernel info:
; codeLenInByte = 452
; TotalNumSgprs: 14
; NumVgprs: 5
; ScratchSize: 0
; MemoryBound: 0
; FloatMode: 240
; IeeeMode: 1
; LDSByteSize: 0 bytes/workgroup (compile time only)
; SGPRBlocks: 0
; VGPRBlocks: 0
; NumSGPRsForWavesPerEU: 14
; NumVGPRsForWavesPerEU: 5
; NamedBarCnt: 0
; Occupancy: 16
; WaveLimiterHint : 0
; COMPUTE_PGM_RSRC2:SCRATCH_EN: 0
; COMPUTE_PGM_RSRC2:USER_SGPR: 2
; COMPUTE_PGM_RSRC2:TRAP_HANDLER: 0
; COMPUTE_PGM_RSRC2:TGID_X_EN: 1
; COMPUTE_PGM_RSRC2:TGID_Y_EN: 0
; COMPUTE_PGM_RSRC2:TGID_Z_EN: 0
; COMPUTE_PGM_RSRC2:TIDIG_COMP_CNT: 0
	.section	.text._ZN7rocprim17ROCPRIM_400000_NS6detail17trampoline_kernelINS0_14default_configENS1_20scan_config_selectorIiEEZZNS1_9scan_implILNS1_25lookback_scan_determinismE0ELb0ELb0ES3_N6thrust23THRUST_200600_302600_NS6detail15normal_iteratorINS9_10device_ptrIiEEEESE_iNS9_4plusIvEEiEEDaPvRmT3_T4_T5_mT6_P12ihipStream_tbENKUlT_T0_E_clISt17integral_constantIbLb1EESU_EEDaSP_SQ_EUlSP_E_NS1_11comp_targetILNS1_3genE0ELNS1_11target_archE4294967295ELNS1_3gpuE0ELNS1_3repE0EEENS1_30default_config_static_selectorELNS0_4arch9wavefront6targetE0EEEvT1_,"axG",@progbits,_ZN7rocprim17ROCPRIM_400000_NS6detail17trampoline_kernelINS0_14default_configENS1_20scan_config_selectorIiEEZZNS1_9scan_implILNS1_25lookback_scan_determinismE0ELb0ELb0ES3_N6thrust23THRUST_200600_302600_NS6detail15normal_iteratorINS9_10device_ptrIiEEEESE_iNS9_4plusIvEEiEEDaPvRmT3_T4_T5_mT6_P12ihipStream_tbENKUlT_T0_E_clISt17integral_constantIbLb1EESU_EEDaSP_SQ_EUlSP_E_NS1_11comp_targetILNS1_3genE0ELNS1_11target_archE4294967295ELNS1_3gpuE0ELNS1_3repE0EEENS1_30default_config_static_selectorELNS0_4arch9wavefront6targetE0EEEvT1_,comdat
	.protected	_ZN7rocprim17ROCPRIM_400000_NS6detail17trampoline_kernelINS0_14default_configENS1_20scan_config_selectorIiEEZZNS1_9scan_implILNS1_25lookback_scan_determinismE0ELb0ELb0ES3_N6thrust23THRUST_200600_302600_NS6detail15normal_iteratorINS9_10device_ptrIiEEEESE_iNS9_4plusIvEEiEEDaPvRmT3_T4_T5_mT6_P12ihipStream_tbENKUlT_T0_E_clISt17integral_constantIbLb1EESU_EEDaSP_SQ_EUlSP_E_NS1_11comp_targetILNS1_3genE0ELNS1_11target_archE4294967295ELNS1_3gpuE0ELNS1_3repE0EEENS1_30default_config_static_selectorELNS0_4arch9wavefront6targetE0EEEvT1_ ; -- Begin function _ZN7rocprim17ROCPRIM_400000_NS6detail17trampoline_kernelINS0_14default_configENS1_20scan_config_selectorIiEEZZNS1_9scan_implILNS1_25lookback_scan_determinismE0ELb0ELb0ES3_N6thrust23THRUST_200600_302600_NS6detail15normal_iteratorINS9_10device_ptrIiEEEESE_iNS9_4plusIvEEiEEDaPvRmT3_T4_T5_mT6_P12ihipStream_tbENKUlT_T0_E_clISt17integral_constantIbLb1EESU_EEDaSP_SQ_EUlSP_E_NS1_11comp_targetILNS1_3genE0ELNS1_11target_archE4294967295ELNS1_3gpuE0ELNS1_3repE0EEENS1_30default_config_static_selectorELNS0_4arch9wavefront6targetE0EEEvT1_
	.globl	_ZN7rocprim17ROCPRIM_400000_NS6detail17trampoline_kernelINS0_14default_configENS1_20scan_config_selectorIiEEZZNS1_9scan_implILNS1_25lookback_scan_determinismE0ELb0ELb0ES3_N6thrust23THRUST_200600_302600_NS6detail15normal_iteratorINS9_10device_ptrIiEEEESE_iNS9_4plusIvEEiEEDaPvRmT3_T4_T5_mT6_P12ihipStream_tbENKUlT_T0_E_clISt17integral_constantIbLb1EESU_EEDaSP_SQ_EUlSP_E_NS1_11comp_targetILNS1_3genE0ELNS1_11target_archE4294967295ELNS1_3gpuE0ELNS1_3repE0EEENS1_30default_config_static_selectorELNS0_4arch9wavefront6targetE0EEEvT1_
	.p2align	8
	.type	_ZN7rocprim17ROCPRIM_400000_NS6detail17trampoline_kernelINS0_14default_configENS1_20scan_config_selectorIiEEZZNS1_9scan_implILNS1_25lookback_scan_determinismE0ELb0ELb0ES3_N6thrust23THRUST_200600_302600_NS6detail15normal_iteratorINS9_10device_ptrIiEEEESE_iNS9_4plusIvEEiEEDaPvRmT3_T4_T5_mT6_P12ihipStream_tbENKUlT_T0_E_clISt17integral_constantIbLb1EESU_EEDaSP_SQ_EUlSP_E_NS1_11comp_targetILNS1_3genE0ELNS1_11target_archE4294967295ELNS1_3gpuE0ELNS1_3repE0EEENS1_30default_config_static_selectorELNS0_4arch9wavefront6targetE0EEEvT1_,@function
_ZN7rocprim17ROCPRIM_400000_NS6detail17trampoline_kernelINS0_14default_configENS1_20scan_config_selectorIiEEZZNS1_9scan_implILNS1_25lookback_scan_determinismE0ELb0ELb0ES3_N6thrust23THRUST_200600_302600_NS6detail15normal_iteratorINS9_10device_ptrIiEEEESE_iNS9_4plusIvEEiEEDaPvRmT3_T4_T5_mT6_P12ihipStream_tbENKUlT_T0_E_clISt17integral_constantIbLb1EESU_EEDaSP_SQ_EUlSP_E_NS1_11comp_targetILNS1_3genE0ELNS1_11target_archE4294967295ELNS1_3gpuE0ELNS1_3repE0EEENS1_30default_config_static_selectorELNS0_4arch9wavefront6targetE0EEEvT1_: ; @_ZN7rocprim17ROCPRIM_400000_NS6detail17trampoline_kernelINS0_14default_configENS1_20scan_config_selectorIiEEZZNS1_9scan_implILNS1_25lookback_scan_determinismE0ELb0ELb0ES3_N6thrust23THRUST_200600_302600_NS6detail15normal_iteratorINS9_10device_ptrIiEEEESE_iNS9_4plusIvEEiEEDaPvRmT3_T4_T5_mT6_P12ihipStream_tbENKUlT_T0_E_clISt17integral_constantIbLb1EESU_EEDaSP_SQ_EUlSP_E_NS1_11comp_targetILNS1_3genE0ELNS1_11target_archE4294967295ELNS1_3gpuE0ELNS1_3repE0EEENS1_30default_config_static_selectorELNS0_4arch9wavefront6targetE0EEEvT1_
; %bb.0:
	s_endpgm
	.section	.rodata,"a",@progbits
	.p2align	6, 0x0
	.amdhsa_kernel _ZN7rocprim17ROCPRIM_400000_NS6detail17trampoline_kernelINS0_14default_configENS1_20scan_config_selectorIiEEZZNS1_9scan_implILNS1_25lookback_scan_determinismE0ELb0ELb0ES3_N6thrust23THRUST_200600_302600_NS6detail15normal_iteratorINS9_10device_ptrIiEEEESE_iNS9_4plusIvEEiEEDaPvRmT3_T4_T5_mT6_P12ihipStream_tbENKUlT_T0_E_clISt17integral_constantIbLb1EESU_EEDaSP_SQ_EUlSP_E_NS1_11comp_targetILNS1_3genE0ELNS1_11target_archE4294967295ELNS1_3gpuE0ELNS1_3repE0EEENS1_30default_config_static_selectorELNS0_4arch9wavefront6targetE0EEEvT1_
		.amdhsa_group_segment_fixed_size 0
		.amdhsa_private_segment_fixed_size 0
		.amdhsa_kernarg_size 96
		.amdhsa_user_sgpr_count 2
		.amdhsa_user_sgpr_dispatch_ptr 0
		.amdhsa_user_sgpr_queue_ptr 0
		.amdhsa_user_sgpr_kernarg_segment_ptr 1
		.amdhsa_user_sgpr_dispatch_id 0
		.amdhsa_user_sgpr_kernarg_preload_length 0
		.amdhsa_user_sgpr_kernarg_preload_offset 0
		.amdhsa_user_sgpr_private_segment_size 0
		.amdhsa_wavefront_size32 1
		.amdhsa_uses_dynamic_stack 0
		.amdhsa_enable_private_segment 0
		.amdhsa_system_sgpr_workgroup_id_x 1
		.amdhsa_system_sgpr_workgroup_id_y 0
		.amdhsa_system_sgpr_workgroup_id_z 0
		.amdhsa_system_sgpr_workgroup_info 0
		.amdhsa_system_vgpr_workitem_id 0
		.amdhsa_next_free_vgpr 1
		.amdhsa_next_free_sgpr 1
		.amdhsa_named_barrier_count 0
		.amdhsa_reserve_vcc 0
		.amdhsa_float_round_mode_32 0
		.amdhsa_float_round_mode_16_64 0
		.amdhsa_float_denorm_mode_32 3
		.amdhsa_float_denorm_mode_16_64 3
		.amdhsa_fp16_overflow 0
		.amdhsa_memory_ordered 1
		.amdhsa_forward_progress 1
		.amdhsa_inst_pref_size 1
		.amdhsa_round_robin_scheduling 0
		.amdhsa_exception_fp_ieee_invalid_op 0
		.amdhsa_exception_fp_denorm_src 0
		.amdhsa_exception_fp_ieee_div_zero 0
		.amdhsa_exception_fp_ieee_overflow 0
		.amdhsa_exception_fp_ieee_underflow 0
		.amdhsa_exception_fp_ieee_inexact 0
		.amdhsa_exception_int_div_zero 0
	.end_amdhsa_kernel
	.section	.text._ZN7rocprim17ROCPRIM_400000_NS6detail17trampoline_kernelINS0_14default_configENS1_20scan_config_selectorIiEEZZNS1_9scan_implILNS1_25lookback_scan_determinismE0ELb0ELb0ES3_N6thrust23THRUST_200600_302600_NS6detail15normal_iteratorINS9_10device_ptrIiEEEESE_iNS9_4plusIvEEiEEDaPvRmT3_T4_T5_mT6_P12ihipStream_tbENKUlT_T0_E_clISt17integral_constantIbLb1EESU_EEDaSP_SQ_EUlSP_E_NS1_11comp_targetILNS1_3genE0ELNS1_11target_archE4294967295ELNS1_3gpuE0ELNS1_3repE0EEENS1_30default_config_static_selectorELNS0_4arch9wavefront6targetE0EEEvT1_,"axG",@progbits,_ZN7rocprim17ROCPRIM_400000_NS6detail17trampoline_kernelINS0_14default_configENS1_20scan_config_selectorIiEEZZNS1_9scan_implILNS1_25lookback_scan_determinismE0ELb0ELb0ES3_N6thrust23THRUST_200600_302600_NS6detail15normal_iteratorINS9_10device_ptrIiEEEESE_iNS9_4plusIvEEiEEDaPvRmT3_T4_T5_mT6_P12ihipStream_tbENKUlT_T0_E_clISt17integral_constantIbLb1EESU_EEDaSP_SQ_EUlSP_E_NS1_11comp_targetILNS1_3genE0ELNS1_11target_archE4294967295ELNS1_3gpuE0ELNS1_3repE0EEENS1_30default_config_static_selectorELNS0_4arch9wavefront6targetE0EEEvT1_,comdat
.Lfunc_end28:
	.size	_ZN7rocprim17ROCPRIM_400000_NS6detail17trampoline_kernelINS0_14default_configENS1_20scan_config_selectorIiEEZZNS1_9scan_implILNS1_25lookback_scan_determinismE0ELb0ELb0ES3_N6thrust23THRUST_200600_302600_NS6detail15normal_iteratorINS9_10device_ptrIiEEEESE_iNS9_4plusIvEEiEEDaPvRmT3_T4_T5_mT6_P12ihipStream_tbENKUlT_T0_E_clISt17integral_constantIbLb1EESU_EEDaSP_SQ_EUlSP_E_NS1_11comp_targetILNS1_3genE0ELNS1_11target_archE4294967295ELNS1_3gpuE0ELNS1_3repE0EEENS1_30default_config_static_selectorELNS0_4arch9wavefront6targetE0EEEvT1_, .Lfunc_end28-_ZN7rocprim17ROCPRIM_400000_NS6detail17trampoline_kernelINS0_14default_configENS1_20scan_config_selectorIiEEZZNS1_9scan_implILNS1_25lookback_scan_determinismE0ELb0ELb0ES3_N6thrust23THRUST_200600_302600_NS6detail15normal_iteratorINS9_10device_ptrIiEEEESE_iNS9_4plusIvEEiEEDaPvRmT3_T4_T5_mT6_P12ihipStream_tbENKUlT_T0_E_clISt17integral_constantIbLb1EESU_EEDaSP_SQ_EUlSP_E_NS1_11comp_targetILNS1_3genE0ELNS1_11target_archE4294967295ELNS1_3gpuE0ELNS1_3repE0EEENS1_30default_config_static_selectorELNS0_4arch9wavefront6targetE0EEEvT1_
                                        ; -- End function
	.set _ZN7rocprim17ROCPRIM_400000_NS6detail17trampoline_kernelINS0_14default_configENS1_20scan_config_selectorIiEEZZNS1_9scan_implILNS1_25lookback_scan_determinismE0ELb0ELb0ES3_N6thrust23THRUST_200600_302600_NS6detail15normal_iteratorINS9_10device_ptrIiEEEESE_iNS9_4plusIvEEiEEDaPvRmT3_T4_T5_mT6_P12ihipStream_tbENKUlT_T0_E_clISt17integral_constantIbLb1EESU_EEDaSP_SQ_EUlSP_E_NS1_11comp_targetILNS1_3genE0ELNS1_11target_archE4294967295ELNS1_3gpuE0ELNS1_3repE0EEENS1_30default_config_static_selectorELNS0_4arch9wavefront6targetE0EEEvT1_.num_vgpr, 0
	.set _ZN7rocprim17ROCPRIM_400000_NS6detail17trampoline_kernelINS0_14default_configENS1_20scan_config_selectorIiEEZZNS1_9scan_implILNS1_25lookback_scan_determinismE0ELb0ELb0ES3_N6thrust23THRUST_200600_302600_NS6detail15normal_iteratorINS9_10device_ptrIiEEEESE_iNS9_4plusIvEEiEEDaPvRmT3_T4_T5_mT6_P12ihipStream_tbENKUlT_T0_E_clISt17integral_constantIbLb1EESU_EEDaSP_SQ_EUlSP_E_NS1_11comp_targetILNS1_3genE0ELNS1_11target_archE4294967295ELNS1_3gpuE0ELNS1_3repE0EEENS1_30default_config_static_selectorELNS0_4arch9wavefront6targetE0EEEvT1_.num_agpr, 0
	.set _ZN7rocprim17ROCPRIM_400000_NS6detail17trampoline_kernelINS0_14default_configENS1_20scan_config_selectorIiEEZZNS1_9scan_implILNS1_25lookback_scan_determinismE0ELb0ELb0ES3_N6thrust23THRUST_200600_302600_NS6detail15normal_iteratorINS9_10device_ptrIiEEEESE_iNS9_4plusIvEEiEEDaPvRmT3_T4_T5_mT6_P12ihipStream_tbENKUlT_T0_E_clISt17integral_constantIbLb1EESU_EEDaSP_SQ_EUlSP_E_NS1_11comp_targetILNS1_3genE0ELNS1_11target_archE4294967295ELNS1_3gpuE0ELNS1_3repE0EEENS1_30default_config_static_selectorELNS0_4arch9wavefront6targetE0EEEvT1_.numbered_sgpr, 0
	.set _ZN7rocprim17ROCPRIM_400000_NS6detail17trampoline_kernelINS0_14default_configENS1_20scan_config_selectorIiEEZZNS1_9scan_implILNS1_25lookback_scan_determinismE0ELb0ELb0ES3_N6thrust23THRUST_200600_302600_NS6detail15normal_iteratorINS9_10device_ptrIiEEEESE_iNS9_4plusIvEEiEEDaPvRmT3_T4_T5_mT6_P12ihipStream_tbENKUlT_T0_E_clISt17integral_constantIbLb1EESU_EEDaSP_SQ_EUlSP_E_NS1_11comp_targetILNS1_3genE0ELNS1_11target_archE4294967295ELNS1_3gpuE0ELNS1_3repE0EEENS1_30default_config_static_selectorELNS0_4arch9wavefront6targetE0EEEvT1_.num_named_barrier, 0
	.set _ZN7rocprim17ROCPRIM_400000_NS6detail17trampoline_kernelINS0_14default_configENS1_20scan_config_selectorIiEEZZNS1_9scan_implILNS1_25lookback_scan_determinismE0ELb0ELb0ES3_N6thrust23THRUST_200600_302600_NS6detail15normal_iteratorINS9_10device_ptrIiEEEESE_iNS9_4plusIvEEiEEDaPvRmT3_T4_T5_mT6_P12ihipStream_tbENKUlT_T0_E_clISt17integral_constantIbLb1EESU_EEDaSP_SQ_EUlSP_E_NS1_11comp_targetILNS1_3genE0ELNS1_11target_archE4294967295ELNS1_3gpuE0ELNS1_3repE0EEENS1_30default_config_static_selectorELNS0_4arch9wavefront6targetE0EEEvT1_.private_seg_size, 0
	.set _ZN7rocprim17ROCPRIM_400000_NS6detail17trampoline_kernelINS0_14default_configENS1_20scan_config_selectorIiEEZZNS1_9scan_implILNS1_25lookback_scan_determinismE0ELb0ELb0ES3_N6thrust23THRUST_200600_302600_NS6detail15normal_iteratorINS9_10device_ptrIiEEEESE_iNS9_4plusIvEEiEEDaPvRmT3_T4_T5_mT6_P12ihipStream_tbENKUlT_T0_E_clISt17integral_constantIbLb1EESU_EEDaSP_SQ_EUlSP_E_NS1_11comp_targetILNS1_3genE0ELNS1_11target_archE4294967295ELNS1_3gpuE0ELNS1_3repE0EEENS1_30default_config_static_selectorELNS0_4arch9wavefront6targetE0EEEvT1_.uses_vcc, 0
	.set _ZN7rocprim17ROCPRIM_400000_NS6detail17trampoline_kernelINS0_14default_configENS1_20scan_config_selectorIiEEZZNS1_9scan_implILNS1_25lookback_scan_determinismE0ELb0ELb0ES3_N6thrust23THRUST_200600_302600_NS6detail15normal_iteratorINS9_10device_ptrIiEEEESE_iNS9_4plusIvEEiEEDaPvRmT3_T4_T5_mT6_P12ihipStream_tbENKUlT_T0_E_clISt17integral_constantIbLb1EESU_EEDaSP_SQ_EUlSP_E_NS1_11comp_targetILNS1_3genE0ELNS1_11target_archE4294967295ELNS1_3gpuE0ELNS1_3repE0EEENS1_30default_config_static_selectorELNS0_4arch9wavefront6targetE0EEEvT1_.uses_flat_scratch, 0
	.set _ZN7rocprim17ROCPRIM_400000_NS6detail17trampoline_kernelINS0_14default_configENS1_20scan_config_selectorIiEEZZNS1_9scan_implILNS1_25lookback_scan_determinismE0ELb0ELb0ES3_N6thrust23THRUST_200600_302600_NS6detail15normal_iteratorINS9_10device_ptrIiEEEESE_iNS9_4plusIvEEiEEDaPvRmT3_T4_T5_mT6_P12ihipStream_tbENKUlT_T0_E_clISt17integral_constantIbLb1EESU_EEDaSP_SQ_EUlSP_E_NS1_11comp_targetILNS1_3genE0ELNS1_11target_archE4294967295ELNS1_3gpuE0ELNS1_3repE0EEENS1_30default_config_static_selectorELNS0_4arch9wavefront6targetE0EEEvT1_.has_dyn_sized_stack, 0
	.set _ZN7rocprim17ROCPRIM_400000_NS6detail17trampoline_kernelINS0_14default_configENS1_20scan_config_selectorIiEEZZNS1_9scan_implILNS1_25lookback_scan_determinismE0ELb0ELb0ES3_N6thrust23THRUST_200600_302600_NS6detail15normal_iteratorINS9_10device_ptrIiEEEESE_iNS9_4plusIvEEiEEDaPvRmT3_T4_T5_mT6_P12ihipStream_tbENKUlT_T0_E_clISt17integral_constantIbLb1EESU_EEDaSP_SQ_EUlSP_E_NS1_11comp_targetILNS1_3genE0ELNS1_11target_archE4294967295ELNS1_3gpuE0ELNS1_3repE0EEENS1_30default_config_static_selectorELNS0_4arch9wavefront6targetE0EEEvT1_.has_recursion, 0
	.set _ZN7rocprim17ROCPRIM_400000_NS6detail17trampoline_kernelINS0_14default_configENS1_20scan_config_selectorIiEEZZNS1_9scan_implILNS1_25lookback_scan_determinismE0ELb0ELb0ES3_N6thrust23THRUST_200600_302600_NS6detail15normal_iteratorINS9_10device_ptrIiEEEESE_iNS9_4plusIvEEiEEDaPvRmT3_T4_T5_mT6_P12ihipStream_tbENKUlT_T0_E_clISt17integral_constantIbLb1EESU_EEDaSP_SQ_EUlSP_E_NS1_11comp_targetILNS1_3genE0ELNS1_11target_archE4294967295ELNS1_3gpuE0ELNS1_3repE0EEENS1_30default_config_static_selectorELNS0_4arch9wavefront6targetE0EEEvT1_.has_indirect_call, 0
	.section	.AMDGPU.csdata,"",@progbits
; Kernel info:
; codeLenInByte = 4
; TotalNumSgprs: 0
; NumVgprs: 0
; ScratchSize: 0
; MemoryBound: 0
; FloatMode: 240
; IeeeMode: 1
; LDSByteSize: 0 bytes/workgroup (compile time only)
; SGPRBlocks: 0
; VGPRBlocks: 0
; NumSGPRsForWavesPerEU: 1
; NumVGPRsForWavesPerEU: 1
; NamedBarCnt: 0
; Occupancy: 16
; WaveLimiterHint : 0
; COMPUTE_PGM_RSRC2:SCRATCH_EN: 0
; COMPUTE_PGM_RSRC2:USER_SGPR: 2
; COMPUTE_PGM_RSRC2:TRAP_HANDLER: 0
; COMPUTE_PGM_RSRC2:TGID_X_EN: 1
; COMPUTE_PGM_RSRC2:TGID_Y_EN: 0
; COMPUTE_PGM_RSRC2:TGID_Z_EN: 0
; COMPUTE_PGM_RSRC2:TIDIG_COMP_CNT: 0
	.section	.text._ZN7rocprim17ROCPRIM_400000_NS6detail17trampoline_kernelINS0_14default_configENS1_20scan_config_selectorIiEEZZNS1_9scan_implILNS1_25lookback_scan_determinismE0ELb0ELb0ES3_N6thrust23THRUST_200600_302600_NS6detail15normal_iteratorINS9_10device_ptrIiEEEESE_iNS9_4plusIvEEiEEDaPvRmT3_T4_T5_mT6_P12ihipStream_tbENKUlT_T0_E_clISt17integral_constantIbLb1EESU_EEDaSP_SQ_EUlSP_E_NS1_11comp_targetILNS1_3genE5ELNS1_11target_archE942ELNS1_3gpuE9ELNS1_3repE0EEENS1_30default_config_static_selectorELNS0_4arch9wavefront6targetE0EEEvT1_,"axG",@progbits,_ZN7rocprim17ROCPRIM_400000_NS6detail17trampoline_kernelINS0_14default_configENS1_20scan_config_selectorIiEEZZNS1_9scan_implILNS1_25lookback_scan_determinismE0ELb0ELb0ES3_N6thrust23THRUST_200600_302600_NS6detail15normal_iteratorINS9_10device_ptrIiEEEESE_iNS9_4plusIvEEiEEDaPvRmT3_T4_T5_mT6_P12ihipStream_tbENKUlT_T0_E_clISt17integral_constantIbLb1EESU_EEDaSP_SQ_EUlSP_E_NS1_11comp_targetILNS1_3genE5ELNS1_11target_archE942ELNS1_3gpuE9ELNS1_3repE0EEENS1_30default_config_static_selectorELNS0_4arch9wavefront6targetE0EEEvT1_,comdat
	.protected	_ZN7rocprim17ROCPRIM_400000_NS6detail17trampoline_kernelINS0_14default_configENS1_20scan_config_selectorIiEEZZNS1_9scan_implILNS1_25lookback_scan_determinismE0ELb0ELb0ES3_N6thrust23THRUST_200600_302600_NS6detail15normal_iteratorINS9_10device_ptrIiEEEESE_iNS9_4plusIvEEiEEDaPvRmT3_T4_T5_mT6_P12ihipStream_tbENKUlT_T0_E_clISt17integral_constantIbLb1EESU_EEDaSP_SQ_EUlSP_E_NS1_11comp_targetILNS1_3genE5ELNS1_11target_archE942ELNS1_3gpuE9ELNS1_3repE0EEENS1_30default_config_static_selectorELNS0_4arch9wavefront6targetE0EEEvT1_ ; -- Begin function _ZN7rocprim17ROCPRIM_400000_NS6detail17trampoline_kernelINS0_14default_configENS1_20scan_config_selectorIiEEZZNS1_9scan_implILNS1_25lookback_scan_determinismE0ELb0ELb0ES3_N6thrust23THRUST_200600_302600_NS6detail15normal_iteratorINS9_10device_ptrIiEEEESE_iNS9_4plusIvEEiEEDaPvRmT3_T4_T5_mT6_P12ihipStream_tbENKUlT_T0_E_clISt17integral_constantIbLb1EESU_EEDaSP_SQ_EUlSP_E_NS1_11comp_targetILNS1_3genE5ELNS1_11target_archE942ELNS1_3gpuE9ELNS1_3repE0EEENS1_30default_config_static_selectorELNS0_4arch9wavefront6targetE0EEEvT1_
	.globl	_ZN7rocprim17ROCPRIM_400000_NS6detail17trampoline_kernelINS0_14default_configENS1_20scan_config_selectorIiEEZZNS1_9scan_implILNS1_25lookback_scan_determinismE0ELb0ELb0ES3_N6thrust23THRUST_200600_302600_NS6detail15normal_iteratorINS9_10device_ptrIiEEEESE_iNS9_4plusIvEEiEEDaPvRmT3_T4_T5_mT6_P12ihipStream_tbENKUlT_T0_E_clISt17integral_constantIbLb1EESU_EEDaSP_SQ_EUlSP_E_NS1_11comp_targetILNS1_3genE5ELNS1_11target_archE942ELNS1_3gpuE9ELNS1_3repE0EEENS1_30default_config_static_selectorELNS0_4arch9wavefront6targetE0EEEvT1_
	.p2align	8
	.type	_ZN7rocprim17ROCPRIM_400000_NS6detail17trampoline_kernelINS0_14default_configENS1_20scan_config_selectorIiEEZZNS1_9scan_implILNS1_25lookback_scan_determinismE0ELb0ELb0ES3_N6thrust23THRUST_200600_302600_NS6detail15normal_iteratorINS9_10device_ptrIiEEEESE_iNS9_4plusIvEEiEEDaPvRmT3_T4_T5_mT6_P12ihipStream_tbENKUlT_T0_E_clISt17integral_constantIbLb1EESU_EEDaSP_SQ_EUlSP_E_NS1_11comp_targetILNS1_3genE5ELNS1_11target_archE942ELNS1_3gpuE9ELNS1_3repE0EEENS1_30default_config_static_selectorELNS0_4arch9wavefront6targetE0EEEvT1_,@function
_ZN7rocprim17ROCPRIM_400000_NS6detail17trampoline_kernelINS0_14default_configENS1_20scan_config_selectorIiEEZZNS1_9scan_implILNS1_25lookback_scan_determinismE0ELb0ELb0ES3_N6thrust23THRUST_200600_302600_NS6detail15normal_iteratorINS9_10device_ptrIiEEEESE_iNS9_4plusIvEEiEEDaPvRmT3_T4_T5_mT6_P12ihipStream_tbENKUlT_T0_E_clISt17integral_constantIbLb1EESU_EEDaSP_SQ_EUlSP_E_NS1_11comp_targetILNS1_3genE5ELNS1_11target_archE942ELNS1_3gpuE9ELNS1_3repE0EEENS1_30default_config_static_selectorELNS0_4arch9wavefront6targetE0EEEvT1_: ; @_ZN7rocprim17ROCPRIM_400000_NS6detail17trampoline_kernelINS0_14default_configENS1_20scan_config_selectorIiEEZZNS1_9scan_implILNS1_25lookback_scan_determinismE0ELb0ELb0ES3_N6thrust23THRUST_200600_302600_NS6detail15normal_iteratorINS9_10device_ptrIiEEEESE_iNS9_4plusIvEEiEEDaPvRmT3_T4_T5_mT6_P12ihipStream_tbENKUlT_T0_E_clISt17integral_constantIbLb1EESU_EEDaSP_SQ_EUlSP_E_NS1_11comp_targetILNS1_3genE5ELNS1_11target_archE942ELNS1_3gpuE9ELNS1_3repE0EEENS1_30default_config_static_selectorELNS0_4arch9wavefront6targetE0EEEvT1_
; %bb.0:
	.section	.rodata,"a",@progbits
	.p2align	6, 0x0
	.amdhsa_kernel _ZN7rocprim17ROCPRIM_400000_NS6detail17trampoline_kernelINS0_14default_configENS1_20scan_config_selectorIiEEZZNS1_9scan_implILNS1_25lookback_scan_determinismE0ELb0ELb0ES3_N6thrust23THRUST_200600_302600_NS6detail15normal_iteratorINS9_10device_ptrIiEEEESE_iNS9_4plusIvEEiEEDaPvRmT3_T4_T5_mT6_P12ihipStream_tbENKUlT_T0_E_clISt17integral_constantIbLb1EESU_EEDaSP_SQ_EUlSP_E_NS1_11comp_targetILNS1_3genE5ELNS1_11target_archE942ELNS1_3gpuE9ELNS1_3repE0EEENS1_30default_config_static_selectorELNS0_4arch9wavefront6targetE0EEEvT1_
		.amdhsa_group_segment_fixed_size 0
		.amdhsa_private_segment_fixed_size 0
		.amdhsa_kernarg_size 96
		.amdhsa_user_sgpr_count 2
		.amdhsa_user_sgpr_dispatch_ptr 0
		.amdhsa_user_sgpr_queue_ptr 0
		.amdhsa_user_sgpr_kernarg_segment_ptr 1
		.amdhsa_user_sgpr_dispatch_id 0
		.amdhsa_user_sgpr_kernarg_preload_length 0
		.amdhsa_user_sgpr_kernarg_preload_offset 0
		.amdhsa_user_sgpr_private_segment_size 0
		.amdhsa_wavefront_size32 1
		.amdhsa_uses_dynamic_stack 0
		.amdhsa_enable_private_segment 0
		.amdhsa_system_sgpr_workgroup_id_x 1
		.amdhsa_system_sgpr_workgroup_id_y 0
		.amdhsa_system_sgpr_workgroup_id_z 0
		.amdhsa_system_sgpr_workgroup_info 0
		.amdhsa_system_vgpr_workitem_id 0
		.amdhsa_next_free_vgpr 1
		.amdhsa_next_free_sgpr 1
		.amdhsa_named_barrier_count 0
		.amdhsa_reserve_vcc 0
		.amdhsa_float_round_mode_32 0
		.amdhsa_float_round_mode_16_64 0
		.amdhsa_float_denorm_mode_32 3
		.amdhsa_float_denorm_mode_16_64 3
		.amdhsa_fp16_overflow 0
		.amdhsa_memory_ordered 1
		.amdhsa_forward_progress 1
		.amdhsa_inst_pref_size 0
		.amdhsa_round_robin_scheduling 0
		.amdhsa_exception_fp_ieee_invalid_op 0
		.amdhsa_exception_fp_denorm_src 0
		.amdhsa_exception_fp_ieee_div_zero 0
		.amdhsa_exception_fp_ieee_overflow 0
		.amdhsa_exception_fp_ieee_underflow 0
		.amdhsa_exception_fp_ieee_inexact 0
		.amdhsa_exception_int_div_zero 0
	.end_amdhsa_kernel
	.section	.text._ZN7rocprim17ROCPRIM_400000_NS6detail17trampoline_kernelINS0_14default_configENS1_20scan_config_selectorIiEEZZNS1_9scan_implILNS1_25lookback_scan_determinismE0ELb0ELb0ES3_N6thrust23THRUST_200600_302600_NS6detail15normal_iteratorINS9_10device_ptrIiEEEESE_iNS9_4plusIvEEiEEDaPvRmT3_T4_T5_mT6_P12ihipStream_tbENKUlT_T0_E_clISt17integral_constantIbLb1EESU_EEDaSP_SQ_EUlSP_E_NS1_11comp_targetILNS1_3genE5ELNS1_11target_archE942ELNS1_3gpuE9ELNS1_3repE0EEENS1_30default_config_static_selectorELNS0_4arch9wavefront6targetE0EEEvT1_,"axG",@progbits,_ZN7rocprim17ROCPRIM_400000_NS6detail17trampoline_kernelINS0_14default_configENS1_20scan_config_selectorIiEEZZNS1_9scan_implILNS1_25lookback_scan_determinismE0ELb0ELb0ES3_N6thrust23THRUST_200600_302600_NS6detail15normal_iteratorINS9_10device_ptrIiEEEESE_iNS9_4plusIvEEiEEDaPvRmT3_T4_T5_mT6_P12ihipStream_tbENKUlT_T0_E_clISt17integral_constantIbLb1EESU_EEDaSP_SQ_EUlSP_E_NS1_11comp_targetILNS1_3genE5ELNS1_11target_archE942ELNS1_3gpuE9ELNS1_3repE0EEENS1_30default_config_static_selectorELNS0_4arch9wavefront6targetE0EEEvT1_,comdat
.Lfunc_end29:
	.size	_ZN7rocprim17ROCPRIM_400000_NS6detail17trampoline_kernelINS0_14default_configENS1_20scan_config_selectorIiEEZZNS1_9scan_implILNS1_25lookback_scan_determinismE0ELb0ELb0ES3_N6thrust23THRUST_200600_302600_NS6detail15normal_iteratorINS9_10device_ptrIiEEEESE_iNS9_4plusIvEEiEEDaPvRmT3_T4_T5_mT6_P12ihipStream_tbENKUlT_T0_E_clISt17integral_constantIbLb1EESU_EEDaSP_SQ_EUlSP_E_NS1_11comp_targetILNS1_3genE5ELNS1_11target_archE942ELNS1_3gpuE9ELNS1_3repE0EEENS1_30default_config_static_selectorELNS0_4arch9wavefront6targetE0EEEvT1_, .Lfunc_end29-_ZN7rocprim17ROCPRIM_400000_NS6detail17trampoline_kernelINS0_14default_configENS1_20scan_config_selectorIiEEZZNS1_9scan_implILNS1_25lookback_scan_determinismE0ELb0ELb0ES3_N6thrust23THRUST_200600_302600_NS6detail15normal_iteratorINS9_10device_ptrIiEEEESE_iNS9_4plusIvEEiEEDaPvRmT3_T4_T5_mT6_P12ihipStream_tbENKUlT_T0_E_clISt17integral_constantIbLb1EESU_EEDaSP_SQ_EUlSP_E_NS1_11comp_targetILNS1_3genE5ELNS1_11target_archE942ELNS1_3gpuE9ELNS1_3repE0EEENS1_30default_config_static_selectorELNS0_4arch9wavefront6targetE0EEEvT1_
                                        ; -- End function
	.set _ZN7rocprim17ROCPRIM_400000_NS6detail17trampoline_kernelINS0_14default_configENS1_20scan_config_selectorIiEEZZNS1_9scan_implILNS1_25lookback_scan_determinismE0ELb0ELb0ES3_N6thrust23THRUST_200600_302600_NS6detail15normal_iteratorINS9_10device_ptrIiEEEESE_iNS9_4plusIvEEiEEDaPvRmT3_T4_T5_mT6_P12ihipStream_tbENKUlT_T0_E_clISt17integral_constantIbLb1EESU_EEDaSP_SQ_EUlSP_E_NS1_11comp_targetILNS1_3genE5ELNS1_11target_archE942ELNS1_3gpuE9ELNS1_3repE0EEENS1_30default_config_static_selectorELNS0_4arch9wavefront6targetE0EEEvT1_.num_vgpr, 0
	.set _ZN7rocprim17ROCPRIM_400000_NS6detail17trampoline_kernelINS0_14default_configENS1_20scan_config_selectorIiEEZZNS1_9scan_implILNS1_25lookback_scan_determinismE0ELb0ELb0ES3_N6thrust23THRUST_200600_302600_NS6detail15normal_iteratorINS9_10device_ptrIiEEEESE_iNS9_4plusIvEEiEEDaPvRmT3_T4_T5_mT6_P12ihipStream_tbENKUlT_T0_E_clISt17integral_constantIbLb1EESU_EEDaSP_SQ_EUlSP_E_NS1_11comp_targetILNS1_3genE5ELNS1_11target_archE942ELNS1_3gpuE9ELNS1_3repE0EEENS1_30default_config_static_selectorELNS0_4arch9wavefront6targetE0EEEvT1_.num_agpr, 0
	.set _ZN7rocprim17ROCPRIM_400000_NS6detail17trampoline_kernelINS0_14default_configENS1_20scan_config_selectorIiEEZZNS1_9scan_implILNS1_25lookback_scan_determinismE0ELb0ELb0ES3_N6thrust23THRUST_200600_302600_NS6detail15normal_iteratorINS9_10device_ptrIiEEEESE_iNS9_4plusIvEEiEEDaPvRmT3_T4_T5_mT6_P12ihipStream_tbENKUlT_T0_E_clISt17integral_constantIbLb1EESU_EEDaSP_SQ_EUlSP_E_NS1_11comp_targetILNS1_3genE5ELNS1_11target_archE942ELNS1_3gpuE9ELNS1_3repE0EEENS1_30default_config_static_selectorELNS0_4arch9wavefront6targetE0EEEvT1_.numbered_sgpr, 0
	.set _ZN7rocprim17ROCPRIM_400000_NS6detail17trampoline_kernelINS0_14default_configENS1_20scan_config_selectorIiEEZZNS1_9scan_implILNS1_25lookback_scan_determinismE0ELb0ELb0ES3_N6thrust23THRUST_200600_302600_NS6detail15normal_iteratorINS9_10device_ptrIiEEEESE_iNS9_4plusIvEEiEEDaPvRmT3_T4_T5_mT6_P12ihipStream_tbENKUlT_T0_E_clISt17integral_constantIbLb1EESU_EEDaSP_SQ_EUlSP_E_NS1_11comp_targetILNS1_3genE5ELNS1_11target_archE942ELNS1_3gpuE9ELNS1_3repE0EEENS1_30default_config_static_selectorELNS0_4arch9wavefront6targetE0EEEvT1_.num_named_barrier, 0
	.set _ZN7rocprim17ROCPRIM_400000_NS6detail17trampoline_kernelINS0_14default_configENS1_20scan_config_selectorIiEEZZNS1_9scan_implILNS1_25lookback_scan_determinismE0ELb0ELb0ES3_N6thrust23THRUST_200600_302600_NS6detail15normal_iteratorINS9_10device_ptrIiEEEESE_iNS9_4plusIvEEiEEDaPvRmT3_T4_T5_mT6_P12ihipStream_tbENKUlT_T0_E_clISt17integral_constantIbLb1EESU_EEDaSP_SQ_EUlSP_E_NS1_11comp_targetILNS1_3genE5ELNS1_11target_archE942ELNS1_3gpuE9ELNS1_3repE0EEENS1_30default_config_static_selectorELNS0_4arch9wavefront6targetE0EEEvT1_.private_seg_size, 0
	.set _ZN7rocprim17ROCPRIM_400000_NS6detail17trampoline_kernelINS0_14default_configENS1_20scan_config_selectorIiEEZZNS1_9scan_implILNS1_25lookback_scan_determinismE0ELb0ELb0ES3_N6thrust23THRUST_200600_302600_NS6detail15normal_iteratorINS9_10device_ptrIiEEEESE_iNS9_4plusIvEEiEEDaPvRmT3_T4_T5_mT6_P12ihipStream_tbENKUlT_T0_E_clISt17integral_constantIbLb1EESU_EEDaSP_SQ_EUlSP_E_NS1_11comp_targetILNS1_3genE5ELNS1_11target_archE942ELNS1_3gpuE9ELNS1_3repE0EEENS1_30default_config_static_selectorELNS0_4arch9wavefront6targetE0EEEvT1_.uses_vcc, 0
	.set _ZN7rocprim17ROCPRIM_400000_NS6detail17trampoline_kernelINS0_14default_configENS1_20scan_config_selectorIiEEZZNS1_9scan_implILNS1_25lookback_scan_determinismE0ELb0ELb0ES3_N6thrust23THRUST_200600_302600_NS6detail15normal_iteratorINS9_10device_ptrIiEEEESE_iNS9_4plusIvEEiEEDaPvRmT3_T4_T5_mT6_P12ihipStream_tbENKUlT_T0_E_clISt17integral_constantIbLb1EESU_EEDaSP_SQ_EUlSP_E_NS1_11comp_targetILNS1_3genE5ELNS1_11target_archE942ELNS1_3gpuE9ELNS1_3repE0EEENS1_30default_config_static_selectorELNS0_4arch9wavefront6targetE0EEEvT1_.uses_flat_scratch, 0
	.set _ZN7rocprim17ROCPRIM_400000_NS6detail17trampoline_kernelINS0_14default_configENS1_20scan_config_selectorIiEEZZNS1_9scan_implILNS1_25lookback_scan_determinismE0ELb0ELb0ES3_N6thrust23THRUST_200600_302600_NS6detail15normal_iteratorINS9_10device_ptrIiEEEESE_iNS9_4plusIvEEiEEDaPvRmT3_T4_T5_mT6_P12ihipStream_tbENKUlT_T0_E_clISt17integral_constantIbLb1EESU_EEDaSP_SQ_EUlSP_E_NS1_11comp_targetILNS1_3genE5ELNS1_11target_archE942ELNS1_3gpuE9ELNS1_3repE0EEENS1_30default_config_static_selectorELNS0_4arch9wavefront6targetE0EEEvT1_.has_dyn_sized_stack, 0
	.set _ZN7rocprim17ROCPRIM_400000_NS6detail17trampoline_kernelINS0_14default_configENS1_20scan_config_selectorIiEEZZNS1_9scan_implILNS1_25lookback_scan_determinismE0ELb0ELb0ES3_N6thrust23THRUST_200600_302600_NS6detail15normal_iteratorINS9_10device_ptrIiEEEESE_iNS9_4plusIvEEiEEDaPvRmT3_T4_T5_mT6_P12ihipStream_tbENKUlT_T0_E_clISt17integral_constantIbLb1EESU_EEDaSP_SQ_EUlSP_E_NS1_11comp_targetILNS1_3genE5ELNS1_11target_archE942ELNS1_3gpuE9ELNS1_3repE0EEENS1_30default_config_static_selectorELNS0_4arch9wavefront6targetE0EEEvT1_.has_recursion, 0
	.set _ZN7rocprim17ROCPRIM_400000_NS6detail17trampoline_kernelINS0_14default_configENS1_20scan_config_selectorIiEEZZNS1_9scan_implILNS1_25lookback_scan_determinismE0ELb0ELb0ES3_N6thrust23THRUST_200600_302600_NS6detail15normal_iteratorINS9_10device_ptrIiEEEESE_iNS9_4plusIvEEiEEDaPvRmT3_T4_T5_mT6_P12ihipStream_tbENKUlT_T0_E_clISt17integral_constantIbLb1EESU_EEDaSP_SQ_EUlSP_E_NS1_11comp_targetILNS1_3genE5ELNS1_11target_archE942ELNS1_3gpuE9ELNS1_3repE0EEENS1_30default_config_static_selectorELNS0_4arch9wavefront6targetE0EEEvT1_.has_indirect_call, 0
	.section	.AMDGPU.csdata,"",@progbits
; Kernel info:
; codeLenInByte = 0
; TotalNumSgprs: 0
; NumVgprs: 0
; ScratchSize: 0
; MemoryBound: 0
; FloatMode: 240
; IeeeMode: 1
; LDSByteSize: 0 bytes/workgroup (compile time only)
; SGPRBlocks: 0
; VGPRBlocks: 0
; NumSGPRsForWavesPerEU: 1
; NumVGPRsForWavesPerEU: 1
; NamedBarCnt: 0
; Occupancy: 16
; WaveLimiterHint : 0
; COMPUTE_PGM_RSRC2:SCRATCH_EN: 0
; COMPUTE_PGM_RSRC2:USER_SGPR: 2
; COMPUTE_PGM_RSRC2:TRAP_HANDLER: 0
; COMPUTE_PGM_RSRC2:TGID_X_EN: 1
; COMPUTE_PGM_RSRC2:TGID_Y_EN: 0
; COMPUTE_PGM_RSRC2:TGID_Z_EN: 0
; COMPUTE_PGM_RSRC2:TIDIG_COMP_CNT: 0
	.section	.text._ZN7rocprim17ROCPRIM_400000_NS6detail17trampoline_kernelINS0_14default_configENS1_20scan_config_selectorIiEEZZNS1_9scan_implILNS1_25lookback_scan_determinismE0ELb0ELb0ES3_N6thrust23THRUST_200600_302600_NS6detail15normal_iteratorINS9_10device_ptrIiEEEESE_iNS9_4plusIvEEiEEDaPvRmT3_T4_T5_mT6_P12ihipStream_tbENKUlT_T0_E_clISt17integral_constantIbLb1EESU_EEDaSP_SQ_EUlSP_E_NS1_11comp_targetILNS1_3genE4ELNS1_11target_archE910ELNS1_3gpuE8ELNS1_3repE0EEENS1_30default_config_static_selectorELNS0_4arch9wavefront6targetE0EEEvT1_,"axG",@progbits,_ZN7rocprim17ROCPRIM_400000_NS6detail17trampoline_kernelINS0_14default_configENS1_20scan_config_selectorIiEEZZNS1_9scan_implILNS1_25lookback_scan_determinismE0ELb0ELb0ES3_N6thrust23THRUST_200600_302600_NS6detail15normal_iteratorINS9_10device_ptrIiEEEESE_iNS9_4plusIvEEiEEDaPvRmT3_T4_T5_mT6_P12ihipStream_tbENKUlT_T0_E_clISt17integral_constantIbLb1EESU_EEDaSP_SQ_EUlSP_E_NS1_11comp_targetILNS1_3genE4ELNS1_11target_archE910ELNS1_3gpuE8ELNS1_3repE0EEENS1_30default_config_static_selectorELNS0_4arch9wavefront6targetE0EEEvT1_,comdat
	.protected	_ZN7rocprim17ROCPRIM_400000_NS6detail17trampoline_kernelINS0_14default_configENS1_20scan_config_selectorIiEEZZNS1_9scan_implILNS1_25lookback_scan_determinismE0ELb0ELb0ES3_N6thrust23THRUST_200600_302600_NS6detail15normal_iteratorINS9_10device_ptrIiEEEESE_iNS9_4plusIvEEiEEDaPvRmT3_T4_T5_mT6_P12ihipStream_tbENKUlT_T0_E_clISt17integral_constantIbLb1EESU_EEDaSP_SQ_EUlSP_E_NS1_11comp_targetILNS1_3genE4ELNS1_11target_archE910ELNS1_3gpuE8ELNS1_3repE0EEENS1_30default_config_static_selectorELNS0_4arch9wavefront6targetE0EEEvT1_ ; -- Begin function _ZN7rocprim17ROCPRIM_400000_NS6detail17trampoline_kernelINS0_14default_configENS1_20scan_config_selectorIiEEZZNS1_9scan_implILNS1_25lookback_scan_determinismE0ELb0ELb0ES3_N6thrust23THRUST_200600_302600_NS6detail15normal_iteratorINS9_10device_ptrIiEEEESE_iNS9_4plusIvEEiEEDaPvRmT3_T4_T5_mT6_P12ihipStream_tbENKUlT_T0_E_clISt17integral_constantIbLb1EESU_EEDaSP_SQ_EUlSP_E_NS1_11comp_targetILNS1_3genE4ELNS1_11target_archE910ELNS1_3gpuE8ELNS1_3repE0EEENS1_30default_config_static_selectorELNS0_4arch9wavefront6targetE0EEEvT1_
	.globl	_ZN7rocprim17ROCPRIM_400000_NS6detail17trampoline_kernelINS0_14default_configENS1_20scan_config_selectorIiEEZZNS1_9scan_implILNS1_25lookback_scan_determinismE0ELb0ELb0ES3_N6thrust23THRUST_200600_302600_NS6detail15normal_iteratorINS9_10device_ptrIiEEEESE_iNS9_4plusIvEEiEEDaPvRmT3_T4_T5_mT6_P12ihipStream_tbENKUlT_T0_E_clISt17integral_constantIbLb1EESU_EEDaSP_SQ_EUlSP_E_NS1_11comp_targetILNS1_3genE4ELNS1_11target_archE910ELNS1_3gpuE8ELNS1_3repE0EEENS1_30default_config_static_selectorELNS0_4arch9wavefront6targetE0EEEvT1_
	.p2align	8
	.type	_ZN7rocprim17ROCPRIM_400000_NS6detail17trampoline_kernelINS0_14default_configENS1_20scan_config_selectorIiEEZZNS1_9scan_implILNS1_25lookback_scan_determinismE0ELb0ELb0ES3_N6thrust23THRUST_200600_302600_NS6detail15normal_iteratorINS9_10device_ptrIiEEEESE_iNS9_4plusIvEEiEEDaPvRmT3_T4_T5_mT6_P12ihipStream_tbENKUlT_T0_E_clISt17integral_constantIbLb1EESU_EEDaSP_SQ_EUlSP_E_NS1_11comp_targetILNS1_3genE4ELNS1_11target_archE910ELNS1_3gpuE8ELNS1_3repE0EEENS1_30default_config_static_selectorELNS0_4arch9wavefront6targetE0EEEvT1_,@function
_ZN7rocprim17ROCPRIM_400000_NS6detail17trampoline_kernelINS0_14default_configENS1_20scan_config_selectorIiEEZZNS1_9scan_implILNS1_25lookback_scan_determinismE0ELb0ELb0ES3_N6thrust23THRUST_200600_302600_NS6detail15normal_iteratorINS9_10device_ptrIiEEEESE_iNS9_4plusIvEEiEEDaPvRmT3_T4_T5_mT6_P12ihipStream_tbENKUlT_T0_E_clISt17integral_constantIbLb1EESU_EEDaSP_SQ_EUlSP_E_NS1_11comp_targetILNS1_3genE4ELNS1_11target_archE910ELNS1_3gpuE8ELNS1_3repE0EEENS1_30default_config_static_selectorELNS0_4arch9wavefront6targetE0EEEvT1_: ; @_ZN7rocprim17ROCPRIM_400000_NS6detail17trampoline_kernelINS0_14default_configENS1_20scan_config_selectorIiEEZZNS1_9scan_implILNS1_25lookback_scan_determinismE0ELb0ELb0ES3_N6thrust23THRUST_200600_302600_NS6detail15normal_iteratorINS9_10device_ptrIiEEEESE_iNS9_4plusIvEEiEEDaPvRmT3_T4_T5_mT6_P12ihipStream_tbENKUlT_T0_E_clISt17integral_constantIbLb1EESU_EEDaSP_SQ_EUlSP_E_NS1_11comp_targetILNS1_3genE4ELNS1_11target_archE910ELNS1_3gpuE8ELNS1_3repE0EEENS1_30default_config_static_selectorELNS0_4arch9wavefront6targetE0EEEvT1_
; %bb.0:
	.section	.rodata,"a",@progbits
	.p2align	6, 0x0
	.amdhsa_kernel _ZN7rocprim17ROCPRIM_400000_NS6detail17trampoline_kernelINS0_14default_configENS1_20scan_config_selectorIiEEZZNS1_9scan_implILNS1_25lookback_scan_determinismE0ELb0ELb0ES3_N6thrust23THRUST_200600_302600_NS6detail15normal_iteratorINS9_10device_ptrIiEEEESE_iNS9_4plusIvEEiEEDaPvRmT3_T4_T5_mT6_P12ihipStream_tbENKUlT_T0_E_clISt17integral_constantIbLb1EESU_EEDaSP_SQ_EUlSP_E_NS1_11comp_targetILNS1_3genE4ELNS1_11target_archE910ELNS1_3gpuE8ELNS1_3repE0EEENS1_30default_config_static_selectorELNS0_4arch9wavefront6targetE0EEEvT1_
		.amdhsa_group_segment_fixed_size 0
		.amdhsa_private_segment_fixed_size 0
		.amdhsa_kernarg_size 96
		.amdhsa_user_sgpr_count 2
		.amdhsa_user_sgpr_dispatch_ptr 0
		.amdhsa_user_sgpr_queue_ptr 0
		.amdhsa_user_sgpr_kernarg_segment_ptr 1
		.amdhsa_user_sgpr_dispatch_id 0
		.amdhsa_user_sgpr_kernarg_preload_length 0
		.amdhsa_user_sgpr_kernarg_preload_offset 0
		.amdhsa_user_sgpr_private_segment_size 0
		.amdhsa_wavefront_size32 1
		.amdhsa_uses_dynamic_stack 0
		.amdhsa_enable_private_segment 0
		.amdhsa_system_sgpr_workgroup_id_x 1
		.amdhsa_system_sgpr_workgroup_id_y 0
		.amdhsa_system_sgpr_workgroup_id_z 0
		.amdhsa_system_sgpr_workgroup_info 0
		.amdhsa_system_vgpr_workitem_id 0
		.amdhsa_next_free_vgpr 1
		.amdhsa_next_free_sgpr 1
		.amdhsa_named_barrier_count 0
		.amdhsa_reserve_vcc 0
		.amdhsa_float_round_mode_32 0
		.amdhsa_float_round_mode_16_64 0
		.amdhsa_float_denorm_mode_32 3
		.amdhsa_float_denorm_mode_16_64 3
		.amdhsa_fp16_overflow 0
		.amdhsa_memory_ordered 1
		.amdhsa_forward_progress 1
		.amdhsa_inst_pref_size 0
		.amdhsa_round_robin_scheduling 0
		.amdhsa_exception_fp_ieee_invalid_op 0
		.amdhsa_exception_fp_denorm_src 0
		.amdhsa_exception_fp_ieee_div_zero 0
		.amdhsa_exception_fp_ieee_overflow 0
		.amdhsa_exception_fp_ieee_underflow 0
		.amdhsa_exception_fp_ieee_inexact 0
		.amdhsa_exception_int_div_zero 0
	.end_amdhsa_kernel
	.section	.text._ZN7rocprim17ROCPRIM_400000_NS6detail17trampoline_kernelINS0_14default_configENS1_20scan_config_selectorIiEEZZNS1_9scan_implILNS1_25lookback_scan_determinismE0ELb0ELb0ES3_N6thrust23THRUST_200600_302600_NS6detail15normal_iteratorINS9_10device_ptrIiEEEESE_iNS9_4plusIvEEiEEDaPvRmT3_T4_T5_mT6_P12ihipStream_tbENKUlT_T0_E_clISt17integral_constantIbLb1EESU_EEDaSP_SQ_EUlSP_E_NS1_11comp_targetILNS1_3genE4ELNS1_11target_archE910ELNS1_3gpuE8ELNS1_3repE0EEENS1_30default_config_static_selectorELNS0_4arch9wavefront6targetE0EEEvT1_,"axG",@progbits,_ZN7rocprim17ROCPRIM_400000_NS6detail17trampoline_kernelINS0_14default_configENS1_20scan_config_selectorIiEEZZNS1_9scan_implILNS1_25lookback_scan_determinismE0ELb0ELb0ES3_N6thrust23THRUST_200600_302600_NS6detail15normal_iteratorINS9_10device_ptrIiEEEESE_iNS9_4plusIvEEiEEDaPvRmT3_T4_T5_mT6_P12ihipStream_tbENKUlT_T0_E_clISt17integral_constantIbLb1EESU_EEDaSP_SQ_EUlSP_E_NS1_11comp_targetILNS1_3genE4ELNS1_11target_archE910ELNS1_3gpuE8ELNS1_3repE0EEENS1_30default_config_static_selectorELNS0_4arch9wavefront6targetE0EEEvT1_,comdat
.Lfunc_end30:
	.size	_ZN7rocprim17ROCPRIM_400000_NS6detail17trampoline_kernelINS0_14default_configENS1_20scan_config_selectorIiEEZZNS1_9scan_implILNS1_25lookback_scan_determinismE0ELb0ELb0ES3_N6thrust23THRUST_200600_302600_NS6detail15normal_iteratorINS9_10device_ptrIiEEEESE_iNS9_4plusIvEEiEEDaPvRmT3_T4_T5_mT6_P12ihipStream_tbENKUlT_T0_E_clISt17integral_constantIbLb1EESU_EEDaSP_SQ_EUlSP_E_NS1_11comp_targetILNS1_3genE4ELNS1_11target_archE910ELNS1_3gpuE8ELNS1_3repE0EEENS1_30default_config_static_selectorELNS0_4arch9wavefront6targetE0EEEvT1_, .Lfunc_end30-_ZN7rocprim17ROCPRIM_400000_NS6detail17trampoline_kernelINS0_14default_configENS1_20scan_config_selectorIiEEZZNS1_9scan_implILNS1_25lookback_scan_determinismE0ELb0ELb0ES3_N6thrust23THRUST_200600_302600_NS6detail15normal_iteratorINS9_10device_ptrIiEEEESE_iNS9_4plusIvEEiEEDaPvRmT3_T4_T5_mT6_P12ihipStream_tbENKUlT_T0_E_clISt17integral_constantIbLb1EESU_EEDaSP_SQ_EUlSP_E_NS1_11comp_targetILNS1_3genE4ELNS1_11target_archE910ELNS1_3gpuE8ELNS1_3repE0EEENS1_30default_config_static_selectorELNS0_4arch9wavefront6targetE0EEEvT1_
                                        ; -- End function
	.set _ZN7rocprim17ROCPRIM_400000_NS6detail17trampoline_kernelINS0_14default_configENS1_20scan_config_selectorIiEEZZNS1_9scan_implILNS1_25lookback_scan_determinismE0ELb0ELb0ES3_N6thrust23THRUST_200600_302600_NS6detail15normal_iteratorINS9_10device_ptrIiEEEESE_iNS9_4plusIvEEiEEDaPvRmT3_T4_T5_mT6_P12ihipStream_tbENKUlT_T0_E_clISt17integral_constantIbLb1EESU_EEDaSP_SQ_EUlSP_E_NS1_11comp_targetILNS1_3genE4ELNS1_11target_archE910ELNS1_3gpuE8ELNS1_3repE0EEENS1_30default_config_static_selectorELNS0_4arch9wavefront6targetE0EEEvT1_.num_vgpr, 0
	.set _ZN7rocprim17ROCPRIM_400000_NS6detail17trampoline_kernelINS0_14default_configENS1_20scan_config_selectorIiEEZZNS1_9scan_implILNS1_25lookback_scan_determinismE0ELb0ELb0ES3_N6thrust23THRUST_200600_302600_NS6detail15normal_iteratorINS9_10device_ptrIiEEEESE_iNS9_4plusIvEEiEEDaPvRmT3_T4_T5_mT6_P12ihipStream_tbENKUlT_T0_E_clISt17integral_constantIbLb1EESU_EEDaSP_SQ_EUlSP_E_NS1_11comp_targetILNS1_3genE4ELNS1_11target_archE910ELNS1_3gpuE8ELNS1_3repE0EEENS1_30default_config_static_selectorELNS0_4arch9wavefront6targetE0EEEvT1_.num_agpr, 0
	.set _ZN7rocprim17ROCPRIM_400000_NS6detail17trampoline_kernelINS0_14default_configENS1_20scan_config_selectorIiEEZZNS1_9scan_implILNS1_25lookback_scan_determinismE0ELb0ELb0ES3_N6thrust23THRUST_200600_302600_NS6detail15normal_iteratorINS9_10device_ptrIiEEEESE_iNS9_4plusIvEEiEEDaPvRmT3_T4_T5_mT6_P12ihipStream_tbENKUlT_T0_E_clISt17integral_constantIbLb1EESU_EEDaSP_SQ_EUlSP_E_NS1_11comp_targetILNS1_3genE4ELNS1_11target_archE910ELNS1_3gpuE8ELNS1_3repE0EEENS1_30default_config_static_selectorELNS0_4arch9wavefront6targetE0EEEvT1_.numbered_sgpr, 0
	.set _ZN7rocprim17ROCPRIM_400000_NS6detail17trampoline_kernelINS0_14default_configENS1_20scan_config_selectorIiEEZZNS1_9scan_implILNS1_25lookback_scan_determinismE0ELb0ELb0ES3_N6thrust23THRUST_200600_302600_NS6detail15normal_iteratorINS9_10device_ptrIiEEEESE_iNS9_4plusIvEEiEEDaPvRmT3_T4_T5_mT6_P12ihipStream_tbENKUlT_T0_E_clISt17integral_constantIbLb1EESU_EEDaSP_SQ_EUlSP_E_NS1_11comp_targetILNS1_3genE4ELNS1_11target_archE910ELNS1_3gpuE8ELNS1_3repE0EEENS1_30default_config_static_selectorELNS0_4arch9wavefront6targetE0EEEvT1_.num_named_barrier, 0
	.set _ZN7rocprim17ROCPRIM_400000_NS6detail17trampoline_kernelINS0_14default_configENS1_20scan_config_selectorIiEEZZNS1_9scan_implILNS1_25lookback_scan_determinismE0ELb0ELb0ES3_N6thrust23THRUST_200600_302600_NS6detail15normal_iteratorINS9_10device_ptrIiEEEESE_iNS9_4plusIvEEiEEDaPvRmT3_T4_T5_mT6_P12ihipStream_tbENKUlT_T0_E_clISt17integral_constantIbLb1EESU_EEDaSP_SQ_EUlSP_E_NS1_11comp_targetILNS1_3genE4ELNS1_11target_archE910ELNS1_3gpuE8ELNS1_3repE0EEENS1_30default_config_static_selectorELNS0_4arch9wavefront6targetE0EEEvT1_.private_seg_size, 0
	.set _ZN7rocprim17ROCPRIM_400000_NS6detail17trampoline_kernelINS0_14default_configENS1_20scan_config_selectorIiEEZZNS1_9scan_implILNS1_25lookback_scan_determinismE0ELb0ELb0ES3_N6thrust23THRUST_200600_302600_NS6detail15normal_iteratorINS9_10device_ptrIiEEEESE_iNS9_4plusIvEEiEEDaPvRmT3_T4_T5_mT6_P12ihipStream_tbENKUlT_T0_E_clISt17integral_constantIbLb1EESU_EEDaSP_SQ_EUlSP_E_NS1_11comp_targetILNS1_3genE4ELNS1_11target_archE910ELNS1_3gpuE8ELNS1_3repE0EEENS1_30default_config_static_selectorELNS0_4arch9wavefront6targetE0EEEvT1_.uses_vcc, 0
	.set _ZN7rocprim17ROCPRIM_400000_NS6detail17trampoline_kernelINS0_14default_configENS1_20scan_config_selectorIiEEZZNS1_9scan_implILNS1_25lookback_scan_determinismE0ELb0ELb0ES3_N6thrust23THRUST_200600_302600_NS6detail15normal_iteratorINS9_10device_ptrIiEEEESE_iNS9_4plusIvEEiEEDaPvRmT3_T4_T5_mT6_P12ihipStream_tbENKUlT_T0_E_clISt17integral_constantIbLb1EESU_EEDaSP_SQ_EUlSP_E_NS1_11comp_targetILNS1_3genE4ELNS1_11target_archE910ELNS1_3gpuE8ELNS1_3repE0EEENS1_30default_config_static_selectorELNS0_4arch9wavefront6targetE0EEEvT1_.uses_flat_scratch, 0
	.set _ZN7rocprim17ROCPRIM_400000_NS6detail17trampoline_kernelINS0_14default_configENS1_20scan_config_selectorIiEEZZNS1_9scan_implILNS1_25lookback_scan_determinismE0ELb0ELb0ES3_N6thrust23THRUST_200600_302600_NS6detail15normal_iteratorINS9_10device_ptrIiEEEESE_iNS9_4plusIvEEiEEDaPvRmT3_T4_T5_mT6_P12ihipStream_tbENKUlT_T0_E_clISt17integral_constantIbLb1EESU_EEDaSP_SQ_EUlSP_E_NS1_11comp_targetILNS1_3genE4ELNS1_11target_archE910ELNS1_3gpuE8ELNS1_3repE0EEENS1_30default_config_static_selectorELNS0_4arch9wavefront6targetE0EEEvT1_.has_dyn_sized_stack, 0
	.set _ZN7rocprim17ROCPRIM_400000_NS6detail17trampoline_kernelINS0_14default_configENS1_20scan_config_selectorIiEEZZNS1_9scan_implILNS1_25lookback_scan_determinismE0ELb0ELb0ES3_N6thrust23THRUST_200600_302600_NS6detail15normal_iteratorINS9_10device_ptrIiEEEESE_iNS9_4plusIvEEiEEDaPvRmT3_T4_T5_mT6_P12ihipStream_tbENKUlT_T0_E_clISt17integral_constantIbLb1EESU_EEDaSP_SQ_EUlSP_E_NS1_11comp_targetILNS1_3genE4ELNS1_11target_archE910ELNS1_3gpuE8ELNS1_3repE0EEENS1_30default_config_static_selectorELNS0_4arch9wavefront6targetE0EEEvT1_.has_recursion, 0
	.set _ZN7rocprim17ROCPRIM_400000_NS6detail17trampoline_kernelINS0_14default_configENS1_20scan_config_selectorIiEEZZNS1_9scan_implILNS1_25lookback_scan_determinismE0ELb0ELb0ES3_N6thrust23THRUST_200600_302600_NS6detail15normal_iteratorINS9_10device_ptrIiEEEESE_iNS9_4plusIvEEiEEDaPvRmT3_T4_T5_mT6_P12ihipStream_tbENKUlT_T0_E_clISt17integral_constantIbLb1EESU_EEDaSP_SQ_EUlSP_E_NS1_11comp_targetILNS1_3genE4ELNS1_11target_archE910ELNS1_3gpuE8ELNS1_3repE0EEENS1_30default_config_static_selectorELNS0_4arch9wavefront6targetE0EEEvT1_.has_indirect_call, 0
	.section	.AMDGPU.csdata,"",@progbits
; Kernel info:
; codeLenInByte = 0
; TotalNumSgprs: 0
; NumVgprs: 0
; ScratchSize: 0
; MemoryBound: 0
; FloatMode: 240
; IeeeMode: 1
; LDSByteSize: 0 bytes/workgroup (compile time only)
; SGPRBlocks: 0
; VGPRBlocks: 0
; NumSGPRsForWavesPerEU: 1
; NumVGPRsForWavesPerEU: 1
; NamedBarCnt: 0
; Occupancy: 16
; WaveLimiterHint : 0
; COMPUTE_PGM_RSRC2:SCRATCH_EN: 0
; COMPUTE_PGM_RSRC2:USER_SGPR: 2
; COMPUTE_PGM_RSRC2:TRAP_HANDLER: 0
; COMPUTE_PGM_RSRC2:TGID_X_EN: 1
; COMPUTE_PGM_RSRC2:TGID_Y_EN: 0
; COMPUTE_PGM_RSRC2:TGID_Z_EN: 0
; COMPUTE_PGM_RSRC2:TIDIG_COMP_CNT: 0
	.section	.text._ZN7rocprim17ROCPRIM_400000_NS6detail17trampoline_kernelINS0_14default_configENS1_20scan_config_selectorIiEEZZNS1_9scan_implILNS1_25lookback_scan_determinismE0ELb0ELb0ES3_N6thrust23THRUST_200600_302600_NS6detail15normal_iteratorINS9_10device_ptrIiEEEESE_iNS9_4plusIvEEiEEDaPvRmT3_T4_T5_mT6_P12ihipStream_tbENKUlT_T0_E_clISt17integral_constantIbLb1EESU_EEDaSP_SQ_EUlSP_E_NS1_11comp_targetILNS1_3genE3ELNS1_11target_archE908ELNS1_3gpuE7ELNS1_3repE0EEENS1_30default_config_static_selectorELNS0_4arch9wavefront6targetE0EEEvT1_,"axG",@progbits,_ZN7rocprim17ROCPRIM_400000_NS6detail17trampoline_kernelINS0_14default_configENS1_20scan_config_selectorIiEEZZNS1_9scan_implILNS1_25lookback_scan_determinismE0ELb0ELb0ES3_N6thrust23THRUST_200600_302600_NS6detail15normal_iteratorINS9_10device_ptrIiEEEESE_iNS9_4plusIvEEiEEDaPvRmT3_T4_T5_mT6_P12ihipStream_tbENKUlT_T0_E_clISt17integral_constantIbLb1EESU_EEDaSP_SQ_EUlSP_E_NS1_11comp_targetILNS1_3genE3ELNS1_11target_archE908ELNS1_3gpuE7ELNS1_3repE0EEENS1_30default_config_static_selectorELNS0_4arch9wavefront6targetE0EEEvT1_,comdat
	.protected	_ZN7rocprim17ROCPRIM_400000_NS6detail17trampoline_kernelINS0_14default_configENS1_20scan_config_selectorIiEEZZNS1_9scan_implILNS1_25lookback_scan_determinismE0ELb0ELb0ES3_N6thrust23THRUST_200600_302600_NS6detail15normal_iteratorINS9_10device_ptrIiEEEESE_iNS9_4plusIvEEiEEDaPvRmT3_T4_T5_mT6_P12ihipStream_tbENKUlT_T0_E_clISt17integral_constantIbLb1EESU_EEDaSP_SQ_EUlSP_E_NS1_11comp_targetILNS1_3genE3ELNS1_11target_archE908ELNS1_3gpuE7ELNS1_3repE0EEENS1_30default_config_static_selectorELNS0_4arch9wavefront6targetE0EEEvT1_ ; -- Begin function _ZN7rocprim17ROCPRIM_400000_NS6detail17trampoline_kernelINS0_14default_configENS1_20scan_config_selectorIiEEZZNS1_9scan_implILNS1_25lookback_scan_determinismE0ELb0ELb0ES3_N6thrust23THRUST_200600_302600_NS6detail15normal_iteratorINS9_10device_ptrIiEEEESE_iNS9_4plusIvEEiEEDaPvRmT3_T4_T5_mT6_P12ihipStream_tbENKUlT_T0_E_clISt17integral_constantIbLb1EESU_EEDaSP_SQ_EUlSP_E_NS1_11comp_targetILNS1_3genE3ELNS1_11target_archE908ELNS1_3gpuE7ELNS1_3repE0EEENS1_30default_config_static_selectorELNS0_4arch9wavefront6targetE0EEEvT1_
	.globl	_ZN7rocprim17ROCPRIM_400000_NS6detail17trampoline_kernelINS0_14default_configENS1_20scan_config_selectorIiEEZZNS1_9scan_implILNS1_25lookback_scan_determinismE0ELb0ELb0ES3_N6thrust23THRUST_200600_302600_NS6detail15normal_iteratorINS9_10device_ptrIiEEEESE_iNS9_4plusIvEEiEEDaPvRmT3_T4_T5_mT6_P12ihipStream_tbENKUlT_T0_E_clISt17integral_constantIbLb1EESU_EEDaSP_SQ_EUlSP_E_NS1_11comp_targetILNS1_3genE3ELNS1_11target_archE908ELNS1_3gpuE7ELNS1_3repE0EEENS1_30default_config_static_selectorELNS0_4arch9wavefront6targetE0EEEvT1_
	.p2align	8
	.type	_ZN7rocprim17ROCPRIM_400000_NS6detail17trampoline_kernelINS0_14default_configENS1_20scan_config_selectorIiEEZZNS1_9scan_implILNS1_25lookback_scan_determinismE0ELb0ELb0ES3_N6thrust23THRUST_200600_302600_NS6detail15normal_iteratorINS9_10device_ptrIiEEEESE_iNS9_4plusIvEEiEEDaPvRmT3_T4_T5_mT6_P12ihipStream_tbENKUlT_T0_E_clISt17integral_constantIbLb1EESU_EEDaSP_SQ_EUlSP_E_NS1_11comp_targetILNS1_3genE3ELNS1_11target_archE908ELNS1_3gpuE7ELNS1_3repE0EEENS1_30default_config_static_selectorELNS0_4arch9wavefront6targetE0EEEvT1_,@function
_ZN7rocprim17ROCPRIM_400000_NS6detail17trampoline_kernelINS0_14default_configENS1_20scan_config_selectorIiEEZZNS1_9scan_implILNS1_25lookback_scan_determinismE0ELb0ELb0ES3_N6thrust23THRUST_200600_302600_NS6detail15normal_iteratorINS9_10device_ptrIiEEEESE_iNS9_4plusIvEEiEEDaPvRmT3_T4_T5_mT6_P12ihipStream_tbENKUlT_T0_E_clISt17integral_constantIbLb1EESU_EEDaSP_SQ_EUlSP_E_NS1_11comp_targetILNS1_3genE3ELNS1_11target_archE908ELNS1_3gpuE7ELNS1_3repE0EEENS1_30default_config_static_selectorELNS0_4arch9wavefront6targetE0EEEvT1_: ; @_ZN7rocprim17ROCPRIM_400000_NS6detail17trampoline_kernelINS0_14default_configENS1_20scan_config_selectorIiEEZZNS1_9scan_implILNS1_25lookback_scan_determinismE0ELb0ELb0ES3_N6thrust23THRUST_200600_302600_NS6detail15normal_iteratorINS9_10device_ptrIiEEEESE_iNS9_4plusIvEEiEEDaPvRmT3_T4_T5_mT6_P12ihipStream_tbENKUlT_T0_E_clISt17integral_constantIbLb1EESU_EEDaSP_SQ_EUlSP_E_NS1_11comp_targetILNS1_3genE3ELNS1_11target_archE908ELNS1_3gpuE7ELNS1_3repE0EEENS1_30default_config_static_selectorELNS0_4arch9wavefront6targetE0EEEvT1_
; %bb.0:
	.section	.rodata,"a",@progbits
	.p2align	6, 0x0
	.amdhsa_kernel _ZN7rocprim17ROCPRIM_400000_NS6detail17trampoline_kernelINS0_14default_configENS1_20scan_config_selectorIiEEZZNS1_9scan_implILNS1_25lookback_scan_determinismE0ELb0ELb0ES3_N6thrust23THRUST_200600_302600_NS6detail15normal_iteratorINS9_10device_ptrIiEEEESE_iNS9_4plusIvEEiEEDaPvRmT3_T4_T5_mT6_P12ihipStream_tbENKUlT_T0_E_clISt17integral_constantIbLb1EESU_EEDaSP_SQ_EUlSP_E_NS1_11comp_targetILNS1_3genE3ELNS1_11target_archE908ELNS1_3gpuE7ELNS1_3repE0EEENS1_30default_config_static_selectorELNS0_4arch9wavefront6targetE0EEEvT1_
		.amdhsa_group_segment_fixed_size 0
		.amdhsa_private_segment_fixed_size 0
		.amdhsa_kernarg_size 96
		.amdhsa_user_sgpr_count 2
		.amdhsa_user_sgpr_dispatch_ptr 0
		.amdhsa_user_sgpr_queue_ptr 0
		.amdhsa_user_sgpr_kernarg_segment_ptr 1
		.amdhsa_user_sgpr_dispatch_id 0
		.amdhsa_user_sgpr_kernarg_preload_length 0
		.amdhsa_user_sgpr_kernarg_preload_offset 0
		.amdhsa_user_sgpr_private_segment_size 0
		.amdhsa_wavefront_size32 1
		.amdhsa_uses_dynamic_stack 0
		.amdhsa_enable_private_segment 0
		.amdhsa_system_sgpr_workgroup_id_x 1
		.amdhsa_system_sgpr_workgroup_id_y 0
		.amdhsa_system_sgpr_workgroup_id_z 0
		.amdhsa_system_sgpr_workgroup_info 0
		.amdhsa_system_vgpr_workitem_id 0
		.amdhsa_next_free_vgpr 1
		.amdhsa_next_free_sgpr 1
		.amdhsa_named_barrier_count 0
		.amdhsa_reserve_vcc 0
		.amdhsa_float_round_mode_32 0
		.amdhsa_float_round_mode_16_64 0
		.amdhsa_float_denorm_mode_32 3
		.amdhsa_float_denorm_mode_16_64 3
		.amdhsa_fp16_overflow 0
		.amdhsa_memory_ordered 1
		.amdhsa_forward_progress 1
		.amdhsa_inst_pref_size 0
		.amdhsa_round_robin_scheduling 0
		.amdhsa_exception_fp_ieee_invalid_op 0
		.amdhsa_exception_fp_denorm_src 0
		.amdhsa_exception_fp_ieee_div_zero 0
		.amdhsa_exception_fp_ieee_overflow 0
		.amdhsa_exception_fp_ieee_underflow 0
		.amdhsa_exception_fp_ieee_inexact 0
		.amdhsa_exception_int_div_zero 0
	.end_amdhsa_kernel
	.section	.text._ZN7rocprim17ROCPRIM_400000_NS6detail17trampoline_kernelINS0_14default_configENS1_20scan_config_selectorIiEEZZNS1_9scan_implILNS1_25lookback_scan_determinismE0ELb0ELb0ES3_N6thrust23THRUST_200600_302600_NS6detail15normal_iteratorINS9_10device_ptrIiEEEESE_iNS9_4plusIvEEiEEDaPvRmT3_T4_T5_mT6_P12ihipStream_tbENKUlT_T0_E_clISt17integral_constantIbLb1EESU_EEDaSP_SQ_EUlSP_E_NS1_11comp_targetILNS1_3genE3ELNS1_11target_archE908ELNS1_3gpuE7ELNS1_3repE0EEENS1_30default_config_static_selectorELNS0_4arch9wavefront6targetE0EEEvT1_,"axG",@progbits,_ZN7rocprim17ROCPRIM_400000_NS6detail17trampoline_kernelINS0_14default_configENS1_20scan_config_selectorIiEEZZNS1_9scan_implILNS1_25lookback_scan_determinismE0ELb0ELb0ES3_N6thrust23THRUST_200600_302600_NS6detail15normal_iteratorINS9_10device_ptrIiEEEESE_iNS9_4plusIvEEiEEDaPvRmT3_T4_T5_mT6_P12ihipStream_tbENKUlT_T0_E_clISt17integral_constantIbLb1EESU_EEDaSP_SQ_EUlSP_E_NS1_11comp_targetILNS1_3genE3ELNS1_11target_archE908ELNS1_3gpuE7ELNS1_3repE0EEENS1_30default_config_static_selectorELNS0_4arch9wavefront6targetE0EEEvT1_,comdat
.Lfunc_end31:
	.size	_ZN7rocprim17ROCPRIM_400000_NS6detail17trampoline_kernelINS0_14default_configENS1_20scan_config_selectorIiEEZZNS1_9scan_implILNS1_25lookback_scan_determinismE0ELb0ELb0ES3_N6thrust23THRUST_200600_302600_NS6detail15normal_iteratorINS9_10device_ptrIiEEEESE_iNS9_4plusIvEEiEEDaPvRmT3_T4_T5_mT6_P12ihipStream_tbENKUlT_T0_E_clISt17integral_constantIbLb1EESU_EEDaSP_SQ_EUlSP_E_NS1_11comp_targetILNS1_3genE3ELNS1_11target_archE908ELNS1_3gpuE7ELNS1_3repE0EEENS1_30default_config_static_selectorELNS0_4arch9wavefront6targetE0EEEvT1_, .Lfunc_end31-_ZN7rocprim17ROCPRIM_400000_NS6detail17trampoline_kernelINS0_14default_configENS1_20scan_config_selectorIiEEZZNS1_9scan_implILNS1_25lookback_scan_determinismE0ELb0ELb0ES3_N6thrust23THRUST_200600_302600_NS6detail15normal_iteratorINS9_10device_ptrIiEEEESE_iNS9_4plusIvEEiEEDaPvRmT3_T4_T5_mT6_P12ihipStream_tbENKUlT_T0_E_clISt17integral_constantIbLb1EESU_EEDaSP_SQ_EUlSP_E_NS1_11comp_targetILNS1_3genE3ELNS1_11target_archE908ELNS1_3gpuE7ELNS1_3repE0EEENS1_30default_config_static_selectorELNS0_4arch9wavefront6targetE0EEEvT1_
                                        ; -- End function
	.set _ZN7rocprim17ROCPRIM_400000_NS6detail17trampoline_kernelINS0_14default_configENS1_20scan_config_selectorIiEEZZNS1_9scan_implILNS1_25lookback_scan_determinismE0ELb0ELb0ES3_N6thrust23THRUST_200600_302600_NS6detail15normal_iteratorINS9_10device_ptrIiEEEESE_iNS9_4plusIvEEiEEDaPvRmT3_T4_T5_mT6_P12ihipStream_tbENKUlT_T0_E_clISt17integral_constantIbLb1EESU_EEDaSP_SQ_EUlSP_E_NS1_11comp_targetILNS1_3genE3ELNS1_11target_archE908ELNS1_3gpuE7ELNS1_3repE0EEENS1_30default_config_static_selectorELNS0_4arch9wavefront6targetE0EEEvT1_.num_vgpr, 0
	.set _ZN7rocprim17ROCPRIM_400000_NS6detail17trampoline_kernelINS0_14default_configENS1_20scan_config_selectorIiEEZZNS1_9scan_implILNS1_25lookback_scan_determinismE0ELb0ELb0ES3_N6thrust23THRUST_200600_302600_NS6detail15normal_iteratorINS9_10device_ptrIiEEEESE_iNS9_4plusIvEEiEEDaPvRmT3_T4_T5_mT6_P12ihipStream_tbENKUlT_T0_E_clISt17integral_constantIbLb1EESU_EEDaSP_SQ_EUlSP_E_NS1_11comp_targetILNS1_3genE3ELNS1_11target_archE908ELNS1_3gpuE7ELNS1_3repE0EEENS1_30default_config_static_selectorELNS0_4arch9wavefront6targetE0EEEvT1_.num_agpr, 0
	.set _ZN7rocprim17ROCPRIM_400000_NS6detail17trampoline_kernelINS0_14default_configENS1_20scan_config_selectorIiEEZZNS1_9scan_implILNS1_25lookback_scan_determinismE0ELb0ELb0ES3_N6thrust23THRUST_200600_302600_NS6detail15normal_iteratorINS9_10device_ptrIiEEEESE_iNS9_4plusIvEEiEEDaPvRmT3_T4_T5_mT6_P12ihipStream_tbENKUlT_T0_E_clISt17integral_constantIbLb1EESU_EEDaSP_SQ_EUlSP_E_NS1_11comp_targetILNS1_3genE3ELNS1_11target_archE908ELNS1_3gpuE7ELNS1_3repE0EEENS1_30default_config_static_selectorELNS0_4arch9wavefront6targetE0EEEvT1_.numbered_sgpr, 0
	.set _ZN7rocprim17ROCPRIM_400000_NS6detail17trampoline_kernelINS0_14default_configENS1_20scan_config_selectorIiEEZZNS1_9scan_implILNS1_25lookback_scan_determinismE0ELb0ELb0ES3_N6thrust23THRUST_200600_302600_NS6detail15normal_iteratorINS9_10device_ptrIiEEEESE_iNS9_4plusIvEEiEEDaPvRmT3_T4_T5_mT6_P12ihipStream_tbENKUlT_T0_E_clISt17integral_constantIbLb1EESU_EEDaSP_SQ_EUlSP_E_NS1_11comp_targetILNS1_3genE3ELNS1_11target_archE908ELNS1_3gpuE7ELNS1_3repE0EEENS1_30default_config_static_selectorELNS0_4arch9wavefront6targetE0EEEvT1_.num_named_barrier, 0
	.set _ZN7rocprim17ROCPRIM_400000_NS6detail17trampoline_kernelINS0_14default_configENS1_20scan_config_selectorIiEEZZNS1_9scan_implILNS1_25lookback_scan_determinismE0ELb0ELb0ES3_N6thrust23THRUST_200600_302600_NS6detail15normal_iteratorINS9_10device_ptrIiEEEESE_iNS9_4plusIvEEiEEDaPvRmT3_T4_T5_mT6_P12ihipStream_tbENKUlT_T0_E_clISt17integral_constantIbLb1EESU_EEDaSP_SQ_EUlSP_E_NS1_11comp_targetILNS1_3genE3ELNS1_11target_archE908ELNS1_3gpuE7ELNS1_3repE0EEENS1_30default_config_static_selectorELNS0_4arch9wavefront6targetE0EEEvT1_.private_seg_size, 0
	.set _ZN7rocprim17ROCPRIM_400000_NS6detail17trampoline_kernelINS0_14default_configENS1_20scan_config_selectorIiEEZZNS1_9scan_implILNS1_25lookback_scan_determinismE0ELb0ELb0ES3_N6thrust23THRUST_200600_302600_NS6detail15normal_iteratorINS9_10device_ptrIiEEEESE_iNS9_4plusIvEEiEEDaPvRmT3_T4_T5_mT6_P12ihipStream_tbENKUlT_T0_E_clISt17integral_constantIbLb1EESU_EEDaSP_SQ_EUlSP_E_NS1_11comp_targetILNS1_3genE3ELNS1_11target_archE908ELNS1_3gpuE7ELNS1_3repE0EEENS1_30default_config_static_selectorELNS0_4arch9wavefront6targetE0EEEvT1_.uses_vcc, 0
	.set _ZN7rocprim17ROCPRIM_400000_NS6detail17trampoline_kernelINS0_14default_configENS1_20scan_config_selectorIiEEZZNS1_9scan_implILNS1_25lookback_scan_determinismE0ELb0ELb0ES3_N6thrust23THRUST_200600_302600_NS6detail15normal_iteratorINS9_10device_ptrIiEEEESE_iNS9_4plusIvEEiEEDaPvRmT3_T4_T5_mT6_P12ihipStream_tbENKUlT_T0_E_clISt17integral_constantIbLb1EESU_EEDaSP_SQ_EUlSP_E_NS1_11comp_targetILNS1_3genE3ELNS1_11target_archE908ELNS1_3gpuE7ELNS1_3repE0EEENS1_30default_config_static_selectorELNS0_4arch9wavefront6targetE0EEEvT1_.uses_flat_scratch, 0
	.set _ZN7rocprim17ROCPRIM_400000_NS6detail17trampoline_kernelINS0_14default_configENS1_20scan_config_selectorIiEEZZNS1_9scan_implILNS1_25lookback_scan_determinismE0ELb0ELb0ES3_N6thrust23THRUST_200600_302600_NS6detail15normal_iteratorINS9_10device_ptrIiEEEESE_iNS9_4plusIvEEiEEDaPvRmT3_T4_T5_mT6_P12ihipStream_tbENKUlT_T0_E_clISt17integral_constantIbLb1EESU_EEDaSP_SQ_EUlSP_E_NS1_11comp_targetILNS1_3genE3ELNS1_11target_archE908ELNS1_3gpuE7ELNS1_3repE0EEENS1_30default_config_static_selectorELNS0_4arch9wavefront6targetE0EEEvT1_.has_dyn_sized_stack, 0
	.set _ZN7rocprim17ROCPRIM_400000_NS6detail17trampoline_kernelINS0_14default_configENS1_20scan_config_selectorIiEEZZNS1_9scan_implILNS1_25lookback_scan_determinismE0ELb0ELb0ES3_N6thrust23THRUST_200600_302600_NS6detail15normal_iteratorINS9_10device_ptrIiEEEESE_iNS9_4plusIvEEiEEDaPvRmT3_T4_T5_mT6_P12ihipStream_tbENKUlT_T0_E_clISt17integral_constantIbLb1EESU_EEDaSP_SQ_EUlSP_E_NS1_11comp_targetILNS1_3genE3ELNS1_11target_archE908ELNS1_3gpuE7ELNS1_3repE0EEENS1_30default_config_static_selectorELNS0_4arch9wavefront6targetE0EEEvT1_.has_recursion, 0
	.set _ZN7rocprim17ROCPRIM_400000_NS6detail17trampoline_kernelINS0_14default_configENS1_20scan_config_selectorIiEEZZNS1_9scan_implILNS1_25lookback_scan_determinismE0ELb0ELb0ES3_N6thrust23THRUST_200600_302600_NS6detail15normal_iteratorINS9_10device_ptrIiEEEESE_iNS9_4plusIvEEiEEDaPvRmT3_T4_T5_mT6_P12ihipStream_tbENKUlT_T0_E_clISt17integral_constantIbLb1EESU_EEDaSP_SQ_EUlSP_E_NS1_11comp_targetILNS1_3genE3ELNS1_11target_archE908ELNS1_3gpuE7ELNS1_3repE0EEENS1_30default_config_static_selectorELNS0_4arch9wavefront6targetE0EEEvT1_.has_indirect_call, 0
	.section	.AMDGPU.csdata,"",@progbits
; Kernel info:
; codeLenInByte = 0
; TotalNumSgprs: 0
; NumVgprs: 0
; ScratchSize: 0
; MemoryBound: 0
; FloatMode: 240
; IeeeMode: 1
; LDSByteSize: 0 bytes/workgroup (compile time only)
; SGPRBlocks: 0
; VGPRBlocks: 0
; NumSGPRsForWavesPerEU: 1
; NumVGPRsForWavesPerEU: 1
; NamedBarCnt: 0
; Occupancy: 16
; WaveLimiterHint : 0
; COMPUTE_PGM_RSRC2:SCRATCH_EN: 0
; COMPUTE_PGM_RSRC2:USER_SGPR: 2
; COMPUTE_PGM_RSRC2:TRAP_HANDLER: 0
; COMPUTE_PGM_RSRC2:TGID_X_EN: 1
; COMPUTE_PGM_RSRC2:TGID_Y_EN: 0
; COMPUTE_PGM_RSRC2:TGID_Z_EN: 0
; COMPUTE_PGM_RSRC2:TIDIG_COMP_CNT: 0
	.section	.text._ZN7rocprim17ROCPRIM_400000_NS6detail17trampoline_kernelINS0_14default_configENS1_20scan_config_selectorIiEEZZNS1_9scan_implILNS1_25lookback_scan_determinismE0ELb0ELb0ES3_N6thrust23THRUST_200600_302600_NS6detail15normal_iteratorINS9_10device_ptrIiEEEESE_iNS9_4plusIvEEiEEDaPvRmT3_T4_T5_mT6_P12ihipStream_tbENKUlT_T0_E_clISt17integral_constantIbLb1EESU_EEDaSP_SQ_EUlSP_E_NS1_11comp_targetILNS1_3genE2ELNS1_11target_archE906ELNS1_3gpuE6ELNS1_3repE0EEENS1_30default_config_static_selectorELNS0_4arch9wavefront6targetE0EEEvT1_,"axG",@progbits,_ZN7rocprim17ROCPRIM_400000_NS6detail17trampoline_kernelINS0_14default_configENS1_20scan_config_selectorIiEEZZNS1_9scan_implILNS1_25lookback_scan_determinismE0ELb0ELb0ES3_N6thrust23THRUST_200600_302600_NS6detail15normal_iteratorINS9_10device_ptrIiEEEESE_iNS9_4plusIvEEiEEDaPvRmT3_T4_T5_mT6_P12ihipStream_tbENKUlT_T0_E_clISt17integral_constantIbLb1EESU_EEDaSP_SQ_EUlSP_E_NS1_11comp_targetILNS1_3genE2ELNS1_11target_archE906ELNS1_3gpuE6ELNS1_3repE0EEENS1_30default_config_static_selectorELNS0_4arch9wavefront6targetE0EEEvT1_,comdat
	.protected	_ZN7rocprim17ROCPRIM_400000_NS6detail17trampoline_kernelINS0_14default_configENS1_20scan_config_selectorIiEEZZNS1_9scan_implILNS1_25lookback_scan_determinismE0ELb0ELb0ES3_N6thrust23THRUST_200600_302600_NS6detail15normal_iteratorINS9_10device_ptrIiEEEESE_iNS9_4plusIvEEiEEDaPvRmT3_T4_T5_mT6_P12ihipStream_tbENKUlT_T0_E_clISt17integral_constantIbLb1EESU_EEDaSP_SQ_EUlSP_E_NS1_11comp_targetILNS1_3genE2ELNS1_11target_archE906ELNS1_3gpuE6ELNS1_3repE0EEENS1_30default_config_static_selectorELNS0_4arch9wavefront6targetE0EEEvT1_ ; -- Begin function _ZN7rocprim17ROCPRIM_400000_NS6detail17trampoline_kernelINS0_14default_configENS1_20scan_config_selectorIiEEZZNS1_9scan_implILNS1_25lookback_scan_determinismE0ELb0ELb0ES3_N6thrust23THRUST_200600_302600_NS6detail15normal_iteratorINS9_10device_ptrIiEEEESE_iNS9_4plusIvEEiEEDaPvRmT3_T4_T5_mT6_P12ihipStream_tbENKUlT_T0_E_clISt17integral_constantIbLb1EESU_EEDaSP_SQ_EUlSP_E_NS1_11comp_targetILNS1_3genE2ELNS1_11target_archE906ELNS1_3gpuE6ELNS1_3repE0EEENS1_30default_config_static_selectorELNS0_4arch9wavefront6targetE0EEEvT1_
	.globl	_ZN7rocprim17ROCPRIM_400000_NS6detail17trampoline_kernelINS0_14default_configENS1_20scan_config_selectorIiEEZZNS1_9scan_implILNS1_25lookback_scan_determinismE0ELb0ELb0ES3_N6thrust23THRUST_200600_302600_NS6detail15normal_iteratorINS9_10device_ptrIiEEEESE_iNS9_4plusIvEEiEEDaPvRmT3_T4_T5_mT6_P12ihipStream_tbENKUlT_T0_E_clISt17integral_constantIbLb1EESU_EEDaSP_SQ_EUlSP_E_NS1_11comp_targetILNS1_3genE2ELNS1_11target_archE906ELNS1_3gpuE6ELNS1_3repE0EEENS1_30default_config_static_selectorELNS0_4arch9wavefront6targetE0EEEvT1_
	.p2align	8
	.type	_ZN7rocprim17ROCPRIM_400000_NS6detail17trampoline_kernelINS0_14default_configENS1_20scan_config_selectorIiEEZZNS1_9scan_implILNS1_25lookback_scan_determinismE0ELb0ELb0ES3_N6thrust23THRUST_200600_302600_NS6detail15normal_iteratorINS9_10device_ptrIiEEEESE_iNS9_4plusIvEEiEEDaPvRmT3_T4_T5_mT6_P12ihipStream_tbENKUlT_T0_E_clISt17integral_constantIbLb1EESU_EEDaSP_SQ_EUlSP_E_NS1_11comp_targetILNS1_3genE2ELNS1_11target_archE906ELNS1_3gpuE6ELNS1_3repE0EEENS1_30default_config_static_selectorELNS0_4arch9wavefront6targetE0EEEvT1_,@function
_ZN7rocprim17ROCPRIM_400000_NS6detail17trampoline_kernelINS0_14default_configENS1_20scan_config_selectorIiEEZZNS1_9scan_implILNS1_25lookback_scan_determinismE0ELb0ELb0ES3_N6thrust23THRUST_200600_302600_NS6detail15normal_iteratorINS9_10device_ptrIiEEEESE_iNS9_4plusIvEEiEEDaPvRmT3_T4_T5_mT6_P12ihipStream_tbENKUlT_T0_E_clISt17integral_constantIbLb1EESU_EEDaSP_SQ_EUlSP_E_NS1_11comp_targetILNS1_3genE2ELNS1_11target_archE906ELNS1_3gpuE6ELNS1_3repE0EEENS1_30default_config_static_selectorELNS0_4arch9wavefront6targetE0EEEvT1_: ; @_ZN7rocprim17ROCPRIM_400000_NS6detail17trampoline_kernelINS0_14default_configENS1_20scan_config_selectorIiEEZZNS1_9scan_implILNS1_25lookback_scan_determinismE0ELb0ELb0ES3_N6thrust23THRUST_200600_302600_NS6detail15normal_iteratorINS9_10device_ptrIiEEEESE_iNS9_4plusIvEEiEEDaPvRmT3_T4_T5_mT6_P12ihipStream_tbENKUlT_T0_E_clISt17integral_constantIbLb1EESU_EEDaSP_SQ_EUlSP_E_NS1_11comp_targetILNS1_3genE2ELNS1_11target_archE906ELNS1_3gpuE6ELNS1_3repE0EEENS1_30default_config_static_selectorELNS0_4arch9wavefront6targetE0EEEvT1_
; %bb.0:
	.section	.rodata,"a",@progbits
	.p2align	6, 0x0
	.amdhsa_kernel _ZN7rocprim17ROCPRIM_400000_NS6detail17trampoline_kernelINS0_14default_configENS1_20scan_config_selectorIiEEZZNS1_9scan_implILNS1_25lookback_scan_determinismE0ELb0ELb0ES3_N6thrust23THRUST_200600_302600_NS6detail15normal_iteratorINS9_10device_ptrIiEEEESE_iNS9_4plusIvEEiEEDaPvRmT3_T4_T5_mT6_P12ihipStream_tbENKUlT_T0_E_clISt17integral_constantIbLb1EESU_EEDaSP_SQ_EUlSP_E_NS1_11comp_targetILNS1_3genE2ELNS1_11target_archE906ELNS1_3gpuE6ELNS1_3repE0EEENS1_30default_config_static_selectorELNS0_4arch9wavefront6targetE0EEEvT1_
		.amdhsa_group_segment_fixed_size 0
		.amdhsa_private_segment_fixed_size 0
		.amdhsa_kernarg_size 96
		.amdhsa_user_sgpr_count 2
		.amdhsa_user_sgpr_dispatch_ptr 0
		.amdhsa_user_sgpr_queue_ptr 0
		.amdhsa_user_sgpr_kernarg_segment_ptr 1
		.amdhsa_user_sgpr_dispatch_id 0
		.amdhsa_user_sgpr_kernarg_preload_length 0
		.amdhsa_user_sgpr_kernarg_preload_offset 0
		.amdhsa_user_sgpr_private_segment_size 0
		.amdhsa_wavefront_size32 1
		.amdhsa_uses_dynamic_stack 0
		.amdhsa_enable_private_segment 0
		.amdhsa_system_sgpr_workgroup_id_x 1
		.amdhsa_system_sgpr_workgroup_id_y 0
		.amdhsa_system_sgpr_workgroup_id_z 0
		.amdhsa_system_sgpr_workgroup_info 0
		.amdhsa_system_vgpr_workitem_id 0
		.amdhsa_next_free_vgpr 1
		.amdhsa_next_free_sgpr 1
		.amdhsa_named_barrier_count 0
		.amdhsa_reserve_vcc 0
		.amdhsa_float_round_mode_32 0
		.amdhsa_float_round_mode_16_64 0
		.amdhsa_float_denorm_mode_32 3
		.amdhsa_float_denorm_mode_16_64 3
		.amdhsa_fp16_overflow 0
		.amdhsa_memory_ordered 1
		.amdhsa_forward_progress 1
		.amdhsa_inst_pref_size 0
		.amdhsa_round_robin_scheduling 0
		.amdhsa_exception_fp_ieee_invalid_op 0
		.amdhsa_exception_fp_denorm_src 0
		.amdhsa_exception_fp_ieee_div_zero 0
		.amdhsa_exception_fp_ieee_overflow 0
		.amdhsa_exception_fp_ieee_underflow 0
		.amdhsa_exception_fp_ieee_inexact 0
		.amdhsa_exception_int_div_zero 0
	.end_amdhsa_kernel
	.section	.text._ZN7rocprim17ROCPRIM_400000_NS6detail17trampoline_kernelINS0_14default_configENS1_20scan_config_selectorIiEEZZNS1_9scan_implILNS1_25lookback_scan_determinismE0ELb0ELb0ES3_N6thrust23THRUST_200600_302600_NS6detail15normal_iteratorINS9_10device_ptrIiEEEESE_iNS9_4plusIvEEiEEDaPvRmT3_T4_T5_mT6_P12ihipStream_tbENKUlT_T0_E_clISt17integral_constantIbLb1EESU_EEDaSP_SQ_EUlSP_E_NS1_11comp_targetILNS1_3genE2ELNS1_11target_archE906ELNS1_3gpuE6ELNS1_3repE0EEENS1_30default_config_static_selectorELNS0_4arch9wavefront6targetE0EEEvT1_,"axG",@progbits,_ZN7rocprim17ROCPRIM_400000_NS6detail17trampoline_kernelINS0_14default_configENS1_20scan_config_selectorIiEEZZNS1_9scan_implILNS1_25lookback_scan_determinismE0ELb0ELb0ES3_N6thrust23THRUST_200600_302600_NS6detail15normal_iteratorINS9_10device_ptrIiEEEESE_iNS9_4plusIvEEiEEDaPvRmT3_T4_T5_mT6_P12ihipStream_tbENKUlT_T0_E_clISt17integral_constantIbLb1EESU_EEDaSP_SQ_EUlSP_E_NS1_11comp_targetILNS1_3genE2ELNS1_11target_archE906ELNS1_3gpuE6ELNS1_3repE0EEENS1_30default_config_static_selectorELNS0_4arch9wavefront6targetE0EEEvT1_,comdat
.Lfunc_end32:
	.size	_ZN7rocprim17ROCPRIM_400000_NS6detail17trampoline_kernelINS0_14default_configENS1_20scan_config_selectorIiEEZZNS1_9scan_implILNS1_25lookback_scan_determinismE0ELb0ELb0ES3_N6thrust23THRUST_200600_302600_NS6detail15normal_iteratorINS9_10device_ptrIiEEEESE_iNS9_4plusIvEEiEEDaPvRmT3_T4_T5_mT6_P12ihipStream_tbENKUlT_T0_E_clISt17integral_constantIbLb1EESU_EEDaSP_SQ_EUlSP_E_NS1_11comp_targetILNS1_3genE2ELNS1_11target_archE906ELNS1_3gpuE6ELNS1_3repE0EEENS1_30default_config_static_selectorELNS0_4arch9wavefront6targetE0EEEvT1_, .Lfunc_end32-_ZN7rocprim17ROCPRIM_400000_NS6detail17trampoline_kernelINS0_14default_configENS1_20scan_config_selectorIiEEZZNS1_9scan_implILNS1_25lookback_scan_determinismE0ELb0ELb0ES3_N6thrust23THRUST_200600_302600_NS6detail15normal_iteratorINS9_10device_ptrIiEEEESE_iNS9_4plusIvEEiEEDaPvRmT3_T4_T5_mT6_P12ihipStream_tbENKUlT_T0_E_clISt17integral_constantIbLb1EESU_EEDaSP_SQ_EUlSP_E_NS1_11comp_targetILNS1_3genE2ELNS1_11target_archE906ELNS1_3gpuE6ELNS1_3repE0EEENS1_30default_config_static_selectorELNS0_4arch9wavefront6targetE0EEEvT1_
                                        ; -- End function
	.set _ZN7rocprim17ROCPRIM_400000_NS6detail17trampoline_kernelINS0_14default_configENS1_20scan_config_selectorIiEEZZNS1_9scan_implILNS1_25lookback_scan_determinismE0ELb0ELb0ES3_N6thrust23THRUST_200600_302600_NS6detail15normal_iteratorINS9_10device_ptrIiEEEESE_iNS9_4plusIvEEiEEDaPvRmT3_T4_T5_mT6_P12ihipStream_tbENKUlT_T0_E_clISt17integral_constantIbLb1EESU_EEDaSP_SQ_EUlSP_E_NS1_11comp_targetILNS1_3genE2ELNS1_11target_archE906ELNS1_3gpuE6ELNS1_3repE0EEENS1_30default_config_static_selectorELNS0_4arch9wavefront6targetE0EEEvT1_.num_vgpr, 0
	.set _ZN7rocprim17ROCPRIM_400000_NS6detail17trampoline_kernelINS0_14default_configENS1_20scan_config_selectorIiEEZZNS1_9scan_implILNS1_25lookback_scan_determinismE0ELb0ELb0ES3_N6thrust23THRUST_200600_302600_NS6detail15normal_iteratorINS9_10device_ptrIiEEEESE_iNS9_4plusIvEEiEEDaPvRmT3_T4_T5_mT6_P12ihipStream_tbENKUlT_T0_E_clISt17integral_constantIbLb1EESU_EEDaSP_SQ_EUlSP_E_NS1_11comp_targetILNS1_3genE2ELNS1_11target_archE906ELNS1_3gpuE6ELNS1_3repE0EEENS1_30default_config_static_selectorELNS0_4arch9wavefront6targetE0EEEvT1_.num_agpr, 0
	.set _ZN7rocprim17ROCPRIM_400000_NS6detail17trampoline_kernelINS0_14default_configENS1_20scan_config_selectorIiEEZZNS1_9scan_implILNS1_25lookback_scan_determinismE0ELb0ELb0ES3_N6thrust23THRUST_200600_302600_NS6detail15normal_iteratorINS9_10device_ptrIiEEEESE_iNS9_4plusIvEEiEEDaPvRmT3_T4_T5_mT6_P12ihipStream_tbENKUlT_T0_E_clISt17integral_constantIbLb1EESU_EEDaSP_SQ_EUlSP_E_NS1_11comp_targetILNS1_3genE2ELNS1_11target_archE906ELNS1_3gpuE6ELNS1_3repE0EEENS1_30default_config_static_selectorELNS0_4arch9wavefront6targetE0EEEvT1_.numbered_sgpr, 0
	.set _ZN7rocprim17ROCPRIM_400000_NS6detail17trampoline_kernelINS0_14default_configENS1_20scan_config_selectorIiEEZZNS1_9scan_implILNS1_25lookback_scan_determinismE0ELb0ELb0ES3_N6thrust23THRUST_200600_302600_NS6detail15normal_iteratorINS9_10device_ptrIiEEEESE_iNS9_4plusIvEEiEEDaPvRmT3_T4_T5_mT6_P12ihipStream_tbENKUlT_T0_E_clISt17integral_constantIbLb1EESU_EEDaSP_SQ_EUlSP_E_NS1_11comp_targetILNS1_3genE2ELNS1_11target_archE906ELNS1_3gpuE6ELNS1_3repE0EEENS1_30default_config_static_selectorELNS0_4arch9wavefront6targetE0EEEvT1_.num_named_barrier, 0
	.set _ZN7rocprim17ROCPRIM_400000_NS6detail17trampoline_kernelINS0_14default_configENS1_20scan_config_selectorIiEEZZNS1_9scan_implILNS1_25lookback_scan_determinismE0ELb0ELb0ES3_N6thrust23THRUST_200600_302600_NS6detail15normal_iteratorINS9_10device_ptrIiEEEESE_iNS9_4plusIvEEiEEDaPvRmT3_T4_T5_mT6_P12ihipStream_tbENKUlT_T0_E_clISt17integral_constantIbLb1EESU_EEDaSP_SQ_EUlSP_E_NS1_11comp_targetILNS1_3genE2ELNS1_11target_archE906ELNS1_3gpuE6ELNS1_3repE0EEENS1_30default_config_static_selectorELNS0_4arch9wavefront6targetE0EEEvT1_.private_seg_size, 0
	.set _ZN7rocprim17ROCPRIM_400000_NS6detail17trampoline_kernelINS0_14default_configENS1_20scan_config_selectorIiEEZZNS1_9scan_implILNS1_25lookback_scan_determinismE0ELb0ELb0ES3_N6thrust23THRUST_200600_302600_NS6detail15normal_iteratorINS9_10device_ptrIiEEEESE_iNS9_4plusIvEEiEEDaPvRmT3_T4_T5_mT6_P12ihipStream_tbENKUlT_T0_E_clISt17integral_constantIbLb1EESU_EEDaSP_SQ_EUlSP_E_NS1_11comp_targetILNS1_3genE2ELNS1_11target_archE906ELNS1_3gpuE6ELNS1_3repE0EEENS1_30default_config_static_selectorELNS0_4arch9wavefront6targetE0EEEvT1_.uses_vcc, 0
	.set _ZN7rocprim17ROCPRIM_400000_NS6detail17trampoline_kernelINS0_14default_configENS1_20scan_config_selectorIiEEZZNS1_9scan_implILNS1_25lookback_scan_determinismE0ELb0ELb0ES3_N6thrust23THRUST_200600_302600_NS6detail15normal_iteratorINS9_10device_ptrIiEEEESE_iNS9_4plusIvEEiEEDaPvRmT3_T4_T5_mT6_P12ihipStream_tbENKUlT_T0_E_clISt17integral_constantIbLb1EESU_EEDaSP_SQ_EUlSP_E_NS1_11comp_targetILNS1_3genE2ELNS1_11target_archE906ELNS1_3gpuE6ELNS1_3repE0EEENS1_30default_config_static_selectorELNS0_4arch9wavefront6targetE0EEEvT1_.uses_flat_scratch, 0
	.set _ZN7rocprim17ROCPRIM_400000_NS6detail17trampoline_kernelINS0_14default_configENS1_20scan_config_selectorIiEEZZNS1_9scan_implILNS1_25lookback_scan_determinismE0ELb0ELb0ES3_N6thrust23THRUST_200600_302600_NS6detail15normal_iteratorINS9_10device_ptrIiEEEESE_iNS9_4plusIvEEiEEDaPvRmT3_T4_T5_mT6_P12ihipStream_tbENKUlT_T0_E_clISt17integral_constantIbLb1EESU_EEDaSP_SQ_EUlSP_E_NS1_11comp_targetILNS1_3genE2ELNS1_11target_archE906ELNS1_3gpuE6ELNS1_3repE0EEENS1_30default_config_static_selectorELNS0_4arch9wavefront6targetE0EEEvT1_.has_dyn_sized_stack, 0
	.set _ZN7rocprim17ROCPRIM_400000_NS6detail17trampoline_kernelINS0_14default_configENS1_20scan_config_selectorIiEEZZNS1_9scan_implILNS1_25lookback_scan_determinismE0ELb0ELb0ES3_N6thrust23THRUST_200600_302600_NS6detail15normal_iteratorINS9_10device_ptrIiEEEESE_iNS9_4plusIvEEiEEDaPvRmT3_T4_T5_mT6_P12ihipStream_tbENKUlT_T0_E_clISt17integral_constantIbLb1EESU_EEDaSP_SQ_EUlSP_E_NS1_11comp_targetILNS1_3genE2ELNS1_11target_archE906ELNS1_3gpuE6ELNS1_3repE0EEENS1_30default_config_static_selectorELNS0_4arch9wavefront6targetE0EEEvT1_.has_recursion, 0
	.set _ZN7rocprim17ROCPRIM_400000_NS6detail17trampoline_kernelINS0_14default_configENS1_20scan_config_selectorIiEEZZNS1_9scan_implILNS1_25lookback_scan_determinismE0ELb0ELb0ES3_N6thrust23THRUST_200600_302600_NS6detail15normal_iteratorINS9_10device_ptrIiEEEESE_iNS9_4plusIvEEiEEDaPvRmT3_T4_T5_mT6_P12ihipStream_tbENKUlT_T0_E_clISt17integral_constantIbLb1EESU_EEDaSP_SQ_EUlSP_E_NS1_11comp_targetILNS1_3genE2ELNS1_11target_archE906ELNS1_3gpuE6ELNS1_3repE0EEENS1_30default_config_static_selectorELNS0_4arch9wavefront6targetE0EEEvT1_.has_indirect_call, 0
	.section	.AMDGPU.csdata,"",@progbits
; Kernel info:
; codeLenInByte = 0
; TotalNumSgprs: 0
; NumVgprs: 0
; ScratchSize: 0
; MemoryBound: 0
; FloatMode: 240
; IeeeMode: 1
; LDSByteSize: 0 bytes/workgroup (compile time only)
; SGPRBlocks: 0
; VGPRBlocks: 0
; NumSGPRsForWavesPerEU: 1
; NumVGPRsForWavesPerEU: 1
; NamedBarCnt: 0
; Occupancy: 16
; WaveLimiterHint : 0
; COMPUTE_PGM_RSRC2:SCRATCH_EN: 0
; COMPUTE_PGM_RSRC2:USER_SGPR: 2
; COMPUTE_PGM_RSRC2:TRAP_HANDLER: 0
; COMPUTE_PGM_RSRC2:TGID_X_EN: 1
; COMPUTE_PGM_RSRC2:TGID_Y_EN: 0
; COMPUTE_PGM_RSRC2:TGID_Z_EN: 0
; COMPUTE_PGM_RSRC2:TIDIG_COMP_CNT: 0
	.section	.text._ZN7rocprim17ROCPRIM_400000_NS6detail17trampoline_kernelINS0_14default_configENS1_20scan_config_selectorIiEEZZNS1_9scan_implILNS1_25lookback_scan_determinismE0ELb0ELb0ES3_N6thrust23THRUST_200600_302600_NS6detail15normal_iteratorINS9_10device_ptrIiEEEESE_iNS9_4plusIvEEiEEDaPvRmT3_T4_T5_mT6_P12ihipStream_tbENKUlT_T0_E_clISt17integral_constantIbLb1EESU_EEDaSP_SQ_EUlSP_E_NS1_11comp_targetILNS1_3genE10ELNS1_11target_archE1201ELNS1_3gpuE5ELNS1_3repE0EEENS1_30default_config_static_selectorELNS0_4arch9wavefront6targetE0EEEvT1_,"axG",@progbits,_ZN7rocprim17ROCPRIM_400000_NS6detail17trampoline_kernelINS0_14default_configENS1_20scan_config_selectorIiEEZZNS1_9scan_implILNS1_25lookback_scan_determinismE0ELb0ELb0ES3_N6thrust23THRUST_200600_302600_NS6detail15normal_iteratorINS9_10device_ptrIiEEEESE_iNS9_4plusIvEEiEEDaPvRmT3_T4_T5_mT6_P12ihipStream_tbENKUlT_T0_E_clISt17integral_constantIbLb1EESU_EEDaSP_SQ_EUlSP_E_NS1_11comp_targetILNS1_3genE10ELNS1_11target_archE1201ELNS1_3gpuE5ELNS1_3repE0EEENS1_30default_config_static_selectorELNS0_4arch9wavefront6targetE0EEEvT1_,comdat
	.protected	_ZN7rocprim17ROCPRIM_400000_NS6detail17trampoline_kernelINS0_14default_configENS1_20scan_config_selectorIiEEZZNS1_9scan_implILNS1_25lookback_scan_determinismE0ELb0ELb0ES3_N6thrust23THRUST_200600_302600_NS6detail15normal_iteratorINS9_10device_ptrIiEEEESE_iNS9_4plusIvEEiEEDaPvRmT3_T4_T5_mT6_P12ihipStream_tbENKUlT_T0_E_clISt17integral_constantIbLb1EESU_EEDaSP_SQ_EUlSP_E_NS1_11comp_targetILNS1_3genE10ELNS1_11target_archE1201ELNS1_3gpuE5ELNS1_3repE0EEENS1_30default_config_static_selectorELNS0_4arch9wavefront6targetE0EEEvT1_ ; -- Begin function _ZN7rocprim17ROCPRIM_400000_NS6detail17trampoline_kernelINS0_14default_configENS1_20scan_config_selectorIiEEZZNS1_9scan_implILNS1_25lookback_scan_determinismE0ELb0ELb0ES3_N6thrust23THRUST_200600_302600_NS6detail15normal_iteratorINS9_10device_ptrIiEEEESE_iNS9_4plusIvEEiEEDaPvRmT3_T4_T5_mT6_P12ihipStream_tbENKUlT_T0_E_clISt17integral_constantIbLb1EESU_EEDaSP_SQ_EUlSP_E_NS1_11comp_targetILNS1_3genE10ELNS1_11target_archE1201ELNS1_3gpuE5ELNS1_3repE0EEENS1_30default_config_static_selectorELNS0_4arch9wavefront6targetE0EEEvT1_
	.globl	_ZN7rocprim17ROCPRIM_400000_NS6detail17trampoline_kernelINS0_14default_configENS1_20scan_config_selectorIiEEZZNS1_9scan_implILNS1_25lookback_scan_determinismE0ELb0ELb0ES3_N6thrust23THRUST_200600_302600_NS6detail15normal_iteratorINS9_10device_ptrIiEEEESE_iNS9_4plusIvEEiEEDaPvRmT3_T4_T5_mT6_P12ihipStream_tbENKUlT_T0_E_clISt17integral_constantIbLb1EESU_EEDaSP_SQ_EUlSP_E_NS1_11comp_targetILNS1_3genE10ELNS1_11target_archE1201ELNS1_3gpuE5ELNS1_3repE0EEENS1_30default_config_static_selectorELNS0_4arch9wavefront6targetE0EEEvT1_
	.p2align	8
	.type	_ZN7rocprim17ROCPRIM_400000_NS6detail17trampoline_kernelINS0_14default_configENS1_20scan_config_selectorIiEEZZNS1_9scan_implILNS1_25lookback_scan_determinismE0ELb0ELb0ES3_N6thrust23THRUST_200600_302600_NS6detail15normal_iteratorINS9_10device_ptrIiEEEESE_iNS9_4plusIvEEiEEDaPvRmT3_T4_T5_mT6_P12ihipStream_tbENKUlT_T0_E_clISt17integral_constantIbLb1EESU_EEDaSP_SQ_EUlSP_E_NS1_11comp_targetILNS1_3genE10ELNS1_11target_archE1201ELNS1_3gpuE5ELNS1_3repE0EEENS1_30default_config_static_selectorELNS0_4arch9wavefront6targetE0EEEvT1_,@function
_ZN7rocprim17ROCPRIM_400000_NS6detail17trampoline_kernelINS0_14default_configENS1_20scan_config_selectorIiEEZZNS1_9scan_implILNS1_25lookback_scan_determinismE0ELb0ELb0ES3_N6thrust23THRUST_200600_302600_NS6detail15normal_iteratorINS9_10device_ptrIiEEEESE_iNS9_4plusIvEEiEEDaPvRmT3_T4_T5_mT6_P12ihipStream_tbENKUlT_T0_E_clISt17integral_constantIbLb1EESU_EEDaSP_SQ_EUlSP_E_NS1_11comp_targetILNS1_3genE10ELNS1_11target_archE1201ELNS1_3gpuE5ELNS1_3repE0EEENS1_30default_config_static_selectorELNS0_4arch9wavefront6targetE0EEEvT1_: ; @_ZN7rocprim17ROCPRIM_400000_NS6detail17trampoline_kernelINS0_14default_configENS1_20scan_config_selectorIiEEZZNS1_9scan_implILNS1_25lookback_scan_determinismE0ELb0ELb0ES3_N6thrust23THRUST_200600_302600_NS6detail15normal_iteratorINS9_10device_ptrIiEEEESE_iNS9_4plusIvEEiEEDaPvRmT3_T4_T5_mT6_P12ihipStream_tbENKUlT_T0_E_clISt17integral_constantIbLb1EESU_EEDaSP_SQ_EUlSP_E_NS1_11comp_targetILNS1_3genE10ELNS1_11target_archE1201ELNS1_3gpuE5ELNS1_3repE0EEENS1_30default_config_static_selectorELNS0_4arch9wavefront6targetE0EEEvT1_
; %bb.0:
	.section	.rodata,"a",@progbits
	.p2align	6, 0x0
	.amdhsa_kernel _ZN7rocprim17ROCPRIM_400000_NS6detail17trampoline_kernelINS0_14default_configENS1_20scan_config_selectorIiEEZZNS1_9scan_implILNS1_25lookback_scan_determinismE0ELb0ELb0ES3_N6thrust23THRUST_200600_302600_NS6detail15normal_iteratorINS9_10device_ptrIiEEEESE_iNS9_4plusIvEEiEEDaPvRmT3_T4_T5_mT6_P12ihipStream_tbENKUlT_T0_E_clISt17integral_constantIbLb1EESU_EEDaSP_SQ_EUlSP_E_NS1_11comp_targetILNS1_3genE10ELNS1_11target_archE1201ELNS1_3gpuE5ELNS1_3repE0EEENS1_30default_config_static_selectorELNS0_4arch9wavefront6targetE0EEEvT1_
		.amdhsa_group_segment_fixed_size 0
		.amdhsa_private_segment_fixed_size 0
		.amdhsa_kernarg_size 96
		.amdhsa_user_sgpr_count 2
		.amdhsa_user_sgpr_dispatch_ptr 0
		.amdhsa_user_sgpr_queue_ptr 0
		.amdhsa_user_sgpr_kernarg_segment_ptr 1
		.amdhsa_user_sgpr_dispatch_id 0
		.amdhsa_user_sgpr_kernarg_preload_length 0
		.amdhsa_user_sgpr_kernarg_preload_offset 0
		.amdhsa_user_sgpr_private_segment_size 0
		.amdhsa_wavefront_size32 1
		.amdhsa_uses_dynamic_stack 0
		.amdhsa_enable_private_segment 0
		.amdhsa_system_sgpr_workgroup_id_x 1
		.amdhsa_system_sgpr_workgroup_id_y 0
		.amdhsa_system_sgpr_workgroup_id_z 0
		.amdhsa_system_sgpr_workgroup_info 0
		.amdhsa_system_vgpr_workitem_id 0
		.amdhsa_next_free_vgpr 1
		.amdhsa_next_free_sgpr 1
		.amdhsa_named_barrier_count 0
		.amdhsa_reserve_vcc 0
		.amdhsa_float_round_mode_32 0
		.amdhsa_float_round_mode_16_64 0
		.amdhsa_float_denorm_mode_32 3
		.amdhsa_float_denorm_mode_16_64 3
		.amdhsa_fp16_overflow 0
		.amdhsa_memory_ordered 1
		.amdhsa_forward_progress 1
		.amdhsa_inst_pref_size 0
		.amdhsa_round_robin_scheduling 0
		.amdhsa_exception_fp_ieee_invalid_op 0
		.amdhsa_exception_fp_denorm_src 0
		.amdhsa_exception_fp_ieee_div_zero 0
		.amdhsa_exception_fp_ieee_overflow 0
		.amdhsa_exception_fp_ieee_underflow 0
		.amdhsa_exception_fp_ieee_inexact 0
		.amdhsa_exception_int_div_zero 0
	.end_amdhsa_kernel
	.section	.text._ZN7rocprim17ROCPRIM_400000_NS6detail17trampoline_kernelINS0_14default_configENS1_20scan_config_selectorIiEEZZNS1_9scan_implILNS1_25lookback_scan_determinismE0ELb0ELb0ES3_N6thrust23THRUST_200600_302600_NS6detail15normal_iteratorINS9_10device_ptrIiEEEESE_iNS9_4plusIvEEiEEDaPvRmT3_T4_T5_mT6_P12ihipStream_tbENKUlT_T0_E_clISt17integral_constantIbLb1EESU_EEDaSP_SQ_EUlSP_E_NS1_11comp_targetILNS1_3genE10ELNS1_11target_archE1201ELNS1_3gpuE5ELNS1_3repE0EEENS1_30default_config_static_selectorELNS0_4arch9wavefront6targetE0EEEvT1_,"axG",@progbits,_ZN7rocprim17ROCPRIM_400000_NS6detail17trampoline_kernelINS0_14default_configENS1_20scan_config_selectorIiEEZZNS1_9scan_implILNS1_25lookback_scan_determinismE0ELb0ELb0ES3_N6thrust23THRUST_200600_302600_NS6detail15normal_iteratorINS9_10device_ptrIiEEEESE_iNS9_4plusIvEEiEEDaPvRmT3_T4_T5_mT6_P12ihipStream_tbENKUlT_T0_E_clISt17integral_constantIbLb1EESU_EEDaSP_SQ_EUlSP_E_NS1_11comp_targetILNS1_3genE10ELNS1_11target_archE1201ELNS1_3gpuE5ELNS1_3repE0EEENS1_30default_config_static_selectorELNS0_4arch9wavefront6targetE0EEEvT1_,comdat
.Lfunc_end33:
	.size	_ZN7rocprim17ROCPRIM_400000_NS6detail17trampoline_kernelINS0_14default_configENS1_20scan_config_selectorIiEEZZNS1_9scan_implILNS1_25lookback_scan_determinismE0ELb0ELb0ES3_N6thrust23THRUST_200600_302600_NS6detail15normal_iteratorINS9_10device_ptrIiEEEESE_iNS9_4plusIvEEiEEDaPvRmT3_T4_T5_mT6_P12ihipStream_tbENKUlT_T0_E_clISt17integral_constantIbLb1EESU_EEDaSP_SQ_EUlSP_E_NS1_11comp_targetILNS1_3genE10ELNS1_11target_archE1201ELNS1_3gpuE5ELNS1_3repE0EEENS1_30default_config_static_selectorELNS0_4arch9wavefront6targetE0EEEvT1_, .Lfunc_end33-_ZN7rocprim17ROCPRIM_400000_NS6detail17trampoline_kernelINS0_14default_configENS1_20scan_config_selectorIiEEZZNS1_9scan_implILNS1_25lookback_scan_determinismE0ELb0ELb0ES3_N6thrust23THRUST_200600_302600_NS6detail15normal_iteratorINS9_10device_ptrIiEEEESE_iNS9_4plusIvEEiEEDaPvRmT3_T4_T5_mT6_P12ihipStream_tbENKUlT_T0_E_clISt17integral_constantIbLb1EESU_EEDaSP_SQ_EUlSP_E_NS1_11comp_targetILNS1_3genE10ELNS1_11target_archE1201ELNS1_3gpuE5ELNS1_3repE0EEENS1_30default_config_static_selectorELNS0_4arch9wavefront6targetE0EEEvT1_
                                        ; -- End function
	.set _ZN7rocprim17ROCPRIM_400000_NS6detail17trampoline_kernelINS0_14default_configENS1_20scan_config_selectorIiEEZZNS1_9scan_implILNS1_25lookback_scan_determinismE0ELb0ELb0ES3_N6thrust23THRUST_200600_302600_NS6detail15normal_iteratorINS9_10device_ptrIiEEEESE_iNS9_4plusIvEEiEEDaPvRmT3_T4_T5_mT6_P12ihipStream_tbENKUlT_T0_E_clISt17integral_constantIbLb1EESU_EEDaSP_SQ_EUlSP_E_NS1_11comp_targetILNS1_3genE10ELNS1_11target_archE1201ELNS1_3gpuE5ELNS1_3repE0EEENS1_30default_config_static_selectorELNS0_4arch9wavefront6targetE0EEEvT1_.num_vgpr, 0
	.set _ZN7rocprim17ROCPRIM_400000_NS6detail17trampoline_kernelINS0_14default_configENS1_20scan_config_selectorIiEEZZNS1_9scan_implILNS1_25lookback_scan_determinismE0ELb0ELb0ES3_N6thrust23THRUST_200600_302600_NS6detail15normal_iteratorINS9_10device_ptrIiEEEESE_iNS9_4plusIvEEiEEDaPvRmT3_T4_T5_mT6_P12ihipStream_tbENKUlT_T0_E_clISt17integral_constantIbLb1EESU_EEDaSP_SQ_EUlSP_E_NS1_11comp_targetILNS1_3genE10ELNS1_11target_archE1201ELNS1_3gpuE5ELNS1_3repE0EEENS1_30default_config_static_selectorELNS0_4arch9wavefront6targetE0EEEvT1_.num_agpr, 0
	.set _ZN7rocprim17ROCPRIM_400000_NS6detail17trampoline_kernelINS0_14default_configENS1_20scan_config_selectorIiEEZZNS1_9scan_implILNS1_25lookback_scan_determinismE0ELb0ELb0ES3_N6thrust23THRUST_200600_302600_NS6detail15normal_iteratorINS9_10device_ptrIiEEEESE_iNS9_4plusIvEEiEEDaPvRmT3_T4_T5_mT6_P12ihipStream_tbENKUlT_T0_E_clISt17integral_constantIbLb1EESU_EEDaSP_SQ_EUlSP_E_NS1_11comp_targetILNS1_3genE10ELNS1_11target_archE1201ELNS1_3gpuE5ELNS1_3repE0EEENS1_30default_config_static_selectorELNS0_4arch9wavefront6targetE0EEEvT1_.numbered_sgpr, 0
	.set _ZN7rocprim17ROCPRIM_400000_NS6detail17trampoline_kernelINS0_14default_configENS1_20scan_config_selectorIiEEZZNS1_9scan_implILNS1_25lookback_scan_determinismE0ELb0ELb0ES3_N6thrust23THRUST_200600_302600_NS6detail15normal_iteratorINS9_10device_ptrIiEEEESE_iNS9_4plusIvEEiEEDaPvRmT3_T4_T5_mT6_P12ihipStream_tbENKUlT_T0_E_clISt17integral_constantIbLb1EESU_EEDaSP_SQ_EUlSP_E_NS1_11comp_targetILNS1_3genE10ELNS1_11target_archE1201ELNS1_3gpuE5ELNS1_3repE0EEENS1_30default_config_static_selectorELNS0_4arch9wavefront6targetE0EEEvT1_.num_named_barrier, 0
	.set _ZN7rocprim17ROCPRIM_400000_NS6detail17trampoline_kernelINS0_14default_configENS1_20scan_config_selectorIiEEZZNS1_9scan_implILNS1_25lookback_scan_determinismE0ELb0ELb0ES3_N6thrust23THRUST_200600_302600_NS6detail15normal_iteratorINS9_10device_ptrIiEEEESE_iNS9_4plusIvEEiEEDaPvRmT3_T4_T5_mT6_P12ihipStream_tbENKUlT_T0_E_clISt17integral_constantIbLb1EESU_EEDaSP_SQ_EUlSP_E_NS1_11comp_targetILNS1_3genE10ELNS1_11target_archE1201ELNS1_3gpuE5ELNS1_3repE0EEENS1_30default_config_static_selectorELNS0_4arch9wavefront6targetE0EEEvT1_.private_seg_size, 0
	.set _ZN7rocprim17ROCPRIM_400000_NS6detail17trampoline_kernelINS0_14default_configENS1_20scan_config_selectorIiEEZZNS1_9scan_implILNS1_25lookback_scan_determinismE0ELb0ELb0ES3_N6thrust23THRUST_200600_302600_NS6detail15normal_iteratorINS9_10device_ptrIiEEEESE_iNS9_4plusIvEEiEEDaPvRmT3_T4_T5_mT6_P12ihipStream_tbENKUlT_T0_E_clISt17integral_constantIbLb1EESU_EEDaSP_SQ_EUlSP_E_NS1_11comp_targetILNS1_3genE10ELNS1_11target_archE1201ELNS1_3gpuE5ELNS1_3repE0EEENS1_30default_config_static_selectorELNS0_4arch9wavefront6targetE0EEEvT1_.uses_vcc, 0
	.set _ZN7rocprim17ROCPRIM_400000_NS6detail17trampoline_kernelINS0_14default_configENS1_20scan_config_selectorIiEEZZNS1_9scan_implILNS1_25lookback_scan_determinismE0ELb0ELb0ES3_N6thrust23THRUST_200600_302600_NS6detail15normal_iteratorINS9_10device_ptrIiEEEESE_iNS9_4plusIvEEiEEDaPvRmT3_T4_T5_mT6_P12ihipStream_tbENKUlT_T0_E_clISt17integral_constantIbLb1EESU_EEDaSP_SQ_EUlSP_E_NS1_11comp_targetILNS1_3genE10ELNS1_11target_archE1201ELNS1_3gpuE5ELNS1_3repE0EEENS1_30default_config_static_selectorELNS0_4arch9wavefront6targetE0EEEvT1_.uses_flat_scratch, 0
	.set _ZN7rocprim17ROCPRIM_400000_NS6detail17trampoline_kernelINS0_14default_configENS1_20scan_config_selectorIiEEZZNS1_9scan_implILNS1_25lookback_scan_determinismE0ELb0ELb0ES3_N6thrust23THRUST_200600_302600_NS6detail15normal_iteratorINS9_10device_ptrIiEEEESE_iNS9_4plusIvEEiEEDaPvRmT3_T4_T5_mT6_P12ihipStream_tbENKUlT_T0_E_clISt17integral_constantIbLb1EESU_EEDaSP_SQ_EUlSP_E_NS1_11comp_targetILNS1_3genE10ELNS1_11target_archE1201ELNS1_3gpuE5ELNS1_3repE0EEENS1_30default_config_static_selectorELNS0_4arch9wavefront6targetE0EEEvT1_.has_dyn_sized_stack, 0
	.set _ZN7rocprim17ROCPRIM_400000_NS6detail17trampoline_kernelINS0_14default_configENS1_20scan_config_selectorIiEEZZNS1_9scan_implILNS1_25lookback_scan_determinismE0ELb0ELb0ES3_N6thrust23THRUST_200600_302600_NS6detail15normal_iteratorINS9_10device_ptrIiEEEESE_iNS9_4plusIvEEiEEDaPvRmT3_T4_T5_mT6_P12ihipStream_tbENKUlT_T0_E_clISt17integral_constantIbLb1EESU_EEDaSP_SQ_EUlSP_E_NS1_11comp_targetILNS1_3genE10ELNS1_11target_archE1201ELNS1_3gpuE5ELNS1_3repE0EEENS1_30default_config_static_selectorELNS0_4arch9wavefront6targetE0EEEvT1_.has_recursion, 0
	.set _ZN7rocprim17ROCPRIM_400000_NS6detail17trampoline_kernelINS0_14default_configENS1_20scan_config_selectorIiEEZZNS1_9scan_implILNS1_25lookback_scan_determinismE0ELb0ELb0ES3_N6thrust23THRUST_200600_302600_NS6detail15normal_iteratorINS9_10device_ptrIiEEEESE_iNS9_4plusIvEEiEEDaPvRmT3_T4_T5_mT6_P12ihipStream_tbENKUlT_T0_E_clISt17integral_constantIbLb1EESU_EEDaSP_SQ_EUlSP_E_NS1_11comp_targetILNS1_3genE10ELNS1_11target_archE1201ELNS1_3gpuE5ELNS1_3repE0EEENS1_30default_config_static_selectorELNS0_4arch9wavefront6targetE0EEEvT1_.has_indirect_call, 0
	.section	.AMDGPU.csdata,"",@progbits
; Kernel info:
; codeLenInByte = 0
; TotalNumSgprs: 0
; NumVgprs: 0
; ScratchSize: 0
; MemoryBound: 0
; FloatMode: 240
; IeeeMode: 1
; LDSByteSize: 0 bytes/workgroup (compile time only)
; SGPRBlocks: 0
; VGPRBlocks: 0
; NumSGPRsForWavesPerEU: 1
; NumVGPRsForWavesPerEU: 1
; NamedBarCnt: 0
; Occupancy: 16
; WaveLimiterHint : 0
; COMPUTE_PGM_RSRC2:SCRATCH_EN: 0
; COMPUTE_PGM_RSRC2:USER_SGPR: 2
; COMPUTE_PGM_RSRC2:TRAP_HANDLER: 0
; COMPUTE_PGM_RSRC2:TGID_X_EN: 1
; COMPUTE_PGM_RSRC2:TGID_Y_EN: 0
; COMPUTE_PGM_RSRC2:TGID_Z_EN: 0
; COMPUTE_PGM_RSRC2:TIDIG_COMP_CNT: 0
	.section	.text._ZN7rocprim17ROCPRIM_400000_NS6detail17trampoline_kernelINS0_14default_configENS1_20scan_config_selectorIiEEZZNS1_9scan_implILNS1_25lookback_scan_determinismE0ELb0ELb0ES3_N6thrust23THRUST_200600_302600_NS6detail15normal_iteratorINS9_10device_ptrIiEEEESE_iNS9_4plusIvEEiEEDaPvRmT3_T4_T5_mT6_P12ihipStream_tbENKUlT_T0_E_clISt17integral_constantIbLb1EESU_EEDaSP_SQ_EUlSP_E_NS1_11comp_targetILNS1_3genE10ELNS1_11target_archE1200ELNS1_3gpuE4ELNS1_3repE0EEENS1_30default_config_static_selectorELNS0_4arch9wavefront6targetE0EEEvT1_,"axG",@progbits,_ZN7rocprim17ROCPRIM_400000_NS6detail17trampoline_kernelINS0_14default_configENS1_20scan_config_selectorIiEEZZNS1_9scan_implILNS1_25lookback_scan_determinismE0ELb0ELb0ES3_N6thrust23THRUST_200600_302600_NS6detail15normal_iteratorINS9_10device_ptrIiEEEESE_iNS9_4plusIvEEiEEDaPvRmT3_T4_T5_mT6_P12ihipStream_tbENKUlT_T0_E_clISt17integral_constantIbLb1EESU_EEDaSP_SQ_EUlSP_E_NS1_11comp_targetILNS1_3genE10ELNS1_11target_archE1200ELNS1_3gpuE4ELNS1_3repE0EEENS1_30default_config_static_selectorELNS0_4arch9wavefront6targetE0EEEvT1_,comdat
	.protected	_ZN7rocprim17ROCPRIM_400000_NS6detail17trampoline_kernelINS0_14default_configENS1_20scan_config_selectorIiEEZZNS1_9scan_implILNS1_25lookback_scan_determinismE0ELb0ELb0ES3_N6thrust23THRUST_200600_302600_NS6detail15normal_iteratorINS9_10device_ptrIiEEEESE_iNS9_4plusIvEEiEEDaPvRmT3_T4_T5_mT6_P12ihipStream_tbENKUlT_T0_E_clISt17integral_constantIbLb1EESU_EEDaSP_SQ_EUlSP_E_NS1_11comp_targetILNS1_3genE10ELNS1_11target_archE1200ELNS1_3gpuE4ELNS1_3repE0EEENS1_30default_config_static_selectorELNS0_4arch9wavefront6targetE0EEEvT1_ ; -- Begin function _ZN7rocprim17ROCPRIM_400000_NS6detail17trampoline_kernelINS0_14default_configENS1_20scan_config_selectorIiEEZZNS1_9scan_implILNS1_25lookback_scan_determinismE0ELb0ELb0ES3_N6thrust23THRUST_200600_302600_NS6detail15normal_iteratorINS9_10device_ptrIiEEEESE_iNS9_4plusIvEEiEEDaPvRmT3_T4_T5_mT6_P12ihipStream_tbENKUlT_T0_E_clISt17integral_constantIbLb1EESU_EEDaSP_SQ_EUlSP_E_NS1_11comp_targetILNS1_3genE10ELNS1_11target_archE1200ELNS1_3gpuE4ELNS1_3repE0EEENS1_30default_config_static_selectorELNS0_4arch9wavefront6targetE0EEEvT1_
	.globl	_ZN7rocprim17ROCPRIM_400000_NS6detail17trampoline_kernelINS0_14default_configENS1_20scan_config_selectorIiEEZZNS1_9scan_implILNS1_25lookback_scan_determinismE0ELb0ELb0ES3_N6thrust23THRUST_200600_302600_NS6detail15normal_iteratorINS9_10device_ptrIiEEEESE_iNS9_4plusIvEEiEEDaPvRmT3_T4_T5_mT6_P12ihipStream_tbENKUlT_T0_E_clISt17integral_constantIbLb1EESU_EEDaSP_SQ_EUlSP_E_NS1_11comp_targetILNS1_3genE10ELNS1_11target_archE1200ELNS1_3gpuE4ELNS1_3repE0EEENS1_30default_config_static_selectorELNS0_4arch9wavefront6targetE0EEEvT1_
	.p2align	8
	.type	_ZN7rocprim17ROCPRIM_400000_NS6detail17trampoline_kernelINS0_14default_configENS1_20scan_config_selectorIiEEZZNS1_9scan_implILNS1_25lookback_scan_determinismE0ELb0ELb0ES3_N6thrust23THRUST_200600_302600_NS6detail15normal_iteratorINS9_10device_ptrIiEEEESE_iNS9_4plusIvEEiEEDaPvRmT3_T4_T5_mT6_P12ihipStream_tbENKUlT_T0_E_clISt17integral_constantIbLb1EESU_EEDaSP_SQ_EUlSP_E_NS1_11comp_targetILNS1_3genE10ELNS1_11target_archE1200ELNS1_3gpuE4ELNS1_3repE0EEENS1_30default_config_static_selectorELNS0_4arch9wavefront6targetE0EEEvT1_,@function
_ZN7rocprim17ROCPRIM_400000_NS6detail17trampoline_kernelINS0_14default_configENS1_20scan_config_selectorIiEEZZNS1_9scan_implILNS1_25lookback_scan_determinismE0ELb0ELb0ES3_N6thrust23THRUST_200600_302600_NS6detail15normal_iteratorINS9_10device_ptrIiEEEESE_iNS9_4plusIvEEiEEDaPvRmT3_T4_T5_mT6_P12ihipStream_tbENKUlT_T0_E_clISt17integral_constantIbLb1EESU_EEDaSP_SQ_EUlSP_E_NS1_11comp_targetILNS1_3genE10ELNS1_11target_archE1200ELNS1_3gpuE4ELNS1_3repE0EEENS1_30default_config_static_selectorELNS0_4arch9wavefront6targetE0EEEvT1_: ; @_ZN7rocprim17ROCPRIM_400000_NS6detail17trampoline_kernelINS0_14default_configENS1_20scan_config_selectorIiEEZZNS1_9scan_implILNS1_25lookback_scan_determinismE0ELb0ELb0ES3_N6thrust23THRUST_200600_302600_NS6detail15normal_iteratorINS9_10device_ptrIiEEEESE_iNS9_4plusIvEEiEEDaPvRmT3_T4_T5_mT6_P12ihipStream_tbENKUlT_T0_E_clISt17integral_constantIbLb1EESU_EEDaSP_SQ_EUlSP_E_NS1_11comp_targetILNS1_3genE10ELNS1_11target_archE1200ELNS1_3gpuE4ELNS1_3repE0EEENS1_30default_config_static_selectorELNS0_4arch9wavefront6targetE0EEEvT1_
; %bb.0:
	.section	.rodata,"a",@progbits
	.p2align	6, 0x0
	.amdhsa_kernel _ZN7rocprim17ROCPRIM_400000_NS6detail17trampoline_kernelINS0_14default_configENS1_20scan_config_selectorIiEEZZNS1_9scan_implILNS1_25lookback_scan_determinismE0ELb0ELb0ES3_N6thrust23THRUST_200600_302600_NS6detail15normal_iteratorINS9_10device_ptrIiEEEESE_iNS9_4plusIvEEiEEDaPvRmT3_T4_T5_mT6_P12ihipStream_tbENKUlT_T0_E_clISt17integral_constantIbLb1EESU_EEDaSP_SQ_EUlSP_E_NS1_11comp_targetILNS1_3genE10ELNS1_11target_archE1200ELNS1_3gpuE4ELNS1_3repE0EEENS1_30default_config_static_selectorELNS0_4arch9wavefront6targetE0EEEvT1_
		.amdhsa_group_segment_fixed_size 0
		.amdhsa_private_segment_fixed_size 0
		.amdhsa_kernarg_size 96
		.amdhsa_user_sgpr_count 2
		.amdhsa_user_sgpr_dispatch_ptr 0
		.amdhsa_user_sgpr_queue_ptr 0
		.amdhsa_user_sgpr_kernarg_segment_ptr 1
		.amdhsa_user_sgpr_dispatch_id 0
		.amdhsa_user_sgpr_kernarg_preload_length 0
		.amdhsa_user_sgpr_kernarg_preload_offset 0
		.amdhsa_user_sgpr_private_segment_size 0
		.amdhsa_wavefront_size32 1
		.amdhsa_uses_dynamic_stack 0
		.amdhsa_enable_private_segment 0
		.amdhsa_system_sgpr_workgroup_id_x 1
		.amdhsa_system_sgpr_workgroup_id_y 0
		.amdhsa_system_sgpr_workgroup_id_z 0
		.amdhsa_system_sgpr_workgroup_info 0
		.amdhsa_system_vgpr_workitem_id 0
		.amdhsa_next_free_vgpr 1
		.amdhsa_next_free_sgpr 1
		.amdhsa_named_barrier_count 0
		.amdhsa_reserve_vcc 0
		.amdhsa_float_round_mode_32 0
		.amdhsa_float_round_mode_16_64 0
		.amdhsa_float_denorm_mode_32 3
		.amdhsa_float_denorm_mode_16_64 3
		.amdhsa_fp16_overflow 0
		.amdhsa_memory_ordered 1
		.amdhsa_forward_progress 1
		.amdhsa_inst_pref_size 0
		.amdhsa_round_robin_scheduling 0
		.amdhsa_exception_fp_ieee_invalid_op 0
		.amdhsa_exception_fp_denorm_src 0
		.amdhsa_exception_fp_ieee_div_zero 0
		.amdhsa_exception_fp_ieee_overflow 0
		.amdhsa_exception_fp_ieee_underflow 0
		.amdhsa_exception_fp_ieee_inexact 0
		.amdhsa_exception_int_div_zero 0
	.end_amdhsa_kernel
	.section	.text._ZN7rocprim17ROCPRIM_400000_NS6detail17trampoline_kernelINS0_14default_configENS1_20scan_config_selectorIiEEZZNS1_9scan_implILNS1_25lookback_scan_determinismE0ELb0ELb0ES3_N6thrust23THRUST_200600_302600_NS6detail15normal_iteratorINS9_10device_ptrIiEEEESE_iNS9_4plusIvEEiEEDaPvRmT3_T4_T5_mT6_P12ihipStream_tbENKUlT_T0_E_clISt17integral_constantIbLb1EESU_EEDaSP_SQ_EUlSP_E_NS1_11comp_targetILNS1_3genE10ELNS1_11target_archE1200ELNS1_3gpuE4ELNS1_3repE0EEENS1_30default_config_static_selectorELNS0_4arch9wavefront6targetE0EEEvT1_,"axG",@progbits,_ZN7rocprim17ROCPRIM_400000_NS6detail17trampoline_kernelINS0_14default_configENS1_20scan_config_selectorIiEEZZNS1_9scan_implILNS1_25lookback_scan_determinismE0ELb0ELb0ES3_N6thrust23THRUST_200600_302600_NS6detail15normal_iteratorINS9_10device_ptrIiEEEESE_iNS9_4plusIvEEiEEDaPvRmT3_T4_T5_mT6_P12ihipStream_tbENKUlT_T0_E_clISt17integral_constantIbLb1EESU_EEDaSP_SQ_EUlSP_E_NS1_11comp_targetILNS1_3genE10ELNS1_11target_archE1200ELNS1_3gpuE4ELNS1_3repE0EEENS1_30default_config_static_selectorELNS0_4arch9wavefront6targetE0EEEvT1_,comdat
.Lfunc_end34:
	.size	_ZN7rocprim17ROCPRIM_400000_NS6detail17trampoline_kernelINS0_14default_configENS1_20scan_config_selectorIiEEZZNS1_9scan_implILNS1_25lookback_scan_determinismE0ELb0ELb0ES3_N6thrust23THRUST_200600_302600_NS6detail15normal_iteratorINS9_10device_ptrIiEEEESE_iNS9_4plusIvEEiEEDaPvRmT3_T4_T5_mT6_P12ihipStream_tbENKUlT_T0_E_clISt17integral_constantIbLb1EESU_EEDaSP_SQ_EUlSP_E_NS1_11comp_targetILNS1_3genE10ELNS1_11target_archE1200ELNS1_3gpuE4ELNS1_3repE0EEENS1_30default_config_static_selectorELNS0_4arch9wavefront6targetE0EEEvT1_, .Lfunc_end34-_ZN7rocprim17ROCPRIM_400000_NS6detail17trampoline_kernelINS0_14default_configENS1_20scan_config_selectorIiEEZZNS1_9scan_implILNS1_25lookback_scan_determinismE0ELb0ELb0ES3_N6thrust23THRUST_200600_302600_NS6detail15normal_iteratorINS9_10device_ptrIiEEEESE_iNS9_4plusIvEEiEEDaPvRmT3_T4_T5_mT6_P12ihipStream_tbENKUlT_T0_E_clISt17integral_constantIbLb1EESU_EEDaSP_SQ_EUlSP_E_NS1_11comp_targetILNS1_3genE10ELNS1_11target_archE1200ELNS1_3gpuE4ELNS1_3repE0EEENS1_30default_config_static_selectorELNS0_4arch9wavefront6targetE0EEEvT1_
                                        ; -- End function
	.set _ZN7rocprim17ROCPRIM_400000_NS6detail17trampoline_kernelINS0_14default_configENS1_20scan_config_selectorIiEEZZNS1_9scan_implILNS1_25lookback_scan_determinismE0ELb0ELb0ES3_N6thrust23THRUST_200600_302600_NS6detail15normal_iteratorINS9_10device_ptrIiEEEESE_iNS9_4plusIvEEiEEDaPvRmT3_T4_T5_mT6_P12ihipStream_tbENKUlT_T0_E_clISt17integral_constantIbLb1EESU_EEDaSP_SQ_EUlSP_E_NS1_11comp_targetILNS1_3genE10ELNS1_11target_archE1200ELNS1_3gpuE4ELNS1_3repE0EEENS1_30default_config_static_selectorELNS0_4arch9wavefront6targetE0EEEvT1_.num_vgpr, 0
	.set _ZN7rocprim17ROCPRIM_400000_NS6detail17trampoline_kernelINS0_14default_configENS1_20scan_config_selectorIiEEZZNS1_9scan_implILNS1_25lookback_scan_determinismE0ELb0ELb0ES3_N6thrust23THRUST_200600_302600_NS6detail15normal_iteratorINS9_10device_ptrIiEEEESE_iNS9_4plusIvEEiEEDaPvRmT3_T4_T5_mT6_P12ihipStream_tbENKUlT_T0_E_clISt17integral_constantIbLb1EESU_EEDaSP_SQ_EUlSP_E_NS1_11comp_targetILNS1_3genE10ELNS1_11target_archE1200ELNS1_3gpuE4ELNS1_3repE0EEENS1_30default_config_static_selectorELNS0_4arch9wavefront6targetE0EEEvT1_.num_agpr, 0
	.set _ZN7rocprim17ROCPRIM_400000_NS6detail17trampoline_kernelINS0_14default_configENS1_20scan_config_selectorIiEEZZNS1_9scan_implILNS1_25lookback_scan_determinismE0ELb0ELb0ES3_N6thrust23THRUST_200600_302600_NS6detail15normal_iteratorINS9_10device_ptrIiEEEESE_iNS9_4plusIvEEiEEDaPvRmT3_T4_T5_mT6_P12ihipStream_tbENKUlT_T0_E_clISt17integral_constantIbLb1EESU_EEDaSP_SQ_EUlSP_E_NS1_11comp_targetILNS1_3genE10ELNS1_11target_archE1200ELNS1_3gpuE4ELNS1_3repE0EEENS1_30default_config_static_selectorELNS0_4arch9wavefront6targetE0EEEvT1_.numbered_sgpr, 0
	.set _ZN7rocprim17ROCPRIM_400000_NS6detail17trampoline_kernelINS0_14default_configENS1_20scan_config_selectorIiEEZZNS1_9scan_implILNS1_25lookback_scan_determinismE0ELb0ELb0ES3_N6thrust23THRUST_200600_302600_NS6detail15normal_iteratorINS9_10device_ptrIiEEEESE_iNS9_4plusIvEEiEEDaPvRmT3_T4_T5_mT6_P12ihipStream_tbENKUlT_T0_E_clISt17integral_constantIbLb1EESU_EEDaSP_SQ_EUlSP_E_NS1_11comp_targetILNS1_3genE10ELNS1_11target_archE1200ELNS1_3gpuE4ELNS1_3repE0EEENS1_30default_config_static_selectorELNS0_4arch9wavefront6targetE0EEEvT1_.num_named_barrier, 0
	.set _ZN7rocprim17ROCPRIM_400000_NS6detail17trampoline_kernelINS0_14default_configENS1_20scan_config_selectorIiEEZZNS1_9scan_implILNS1_25lookback_scan_determinismE0ELb0ELb0ES3_N6thrust23THRUST_200600_302600_NS6detail15normal_iteratorINS9_10device_ptrIiEEEESE_iNS9_4plusIvEEiEEDaPvRmT3_T4_T5_mT6_P12ihipStream_tbENKUlT_T0_E_clISt17integral_constantIbLb1EESU_EEDaSP_SQ_EUlSP_E_NS1_11comp_targetILNS1_3genE10ELNS1_11target_archE1200ELNS1_3gpuE4ELNS1_3repE0EEENS1_30default_config_static_selectorELNS0_4arch9wavefront6targetE0EEEvT1_.private_seg_size, 0
	.set _ZN7rocprim17ROCPRIM_400000_NS6detail17trampoline_kernelINS0_14default_configENS1_20scan_config_selectorIiEEZZNS1_9scan_implILNS1_25lookback_scan_determinismE0ELb0ELb0ES3_N6thrust23THRUST_200600_302600_NS6detail15normal_iteratorINS9_10device_ptrIiEEEESE_iNS9_4plusIvEEiEEDaPvRmT3_T4_T5_mT6_P12ihipStream_tbENKUlT_T0_E_clISt17integral_constantIbLb1EESU_EEDaSP_SQ_EUlSP_E_NS1_11comp_targetILNS1_3genE10ELNS1_11target_archE1200ELNS1_3gpuE4ELNS1_3repE0EEENS1_30default_config_static_selectorELNS0_4arch9wavefront6targetE0EEEvT1_.uses_vcc, 0
	.set _ZN7rocprim17ROCPRIM_400000_NS6detail17trampoline_kernelINS0_14default_configENS1_20scan_config_selectorIiEEZZNS1_9scan_implILNS1_25lookback_scan_determinismE0ELb0ELb0ES3_N6thrust23THRUST_200600_302600_NS6detail15normal_iteratorINS9_10device_ptrIiEEEESE_iNS9_4plusIvEEiEEDaPvRmT3_T4_T5_mT6_P12ihipStream_tbENKUlT_T0_E_clISt17integral_constantIbLb1EESU_EEDaSP_SQ_EUlSP_E_NS1_11comp_targetILNS1_3genE10ELNS1_11target_archE1200ELNS1_3gpuE4ELNS1_3repE0EEENS1_30default_config_static_selectorELNS0_4arch9wavefront6targetE0EEEvT1_.uses_flat_scratch, 0
	.set _ZN7rocprim17ROCPRIM_400000_NS6detail17trampoline_kernelINS0_14default_configENS1_20scan_config_selectorIiEEZZNS1_9scan_implILNS1_25lookback_scan_determinismE0ELb0ELb0ES3_N6thrust23THRUST_200600_302600_NS6detail15normal_iteratorINS9_10device_ptrIiEEEESE_iNS9_4plusIvEEiEEDaPvRmT3_T4_T5_mT6_P12ihipStream_tbENKUlT_T0_E_clISt17integral_constantIbLb1EESU_EEDaSP_SQ_EUlSP_E_NS1_11comp_targetILNS1_3genE10ELNS1_11target_archE1200ELNS1_3gpuE4ELNS1_3repE0EEENS1_30default_config_static_selectorELNS0_4arch9wavefront6targetE0EEEvT1_.has_dyn_sized_stack, 0
	.set _ZN7rocprim17ROCPRIM_400000_NS6detail17trampoline_kernelINS0_14default_configENS1_20scan_config_selectorIiEEZZNS1_9scan_implILNS1_25lookback_scan_determinismE0ELb0ELb0ES3_N6thrust23THRUST_200600_302600_NS6detail15normal_iteratorINS9_10device_ptrIiEEEESE_iNS9_4plusIvEEiEEDaPvRmT3_T4_T5_mT6_P12ihipStream_tbENKUlT_T0_E_clISt17integral_constantIbLb1EESU_EEDaSP_SQ_EUlSP_E_NS1_11comp_targetILNS1_3genE10ELNS1_11target_archE1200ELNS1_3gpuE4ELNS1_3repE0EEENS1_30default_config_static_selectorELNS0_4arch9wavefront6targetE0EEEvT1_.has_recursion, 0
	.set _ZN7rocprim17ROCPRIM_400000_NS6detail17trampoline_kernelINS0_14default_configENS1_20scan_config_selectorIiEEZZNS1_9scan_implILNS1_25lookback_scan_determinismE0ELb0ELb0ES3_N6thrust23THRUST_200600_302600_NS6detail15normal_iteratorINS9_10device_ptrIiEEEESE_iNS9_4plusIvEEiEEDaPvRmT3_T4_T5_mT6_P12ihipStream_tbENKUlT_T0_E_clISt17integral_constantIbLb1EESU_EEDaSP_SQ_EUlSP_E_NS1_11comp_targetILNS1_3genE10ELNS1_11target_archE1200ELNS1_3gpuE4ELNS1_3repE0EEENS1_30default_config_static_selectorELNS0_4arch9wavefront6targetE0EEEvT1_.has_indirect_call, 0
	.section	.AMDGPU.csdata,"",@progbits
; Kernel info:
; codeLenInByte = 0
; TotalNumSgprs: 0
; NumVgprs: 0
; ScratchSize: 0
; MemoryBound: 0
; FloatMode: 240
; IeeeMode: 1
; LDSByteSize: 0 bytes/workgroup (compile time only)
; SGPRBlocks: 0
; VGPRBlocks: 0
; NumSGPRsForWavesPerEU: 1
; NumVGPRsForWavesPerEU: 1
; NamedBarCnt: 0
; Occupancy: 16
; WaveLimiterHint : 0
; COMPUTE_PGM_RSRC2:SCRATCH_EN: 0
; COMPUTE_PGM_RSRC2:USER_SGPR: 2
; COMPUTE_PGM_RSRC2:TRAP_HANDLER: 0
; COMPUTE_PGM_RSRC2:TGID_X_EN: 1
; COMPUTE_PGM_RSRC2:TGID_Y_EN: 0
; COMPUTE_PGM_RSRC2:TGID_Z_EN: 0
; COMPUTE_PGM_RSRC2:TIDIG_COMP_CNT: 0
	.section	.text._ZN7rocprim17ROCPRIM_400000_NS6detail17trampoline_kernelINS0_14default_configENS1_20scan_config_selectorIiEEZZNS1_9scan_implILNS1_25lookback_scan_determinismE0ELb0ELb0ES3_N6thrust23THRUST_200600_302600_NS6detail15normal_iteratorINS9_10device_ptrIiEEEESE_iNS9_4plusIvEEiEEDaPvRmT3_T4_T5_mT6_P12ihipStream_tbENKUlT_T0_E_clISt17integral_constantIbLb1EESU_EEDaSP_SQ_EUlSP_E_NS1_11comp_targetILNS1_3genE9ELNS1_11target_archE1100ELNS1_3gpuE3ELNS1_3repE0EEENS1_30default_config_static_selectorELNS0_4arch9wavefront6targetE0EEEvT1_,"axG",@progbits,_ZN7rocprim17ROCPRIM_400000_NS6detail17trampoline_kernelINS0_14default_configENS1_20scan_config_selectorIiEEZZNS1_9scan_implILNS1_25lookback_scan_determinismE0ELb0ELb0ES3_N6thrust23THRUST_200600_302600_NS6detail15normal_iteratorINS9_10device_ptrIiEEEESE_iNS9_4plusIvEEiEEDaPvRmT3_T4_T5_mT6_P12ihipStream_tbENKUlT_T0_E_clISt17integral_constantIbLb1EESU_EEDaSP_SQ_EUlSP_E_NS1_11comp_targetILNS1_3genE9ELNS1_11target_archE1100ELNS1_3gpuE3ELNS1_3repE0EEENS1_30default_config_static_selectorELNS0_4arch9wavefront6targetE0EEEvT1_,comdat
	.protected	_ZN7rocprim17ROCPRIM_400000_NS6detail17trampoline_kernelINS0_14default_configENS1_20scan_config_selectorIiEEZZNS1_9scan_implILNS1_25lookback_scan_determinismE0ELb0ELb0ES3_N6thrust23THRUST_200600_302600_NS6detail15normal_iteratorINS9_10device_ptrIiEEEESE_iNS9_4plusIvEEiEEDaPvRmT3_T4_T5_mT6_P12ihipStream_tbENKUlT_T0_E_clISt17integral_constantIbLb1EESU_EEDaSP_SQ_EUlSP_E_NS1_11comp_targetILNS1_3genE9ELNS1_11target_archE1100ELNS1_3gpuE3ELNS1_3repE0EEENS1_30default_config_static_selectorELNS0_4arch9wavefront6targetE0EEEvT1_ ; -- Begin function _ZN7rocprim17ROCPRIM_400000_NS6detail17trampoline_kernelINS0_14default_configENS1_20scan_config_selectorIiEEZZNS1_9scan_implILNS1_25lookback_scan_determinismE0ELb0ELb0ES3_N6thrust23THRUST_200600_302600_NS6detail15normal_iteratorINS9_10device_ptrIiEEEESE_iNS9_4plusIvEEiEEDaPvRmT3_T4_T5_mT6_P12ihipStream_tbENKUlT_T0_E_clISt17integral_constantIbLb1EESU_EEDaSP_SQ_EUlSP_E_NS1_11comp_targetILNS1_3genE9ELNS1_11target_archE1100ELNS1_3gpuE3ELNS1_3repE0EEENS1_30default_config_static_selectorELNS0_4arch9wavefront6targetE0EEEvT1_
	.globl	_ZN7rocprim17ROCPRIM_400000_NS6detail17trampoline_kernelINS0_14default_configENS1_20scan_config_selectorIiEEZZNS1_9scan_implILNS1_25lookback_scan_determinismE0ELb0ELb0ES3_N6thrust23THRUST_200600_302600_NS6detail15normal_iteratorINS9_10device_ptrIiEEEESE_iNS9_4plusIvEEiEEDaPvRmT3_T4_T5_mT6_P12ihipStream_tbENKUlT_T0_E_clISt17integral_constantIbLb1EESU_EEDaSP_SQ_EUlSP_E_NS1_11comp_targetILNS1_3genE9ELNS1_11target_archE1100ELNS1_3gpuE3ELNS1_3repE0EEENS1_30default_config_static_selectorELNS0_4arch9wavefront6targetE0EEEvT1_
	.p2align	8
	.type	_ZN7rocprim17ROCPRIM_400000_NS6detail17trampoline_kernelINS0_14default_configENS1_20scan_config_selectorIiEEZZNS1_9scan_implILNS1_25lookback_scan_determinismE0ELb0ELb0ES3_N6thrust23THRUST_200600_302600_NS6detail15normal_iteratorINS9_10device_ptrIiEEEESE_iNS9_4plusIvEEiEEDaPvRmT3_T4_T5_mT6_P12ihipStream_tbENKUlT_T0_E_clISt17integral_constantIbLb1EESU_EEDaSP_SQ_EUlSP_E_NS1_11comp_targetILNS1_3genE9ELNS1_11target_archE1100ELNS1_3gpuE3ELNS1_3repE0EEENS1_30default_config_static_selectorELNS0_4arch9wavefront6targetE0EEEvT1_,@function
_ZN7rocprim17ROCPRIM_400000_NS6detail17trampoline_kernelINS0_14default_configENS1_20scan_config_selectorIiEEZZNS1_9scan_implILNS1_25lookback_scan_determinismE0ELb0ELb0ES3_N6thrust23THRUST_200600_302600_NS6detail15normal_iteratorINS9_10device_ptrIiEEEESE_iNS9_4plusIvEEiEEDaPvRmT3_T4_T5_mT6_P12ihipStream_tbENKUlT_T0_E_clISt17integral_constantIbLb1EESU_EEDaSP_SQ_EUlSP_E_NS1_11comp_targetILNS1_3genE9ELNS1_11target_archE1100ELNS1_3gpuE3ELNS1_3repE0EEENS1_30default_config_static_selectorELNS0_4arch9wavefront6targetE0EEEvT1_: ; @_ZN7rocprim17ROCPRIM_400000_NS6detail17trampoline_kernelINS0_14default_configENS1_20scan_config_selectorIiEEZZNS1_9scan_implILNS1_25lookback_scan_determinismE0ELb0ELb0ES3_N6thrust23THRUST_200600_302600_NS6detail15normal_iteratorINS9_10device_ptrIiEEEESE_iNS9_4plusIvEEiEEDaPvRmT3_T4_T5_mT6_P12ihipStream_tbENKUlT_T0_E_clISt17integral_constantIbLb1EESU_EEDaSP_SQ_EUlSP_E_NS1_11comp_targetILNS1_3genE9ELNS1_11target_archE1100ELNS1_3gpuE3ELNS1_3repE0EEENS1_30default_config_static_selectorELNS0_4arch9wavefront6targetE0EEEvT1_
; %bb.0:
	.section	.rodata,"a",@progbits
	.p2align	6, 0x0
	.amdhsa_kernel _ZN7rocprim17ROCPRIM_400000_NS6detail17trampoline_kernelINS0_14default_configENS1_20scan_config_selectorIiEEZZNS1_9scan_implILNS1_25lookback_scan_determinismE0ELb0ELb0ES3_N6thrust23THRUST_200600_302600_NS6detail15normal_iteratorINS9_10device_ptrIiEEEESE_iNS9_4plusIvEEiEEDaPvRmT3_T4_T5_mT6_P12ihipStream_tbENKUlT_T0_E_clISt17integral_constantIbLb1EESU_EEDaSP_SQ_EUlSP_E_NS1_11comp_targetILNS1_3genE9ELNS1_11target_archE1100ELNS1_3gpuE3ELNS1_3repE0EEENS1_30default_config_static_selectorELNS0_4arch9wavefront6targetE0EEEvT1_
		.amdhsa_group_segment_fixed_size 0
		.amdhsa_private_segment_fixed_size 0
		.amdhsa_kernarg_size 96
		.amdhsa_user_sgpr_count 2
		.amdhsa_user_sgpr_dispatch_ptr 0
		.amdhsa_user_sgpr_queue_ptr 0
		.amdhsa_user_sgpr_kernarg_segment_ptr 1
		.amdhsa_user_sgpr_dispatch_id 0
		.amdhsa_user_sgpr_kernarg_preload_length 0
		.amdhsa_user_sgpr_kernarg_preload_offset 0
		.amdhsa_user_sgpr_private_segment_size 0
		.amdhsa_wavefront_size32 1
		.amdhsa_uses_dynamic_stack 0
		.amdhsa_enable_private_segment 0
		.amdhsa_system_sgpr_workgroup_id_x 1
		.amdhsa_system_sgpr_workgroup_id_y 0
		.amdhsa_system_sgpr_workgroup_id_z 0
		.amdhsa_system_sgpr_workgroup_info 0
		.amdhsa_system_vgpr_workitem_id 0
		.amdhsa_next_free_vgpr 1
		.amdhsa_next_free_sgpr 1
		.amdhsa_named_barrier_count 0
		.amdhsa_reserve_vcc 0
		.amdhsa_float_round_mode_32 0
		.amdhsa_float_round_mode_16_64 0
		.amdhsa_float_denorm_mode_32 3
		.amdhsa_float_denorm_mode_16_64 3
		.amdhsa_fp16_overflow 0
		.amdhsa_memory_ordered 1
		.amdhsa_forward_progress 1
		.amdhsa_inst_pref_size 0
		.amdhsa_round_robin_scheduling 0
		.amdhsa_exception_fp_ieee_invalid_op 0
		.amdhsa_exception_fp_denorm_src 0
		.amdhsa_exception_fp_ieee_div_zero 0
		.amdhsa_exception_fp_ieee_overflow 0
		.amdhsa_exception_fp_ieee_underflow 0
		.amdhsa_exception_fp_ieee_inexact 0
		.amdhsa_exception_int_div_zero 0
	.end_amdhsa_kernel
	.section	.text._ZN7rocprim17ROCPRIM_400000_NS6detail17trampoline_kernelINS0_14default_configENS1_20scan_config_selectorIiEEZZNS1_9scan_implILNS1_25lookback_scan_determinismE0ELb0ELb0ES3_N6thrust23THRUST_200600_302600_NS6detail15normal_iteratorINS9_10device_ptrIiEEEESE_iNS9_4plusIvEEiEEDaPvRmT3_T4_T5_mT6_P12ihipStream_tbENKUlT_T0_E_clISt17integral_constantIbLb1EESU_EEDaSP_SQ_EUlSP_E_NS1_11comp_targetILNS1_3genE9ELNS1_11target_archE1100ELNS1_3gpuE3ELNS1_3repE0EEENS1_30default_config_static_selectorELNS0_4arch9wavefront6targetE0EEEvT1_,"axG",@progbits,_ZN7rocprim17ROCPRIM_400000_NS6detail17trampoline_kernelINS0_14default_configENS1_20scan_config_selectorIiEEZZNS1_9scan_implILNS1_25lookback_scan_determinismE0ELb0ELb0ES3_N6thrust23THRUST_200600_302600_NS6detail15normal_iteratorINS9_10device_ptrIiEEEESE_iNS9_4plusIvEEiEEDaPvRmT3_T4_T5_mT6_P12ihipStream_tbENKUlT_T0_E_clISt17integral_constantIbLb1EESU_EEDaSP_SQ_EUlSP_E_NS1_11comp_targetILNS1_3genE9ELNS1_11target_archE1100ELNS1_3gpuE3ELNS1_3repE0EEENS1_30default_config_static_selectorELNS0_4arch9wavefront6targetE0EEEvT1_,comdat
.Lfunc_end35:
	.size	_ZN7rocprim17ROCPRIM_400000_NS6detail17trampoline_kernelINS0_14default_configENS1_20scan_config_selectorIiEEZZNS1_9scan_implILNS1_25lookback_scan_determinismE0ELb0ELb0ES3_N6thrust23THRUST_200600_302600_NS6detail15normal_iteratorINS9_10device_ptrIiEEEESE_iNS9_4plusIvEEiEEDaPvRmT3_T4_T5_mT6_P12ihipStream_tbENKUlT_T0_E_clISt17integral_constantIbLb1EESU_EEDaSP_SQ_EUlSP_E_NS1_11comp_targetILNS1_3genE9ELNS1_11target_archE1100ELNS1_3gpuE3ELNS1_3repE0EEENS1_30default_config_static_selectorELNS0_4arch9wavefront6targetE0EEEvT1_, .Lfunc_end35-_ZN7rocprim17ROCPRIM_400000_NS6detail17trampoline_kernelINS0_14default_configENS1_20scan_config_selectorIiEEZZNS1_9scan_implILNS1_25lookback_scan_determinismE0ELb0ELb0ES3_N6thrust23THRUST_200600_302600_NS6detail15normal_iteratorINS9_10device_ptrIiEEEESE_iNS9_4plusIvEEiEEDaPvRmT3_T4_T5_mT6_P12ihipStream_tbENKUlT_T0_E_clISt17integral_constantIbLb1EESU_EEDaSP_SQ_EUlSP_E_NS1_11comp_targetILNS1_3genE9ELNS1_11target_archE1100ELNS1_3gpuE3ELNS1_3repE0EEENS1_30default_config_static_selectorELNS0_4arch9wavefront6targetE0EEEvT1_
                                        ; -- End function
	.set _ZN7rocprim17ROCPRIM_400000_NS6detail17trampoline_kernelINS0_14default_configENS1_20scan_config_selectorIiEEZZNS1_9scan_implILNS1_25lookback_scan_determinismE0ELb0ELb0ES3_N6thrust23THRUST_200600_302600_NS6detail15normal_iteratorINS9_10device_ptrIiEEEESE_iNS9_4plusIvEEiEEDaPvRmT3_T4_T5_mT6_P12ihipStream_tbENKUlT_T0_E_clISt17integral_constantIbLb1EESU_EEDaSP_SQ_EUlSP_E_NS1_11comp_targetILNS1_3genE9ELNS1_11target_archE1100ELNS1_3gpuE3ELNS1_3repE0EEENS1_30default_config_static_selectorELNS0_4arch9wavefront6targetE0EEEvT1_.num_vgpr, 0
	.set _ZN7rocprim17ROCPRIM_400000_NS6detail17trampoline_kernelINS0_14default_configENS1_20scan_config_selectorIiEEZZNS1_9scan_implILNS1_25lookback_scan_determinismE0ELb0ELb0ES3_N6thrust23THRUST_200600_302600_NS6detail15normal_iteratorINS9_10device_ptrIiEEEESE_iNS9_4plusIvEEiEEDaPvRmT3_T4_T5_mT6_P12ihipStream_tbENKUlT_T0_E_clISt17integral_constantIbLb1EESU_EEDaSP_SQ_EUlSP_E_NS1_11comp_targetILNS1_3genE9ELNS1_11target_archE1100ELNS1_3gpuE3ELNS1_3repE0EEENS1_30default_config_static_selectorELNS0_4arch9wavefront6targetE0EEEvT1_.num_agpr, 0
	.set _ZN7rocprim17ROCPRIM_400000_NS6detail17trampoline_kernelINS0_14default_configENS1_20scan_config_selectorIiEEZZNS1_9scan_implILNS1_25lookback_scan_determinismE0ELb0ELb0ES3_N6thrust23THRUST_200600_302600_NS6detail15normal_iteratorINS9_10device_ptrIiEEEESE_iNS9_4plusIvEEiEEDaPvRmT3_T4_T5_mT6_P12ihipStream_tbENKUlT_T0_E_clISt17integral_constantIbLb1EESU_EEDaSP_SQ_EUlSP_E_NS1_11comp_targetILNS1_3genE9ELNS1_11target_archE1100ELNS1_3gpuE3ELNS1_3repE0EEENS1_30default_config_static_selectorELNS0_4arch9wavefront6targetE0EEEvT1_.numbered_sgpr, 0
	.set _ZN7rocprim17ROCPRIM_400000_NS6detail17trampoline_kernelINS0_14default_configENS1_20scan_config_selectorIiEEZZNS1_9scan_implILNS1_25lookback_scan_determinismE0ELb0ELb0ES3_N6thrust23THRUST_200600_302600_NS6detail15normal_iteratorINS9_10device_ptrIiEEEESE_iNS9_4plusIvEEiEEDaPvRmT3_T4_T5_mT6_P12ihipStream_tbENKUlT_T0_E_clISt17integral_constantIbLb1EESU_EEDaSP_SQ_EUlSP_E_NS1_11comp_targetILNS1_3genE9ELNS1_11target_archE1100ELNS1_3gpuE3ELNS1_3repE0EEENS1_30default_config_static_selectorELNS0_4arch9wavefront6targetE0EEEvT1_.num_named_barrier, 0
	.set _ZN7rocprim17ROCPRIM_400000_NS6detail17trampoline_kernelINS0_14default_configENS1_20scan_config_selectorIiEEZZNS1_9scan_implILNS1_25lookback_scan_determinismE0ELb0ELb0ES3_N6thrust23THRUST_200600_302600_NS6detail15normal_iteratorINS9_10device_ptrIiEEEESE_iNS9_4plusIvEEiEEDaPvRmT3_T4_T5_mT6_P12ihipStream_tbENKUlT_T0_E_clISt17integral_constantIbLb1EESU_EEDaSP_SQ_EUlSP_E_NS1_11comp_targetILNS1_3genE9ELNS1_11target_archE1100ELNS1_3gpuE3ELNS1_3repE0EEENS1_30default_config_static_selectorELNS0_4arch9wavefront6targetE0EEEvT1_.private_seg_size, 0
	.set _ZN7rocprim17ROCPRIM_400000_NS6detail17trampoline_kernelINS0_14default_configENS1_20scan_config_selectorIiEEZZNS1_9scan_implILNS1_25lookback_scan_determinismE0ELb0ELb0ES3_N6thrust23THRUST_200600_302600_NS6detail15normal_iteratorINS9_10device_ptrIiEEEESE_iNS9_4plusIvEEiEEDaPvRmT3_T4_T5_mT6_P12ihipStream_tbENKUlT_T0_E_clISt17integral_constantIbLb1EESU_EEDaSP_SQ_EUlSP_E_NS1_11comp_targetILNS1_3genE9ELNS1_11target_archE1100ELNS1_3gpuE3ELNS1_3repE0EEENS1_30default_config_static_selectorELNS0_4arch9wavefront6targetE0EEEvT1_.uses_vcc, 0
	.set _ZN7rocprim17ROCPRIM_400000_NS6detail17trampoline_kernelINS0_14default_configENS1_20scan_config_selectorIiEEZZNS1_9scan_implILNS1_25lookback_scan_determinismE0ELb0ELb0ES3_N6thrust23THRUST_200600_302600_NS6detail15normal_iteratorINS9_10device_ptrIiEEEESE_iNS9_4plusIvEEiEEDaPvRmT3_T4_T5_mT6_P12ihipStream_tbENKUlT_T0_E_clISt17integral_constantIbLb1EESU_EEDaSP_SQ_EUlSP_E_NS1_11comp_targetILNS1_3genE9ELNS1_11target_archE1100ELNS1_3gpuE3ELNS1_3repE0EEENS1_30default_config_static_selectorELNS0_4arch9wavefront6targetE0EEEvT1_.uses_flat_scratch, 0
	.set _ZN7rocprim17ROCPRIM_400000_NS6detail17trampoline_kernelINS0_14default_configENS1_20scan_config_selectorIiEEZZNS1_9scan_implILNS1_25lookback_scan_determinismE0ELb0ELb0ES3_N6thrust23THRUST_200600_302600_NS6detail15normal_iteratorINS9_10device_ptrIiEEEESE_iNS9_4plusIvEEiEEDaPvRmT3_T4_T5_mT6_P12ihipStream_tbENKUlT_T0_E_clISt17integral_constantIbLb1EESU_EEDaSP_SQ_EUlSP_E_NS1_11comp_targetILNS1_3genE9ELNS1_11target_archE1100ELNS1_3gpuE3ELNS1_3repE0EEENS1_30default_config_static_selectorELNS0_4arch9wavefront6targetE0EEEvT1_.has_dyn_sized_stack, 0
	.set _ZN7rocprim17ROCPRIM_400000_NS6detail17trampoline_kernelINS0_14default_configENS1_20scan_config_selectorIiEEZZNS1_9scan_implILNS1_25lookback_scan_determinismE0ELb0ELb0ES3_N6thrust23THRUST_200600_302600_NS6detail15normal_iteratorINS9_10device_ptrIiEEEESE_iNS9_4plusIvEEiEEDaPvRmT3_T4_T5_mT6_P12ihipStream_tbENKUlT_T0_E_clISt17integral_constantIbLb1EESU_EEDaSP_SQ_EUlSP_E_NS1_11comp_targetILNS1_3genE9ELNS1_11target_archE1100ELNS1_3gpuE3ELNS1_3repE0EEENS1_30default_config_static_selectorELNS0_4arch9wavefront6targetE0EEEvT1_.has_recursion, 0
	.set _ZN7rocprim17ROCPRIM_400000_NS6detail17trampoline_kernelINS0_14default_configENS1_20scan_config_selectorIiEEZZNS1_9scan_implILNS1_25lookback_scan_determinismE0ELb0ELb0ES3_N6thrust23THRUST_200600_302600_NS6detail15normal_iteratorINS9_10device_ptrIiEEEESE_iNS9_4plusIvEEiEEDaPvRmT3_T4_T5_mT6_P12ihipStream_tbENKUlT_T0_E_clISt17integral_constantIbLb1EESU_EEDaSP_SQ_EUlSP_E_NS1_11comp_targetILNS1_3genE9ELNS1_11target_archE1100ELNS1_3gpuE3ELNS1_3repE0EEENS1_30default_config_static_selectorELNS0_4arch9wavefront6targetE0EEEvT1_.has_indirect_call, 0
	.section	.AMDGPU.csdata,"",@progbits
; Kernel info:
; codeLenInByte = 0
; TotalNumSgprs: 0
; NumVgprs: 0
; ScratchSize: 0
; MemoryBound: 0
; FloatMode: 240
; IeeeMode: 1
; LDSByteSize: 0 bytes/workgroup (compile time only)
; SGPRBlocks: 0
; VGPRBlocks: 0
; NumSGPRsForWavesPerEU: 1
; NumVGPRsForWavesPerEU: 1
; NamedBarCnt: 0
; Occupancy: 16
; WaveLimiterHint : 0
; COMPUTE_PGM_RSRC2:SCRATCH_EN: 0
; COMPUTE_PGM_RSRC2:USER_SGPR: 2
; COMPUTE_PGM_RSRC2:TRAP_HANDLER: 0
; COMPUTE_PGM_RSRC2:TGID_X_EN: 1
; COMPUTE_PGM_RSRC2:TGID_Y_EN: 0
; COMPUTE_PGM_RSRC2:TGID_Z_EN: 0
; COMPUTE_PGM_RSRC2:TIDIG_COMP_CNT: 0
	.section	.text._ZN7rocprim17ROCPRIM_400000_NS6detail17trampoline_kernelINS0_14default_configENS1_20scan_config_selectorIiEEZZNS1_9scan_implILNS1_25lookback_scan_determinismE0ELb0ELb0ES3_N6thrust23THRUST_200600_302600_NS6detail15normal_iteratorINS9_10device_ptrIiEEEESE_iNS9_4plusIvEEiEEDaPvRmT3_T4_T5_mT6_P12ihipStream_tbENKUlT_T0_E_clISt17integral_constantIbLb1EESU_EEDaSP_SQ_EUlSP_E_NS1_11comp_targetILNS1_3genE8ELNS1_11target_archE1030ELNS1_3gpuE2ELNS1_3repE0EEENS1_30default_config_static_selectorELNS0_4arch9wavefront6targetE0EEEvT1_,"axG",@progbits,_ZN7rocprim17ROCPRIM_400000_NS6detail17trampoline_kernelINS0_14default_configENS1_20scan_config_selectorIiEEZZNS1_9scan_implILNS1_25lookback_scan_determinismE0ELb0ELb0ES3_N6thrust23THRUST_200600_302600_NS6detail15normal_iteratorINS9_10device_ptrIiEEEESE_iNS9_4plusIvEEiEEDaPvRmT3_T4_T5_mT6_P12ihipStream_tbENKUlT_T0_E_clISt17integral_constantIbLb1EESU_EEDaSP_SQ_EUlSP_E_NS1_11comp_targetILNS1_3genE8ELNS1_11target_archE1030ELNS1_3gpuE2ELNS1_3repE0EEENS1_30default_config_static_selectorELNS0_4arch9wavefront6targetE0EEEvT1_,comdat
	.protected	_ZN7rocprim17ROCPRIM_400000_NS6detail17trampoline_kernelINS0_14default_configENS1_20scan_config_selectorIiEEZZNS1_9scan_implILNS1_25lookback_scan_determinismE0ELb0ELb0ES3_N6thrust23THRUST_200600_302600_NS6detail15normal_iteratorINS9_10device_ptrIiEEEESE_iNS9_4plusIvEEiEEDaPvRmT3_T4_T5_mT6_P12ihipStream_tbENKUlT_T0_E_clISt17integral_constantIbLb1EESU_EEDaSP_SQ_EUlSP_E_NS1_11comp_targetILNS1_3genE8ELNS1_11target_archE1030ELNS1_3gpuE2ELNS1_3repE0EEENS1_30default_config_static_selectorELNS0_4arch9wavefront6targetE0EEEvT1_ ; -- Begin function _ZN7rocprim17ROCPRIM_400000_NS6detail17trampoline_kernelINS0_14default_configENS1_20scan_config_selectorIiEEZZNS1_9scan_implILNS1_25lookback_scan_determinismE0ELb0ELb0ES3_N6thrust23THRUST_200600_302600_NS6detail15normal_iteratorINS9_10device_ptrIiEEEESE_iNS9_4plusIvEEiEEDaPvRmT3_T4_T5_mT6_P12ihipStream_tbENKUlT_T0_E_clISt17integral_constantIbLb1EESU_EEDaSP_SQ_EUlSP_E_NS1_11comp_targetILNS1_3genE8ELNS1_11target_archE1030ELNS1_3gpuE2ELNS1_3repE0EEENS1_30default_config_static_selectorELNS0_4arch9wavefront6targetE0EEEvT1_
	.globl	_ZN7rocprim17ROCPRIM_400000_NS6detail17trampoline_kernelINS0_14default_configENS1_20scan_config_selectorIiEEZZNS1_9scan_implILNS1_25lookback_scan_determinismE0ELb0ELb0ES3_N6thrust23THRUST_200600_302600_NS6detail15normal_iteratorINS9_10device_ptrIiEEEESE_iNS9_4plusIvEEiEEDaPvRmT3_T4_T5_mT6_P12ihipStream_tbENKUlT_T0_E_clISt17integral_constantIbLb1EESU_EEDaSP_SQ_EUlSP_E_NS1_11comp_targetILNS1_3genE8ELNS1_11target_archE1030ELNS1_3gpuE2ELNS1_3repE0EEENS1_30default_config_static_selectorELNS0_4arch9wavefront6targetE0EEEvT1_
	.p2align	8
	.type	_ZN7rocprim17ROCPRIM_400000_NS6detail17trampoline_kernelINS0_14default_configENS1_20scan_config_selectorIiEEZZNS1_9scan_implILNS1_25lookback_scan_determinismE0ELb0ELb0ES3_N6thrust23THRUST_200600_302600_NS6detail15normal_iteratorINS9_10device_ptrIiEEEESE_iNS9_4plusIvEEiEEDaPvRmT3_T4_T5_mT6_P12ihipStream_tbENKUlT_T0_E_clISt17integral_constantIbLb1EESU_EEDaSP_SQ_EUlSP_E_NS1_11comp_targetILNS1_3genE8ELNS1_11target_archE1030ELNS1_3gpuE2ELNS1_3repE0EEENS1_30default_config_static_selectorELNS0_4arch9wavefront6targetE0EEEvT1_,@function
_ZN7rocprim17ROCPRIM_400000_NS6detail17trampoline_kernelINS0_14default_configENS1_20scan_config_selectorIiEEZZNS1_9scan_implILNS1_25lookback_scan_determinismE0ELb0ELb0ES3_N6thrust23THRUST_200600_302600_NS6detail15normal_iteratorINS9_10device_ptrIiEEEESE_iNS9_4plusIvEEiEEDaPvRmT3_T4_T5_mT6_P12ihipStream_tbENKUlT_T0_E_clISt17integral_constantIbLb1EESU_EEDaSP_SQ_EUlSP_E_NS1_11comp_targetILNS1_3genE8ELNS1_11target_archE1030ELNS1_3gpuE2ELNS1_3repE0EEENS1_30default_config_static_selectorELNS0_4arch9wavefront6targetE0EEEvT1_: ; @_ZN7rocprim17ROCPRIM_400000_NS6detail17trampoline_kernelINS0_14default_configENS1_20scan_config_selectorIiEEZZNS1_9scan_implILNS1_25lookback_scan_determinismE0ELb0ELb0ES3_N6thrust23THRUST_200600_302600_NS6detail15normal_iteratorINS9_10device_ptrIiEEEESE_iNS9_4plusIvEEiEEDaPvRmT3_T4_T5_mT6_P12ihipStream_tbENKUlT_T0_E_clISt17integral_constantIbLb1EESU_EEDaSP_SQ_EUlSP_E_NS1_11comp_targetILNS1_3genE8ELNS1_11target_archE1030ELNS1_3gpuE2ELNS1_3repE0EEENS1_30default_config_static_selectorELNS0_4arch9wavefront6targetE0EEEvT1_
; %bb.0:
	.section	.rodata,"a",@progbits
	.p2align	6, 0x0
	.amdhsa_kernel _ZN7rocprim17ROCPRIM_400000_NS6detail17trampoline_kernelINS0_14default_configENS1_20scan_config_selectorIiEEZZNS1_9scan_implILNS1_25lookback_scan_determinismE0ELb0ELb0ES3_N6thrust23THRUST_200600_302600_NS6detail15normal_iteratorINS9_10device_ptrIiEEEESE_iNS9_4plusIvEEiEEDaPvRmT3_T4_T5_mT6_P12ihipStream_tbENKUlT_T0_E_clISt17integral_constantIbLb1EESU_EEDaSP_SQ_EUlSP_E_NS1_11comp_targetILNS1_3genE8ELNS1_11target_archE1030ELNS1_3gpuE2ELNS1_3repE0EEENS1_30default_config_static_selectorELNS0_4arch9wavefront6targetE0EEEvT1_
		.amdhsa_group_segment_fixed_size 0
		.amdhsa_private_segment_fixed_size 0
		.amdhsa_kernarg_size 96
		.amdhsa_user_sgpr_count 2
		.amdhsa_user_sgpr_dispatch_ptr 0
		.amdhsa_user_sgpr_queue_ptr 0
		.amdhsa_user_sgpr_kernarg_segment_ptr 1
		.amdhsa_user_sgpr_dispatch_id 0
		.amdhsa_user_sgpr_kernarg_preload_length 0
		.amdhsa_user_sgpr_kernarg_preload_offset 0
		.amdhsa_user_sgpr_private_segment_size 0
		.amdhsa_wavefront_size32 1
		.amdhsa_uses_dynamic_stack 0
		.amdhsa_enable_private_segment 0
		.amdhsa_system_sgpr_workgroup_id_x 1
		.amdhsa_system_sgpr_workgroup_id_y 0
		.amdhsa_system_sgpr_workgroup_id_z 0
		.amdhsa_system_sgpr_workgroup_info 0
		.amdhsa_system_vgpr_workitem_id 0
		.amdhsa_next_free_vgpr 1
		.amdhsa_next_free_sgpr 1
		.amdhsa_named_barrier_count 0
		.amdhsa_reserve_vcc 0
		.amdhsa_float_round_mode_32 0
		.amdhsa_float_round_mode_16_64 0
		.amdhsa_float_denorm_mode_32 3
		.amdhsa_float_denorm_mode_16_64 3
		.amdhsa_fp16_overflow 0
		.amdhsa_memory_ordered 1
		.amdhsa_forward_progress 1
		.amdhsa_inst_pref_size 0
		.amdhsa_round_robin_scheduling 0
		.amdhsa_exception_fp_ieee_invalid_op 0
		.amdhsa_exception_fp_denorm_src 0
		.amdhsa_exception_fp_ieee_div_zero 0
		.amdhsa_exception_fp_ieee_overflow 0
		.amdhsa_exception_fp_ieee_underflow 0
		.amdhsa_exception_fp_ieee_inexact 0
		.amdhsa_exception_int_div_zero 0
	.end_amdhsa_kernel
	.section	.text._ZN7rocprim17ROCPRIM_400000_NS6detail17trampoline_kernelINS0_14default_configENS1_20scan_config_selectorIiEEZZNS1_9scan_implILNS1_25lookback_scan_determinismE0ELb0ELb0ES3_N6thrust23THRUST_200600_302600_NS6detail15normal_iteratorINS9_10device_ptrIiEEEESE_iNS9_4plusIvEEiEEDaPvRmT3_T4_T5_mT6_P12ihipStream_tbENKUlT_T0_E_clISt17integral_constantIbLb1EESU_EEDaSP_SQ_EUlSP_E_NS1_11comp_targetILNS1_3genE8ELNS1_11target_archE1030ELNS1_3gpuE2ELNS1_3repE0EEENS1_30default_config_static_selectorELNS0_4arch9wavefront6targetE0EEEvT1_,"axG",@progbits,_ZN7rocprim17ROCPRIM_400000_NS6detail17trampoline_kernelINS0_14default_configENS1_20scan_config_selectorIiEEZZNS1_9scan_implILNS1_25lookback_scan_determinismE0ELb0ELb0ES3_N6thrust23THRUST_200600_302600_NS6detail15normal_iteratorINS9_10device_ptrIiEEEESE_iNS9_4plusIvEEiEEDaPvRmT3_T4_T5_mT6_P12ihipStream_tbENKUlT_T0_E_clISt17integral_constantIbLb1EESU_EEDaSP_SQ_EUlSP_E_NS1_11comp_targetILNS1_3genE8ELNS1_11target_archE1030ELNS1_3gpuE2ELNS1_3repE0EEENS1_30default_config_static_selectorELNS0_4arch9wavefront6targetE0EEEvT1_,comdat
.Lfunc_end36:
	.size	_ZN7rocprim17ROCPRIM_400000_NS6detail17trampoline_kernelINS0_14default_configENS1_20scan_config_selectorIiEEZZNS1_9scan_implILNS1_25lookback_scan_determinismE0ELb0ELb0ES3_N6thrust23THRUST_200600_302600_NS6detail15normal_iteratorINS9_10device_ptrIiEEEESE_iNS9_4plusIvEEiEEDaPvRmT3_T4_T5_mT6_P12ihipStream_tbENKUlT_T0_E_clISt17integral_constantIbLb1EESU_EEDaSP_SQ_EUlSP_E_NS1_11comp_targetILNS1_3genE8ELNS1_11target_archE1030ELNS1_3gpuE2ELNS1_3repE0EEENS1_30default_config_static_selectorELNS0_4arch9wavefront6targetE0EEEvT1_, .Lfunc_end36-_ZN7rocprim17ROCPRIM_400000_NS6detail17trampoline_kernelINS0_14default_configENS1_20scan_config_selectorIiEEZZNS1_9scan_implILNS1_25lookback_scan_determinismE0ELb0ELb0ES3_N6thrust23THRUST_200600_302600_NS6detail15normal_iteratorINS9_10device_ptrIiEEEESE_iNS9_4plusIvEEiEEDaPvRmT3_T4_T5_mT6_P12ihipStream_tbENKUlT_T0_E_clISt17integral_constantIbLb1EESU_EEDaSP_SQ_EUlSP_E_NS1_11comp_targetILNS1_3genE8ELNS1_11target_archE1030ELNS1_3gpuE2ELNS1_3repE0EEENS1_30default_config_static_selectorELNS0_4arch9wavefront6targetE0EEEvT1_
                                        ; -- End function
	.set _ZN7rocprim17ROCPRIM_400000_NS6detail17trampoline_kernelINS0_14default_configENS1_20scan_config_selectorIiEEZZNS1_9scan_implILNS1_25lookback_scan_determinismE0ELb0ELb0ES3_N6thrust23THRUST_200600_302600_NS6detail15normal_iteratorINS9_10device_ptrIiEEEESE_iNS9_4plusIvEEiEEDaPvRmT3_T4_T5_mT6_P12ihipStream_tbENKUlT_T0_E_clISt17integral_constantIbLb1EESU_EEDaSP_SQ_EUlSP_E_NS1_11comp_targetILNS1_3genE8ELNS1_11target_archE1030ELNS1_3gpuE2ELNS1_3repE0EEENS1_30default_config_static_selectorELNS0_4arch9wavefront6targetE0EEEvT1_.num_vgpr, 0
	.set _ZN7rocprim17ROCPRIM_400000_NS6detail17trampoline_kernelINS0_14default_configENS1_20scan_config_selectorIiEEZZNS1_9scan_implILNS1_25lookback_scan_determinismE0ELb0ELb0ES3_N6thrust23THRUST_200600_302600_NS6detail15normal_iteratorINS9_10device_ptrIiEEEESE_iNS9_4plusIvEEiEEDaPvRmT3_T4_T5_mT6_P12ihipStream_tbENKUlT_T0_E_clISt17integral_constantIbLb1EESU_EEDaSP_SQ_EUlSP_E_NS1_11comp_targetILNS1_3genE8ELNS1_11target_archE1030ELNS1_3gpuE2ELNS1_3repE0EEENS1_30default_config_static_selectorELNS0_4arch9wavefront6targetE0EEEvT1_.num_agpr, 0
	.set _ZN7rocprim17ROCPRIM_400000_NS6detail17trampoline_kernelINS0_14default_configENS1_20scan_config_selectorIiEEZZNS1_9scan_implILNS1_25lookback_scan_determinismE0ELb0ELb0ES3_N6thrust23THRUST_200600_302600_NS6detail15normal_iteratorINS9_10device_ptrIiEEEESE_iNS9_4plusIvEEiEEDaPvRmT3_T4_T5_mT6_P12ihipStream_tbENKUlT_T0_E_clISt17integral_constantIbLb1EESU_EEDaSP_SQ_EUlSP_E_NS1_11comp_targetILNS1_3genE8ELNS1_11target_archE1030ELNS1_3gpuE2ELNS1_3repE0EEENS1_30default_config_static_selectorELNS0_4arch9wavefront6targetE0EEEvT1_.numbered_sgpr, 0
	.set _ZN7rocprim17ROCPRIM_400000_NS6detail17trampoline_kernelINS0_14default_configENS1_20scan_config_selectorIiEEZZNS1_9scan_implILNS1_25lookback_scan_determinismE0ELb0ELb0ES3_N6thrust23THRUST_200600_302600_NS6detail15normal_iteratorINS9_10device_ptrIiEEEESE_iNS9_4plusIvEEiEEDaPvRmT3_T4_T5_mT6_P12ihipStream_tbENKUlT_T0_E_clISt17integral_constantIbLb1EESU_EEDaSP_SQ_EUlSP_E_NS1_11comp_targetILNS1_3genE8ELNS1_11target_archE1030ELNS1_3gpuE2ELNS1_3repE0EEENS1_30default_config_static_selectorELNS0_4arch9wavefront6targetE0EEEvT1_.num_named_barrier, 0
	.set _ZN7rocprim17ROCPRIM_400000_NS6detail17trampoline_kernelINS0_14default_configENS1_20scan_config_selectorIiEEZZNS1_9scan_implILNS1_25lookback_scan_determinismE0ELb0ELb0ES3_N6thrust23THRUST_200600_302600_NS6detail15normal_iteratorINS9_10device_ptrIiEEEESE_iNS9_4plusIvEEiEEDaPvRmT3_T4_T5_mT6_P12ihipStream_tbENKUlT_T0_E_clISt17integral_constantIbLb1EESU_EEDaSP_SQ_EUlSP_E_NS1_11comp_targetILNS1_3genE8ELNS1_11target_archE1030ELNS1_3gpuE2ELNS1_3repE0EEENS1_30default_config_static_selectorELNS0_4arch9wavefront6targetE0EEEvT1_.private_seg_size, 0
	.set _ZN7rocprim17ROCPRIM_400000_NS6detail17trampoline_kernelINS0_14default_configENS1_20scan_config_selectorIiEEZZNS1_9scan_implILNS1_25lookback_scan_determinismE0ELb0ELb0ES3_N6thrust23THRUST_200600_302600_NS6detail15normal_iteratorINS9_10device_ptrIiEEEESE_iNS9_4plusIvEEiEEDaPvRmT3_T4_T5_mT6_P12ihipStream_tbENKUlT_T0_E_clISt17integral_constantIbLb1EESU_EEDaSP_SQ_EUlSP_E_NS1_11comp_targetILNS1_3genE8ELNS1_11target_archE1030ELNS1_3gpuE2ELNS1_3repE0EEENS1_30default_config_static_selectorELNS0_4arch9wavefront6targetE0EEEvT1_.uses_vcc, 0
	.set _ZN7rocprim17ROCPRIM_400000_NS6detail17trampoline_kernelINS0_14default_configENS1_20scan_config_selectorIiEEZZNS1_9scan_implILNS1_25lookback_scan_determinismE0ELb0ELb0ES3_N6thrust23THRUST_200600_302600_NS6detail15normal_iteratorINS9_10device_ptrIiEEEESE_iNS9_4plusIvEEiEEDaPvRmT3_T4_T5_mT6_P12ihipStream_tbENKUlT_T0_E_clISt17integral_constantIbLb1EESU_EEDaSP_SQ_EUlSP_E_NS1_11comp_targetILNS1_3genE8ELNS1_11target_archE1030ELNS1_3gpuE2ELNS1_3repE0EEENS1_30default_config_static_selectorELNS0_4arch9wavefront6targetE0EEEvT1_.uses_flat_scratch, 0
	.set _ZN7rocprim17ROCPRIM_400000_NS6detail17trampoline_kernelINS0_14default_configENS1_20scan_config_selectorIiEEZZNS1_9scan_implILNS1_25lookback_scan_determinismE0ELb0ELb0ES3_N6thrust23THRUST_200600_302600_NS6detail15normal_iteratorINS9_10device_ptrIiEEEESE_iNS9_4plusIvEEiEEDaPvRmT3_T4_T5_mT6_P12ihipStream_tbENKUlT_T0_E_clISt17integral_constantIbLb1EESU_EEDaSP_SQ_EUlSP_E_NS1_11comp_targetILNS1_3genE8ELNS1_11target_archE1030ELNS1_3gpuE2ELNS1_3repE0EEENS1_30default_config_static_selectorELNS0_4arch9wavefront6targetE0EEEvT1_.has_dyn_sized_stack, 0
	.set _ZN7rocprim17ROCPRIM_400000_NS6detail17trampoline_kernelINS0_14default_configENS1_20scan_config_selectorIiEEZZNS1_9scan_implILNS1_25lookback_scan_determinismE0ELb0ELb0ES3_N6thrust23THRUST_200600_302600_NS6detail15normal_iteratorINS9_10device_ptrIiEEEESE_iNS9_4plusIvEEiEEDaPvRmT3_T4_T5_mT6_P12ihipStream_tbENKUlT_T0_E_clISt17integral_constantIbLb1EESU_EEDaSP_SQ_EUlSP_E_NS1_11comp_targetILNS1_3genE8ELNS1_11target_archE1030ELNS1_3gpuE2ELNS1_3repE0EEENS1_30default_config_static_selectorELNS0_4arch9wavefront6targetE0EEEvT1_.has_recursion, 0
	.set _ZN7rocprim17ROCPRIM_400000_NS6detail17trampoline_kernelINS0_14default_configENS1_20scan_config_selectorIiEEZZNS1_9scan_implILNS1_25lookback_scan_determinismE0ELb0ELb0ES3_N6thrust23THRUST_200600_302600_NS6detail15normal_iteratorINS9_10device_ptrIiEEEESE_iNS9_4plusIvEEiEEDaPvRmT3_T4_T5_mT6_P12ihipStream_tbENKUlT_T0_E_clISt17integral_constantIbLb1EESU_EEDaSP_SQ_EUlSP_E_NS1_11comp_targetILNS1_3genE8ELNS1_11target_archE1030ELNS1_3gpuE2ELNS1_3repE0EEENS1_30default_config_static_selectorELNS0_4arch9wavefront6targetE0EEEvT1_.has_indirect_call, 0
	.section	.AMDGPU.csdata,"",@progbits
; Kernel info:
; codeLenInByte = 0
; TotalNumSgprs: 0
; NumVgprs: 0
; ScratchSize: 0
; MemoryBound: 0
; FloatMode: 240
; IeeeMode: 1
; LDSByteSize: 0 bytes/workgroup (compile time only)
; SGPRBlocks: 0
; VGPRBlocks: 0
; NumSGPRsForWavesPerEU: 1
; NumVGPRsForWavesPerEU: 1
; NamedBarCnt: 0
; Occupancy: 16
; WaveLimiterHint : 0
; COMPUTE_PGM_RSRC2:SCRATCH_EN: 0
; COMPUTE_PGM_RSRC2:USER_SGPR: 2
; COMPUTE_PGM_RSRC2:TRAP_HANDLER: 0
; COMPUTE_PGM_RSRC2:TGID_X_EN: 1
; COMPUTE_PGM_RSRC2:TGID_Y_EN: 0
; COMPUTE_PGM_RSRC2:TGID_Z_EN: 0
; COMPUTE_PGM_RSRC2:TIDIG_COMP_CNT: 0
	.section	.text._ZN7rocprim17ROCPRIM_400000_NS6detail17trampoline_kernelINS0_14default_configENS1_20scan_config_selectorIiEEZZNS1_9scan_implILNS1_25lookback_scan_determinismE0ELb0ELb0ES3_N6thrust23THRUST_200600_302600_NS6detail15normal_iteratorINS9_10device_ptrIiEEEESE_iNS9_4plusIvEEiEEDaPvRmT3_T4_T5_mT6_P12ihipStream_tbENKUlT_T0_E_clISt17integral_constantIbLb1EESU_EEDaSP_SQ_EUlSP_E0_NS1_11comp_targetILNS1_3genE0ELNS1_11target_archE4294967295ELNS1_3gpuE0ELNS1_3repE0EEENS1_30default_config_static_selectorELNS0_4arch9wavefront6targetE0EEEvT1_,"axG",@progbits,_ZN7rocprim17ROCPRIM_400000_NS6detail17trampoline_kernelINS0_14default_configENS1_20scan_config_selectorIiEEZZNS1_9scan_implILNS1_25lookback_scan_determinismE0ELb0ELb0ES3_N6thrust23THRUST_200600_302600_NS6detail15normal_iteratorINS9_10device_ptrIiEEEESE_iNS9_4plusIvEEiEEDaPvRmT3_T4_T5_mT6_P12ihipStream_tbENKUlT_T0_E_clISt17integral_constantIbLb1EESU_EEDaSP_SQ_EUlSP_E0_NS1_11comp_targetILNS1_3genE0ELNS1_11target_archE4294967295ELNS1_3gpuE0ELNS1_3repE0EEENS1_30default_config_static_selectorELNS0_4arch9wavefront6targetE0EEEvT1_,comdat
	.protected	_ZN7rocprim17ROCPRIM_400000_NS6detail17trampoline_kernelINS0_14default_configENS1_20scan_config_selectorIiEEZZNS1_9scan_implILNS1_25lookback_scan_determinismE0ELb0ELb0ES3_N6thrust23THRUST_200600_302600_NS6detail15normal_iteratorINS9_10device_ptrIiEEEESE_iNS9_4plusIvEEiEEDaPvRmT3_T4_T5_mT6_P12ihipStream_tbENKUlT_T0_E_clISt17integral_constantIbLb1EESU_EEDaSP_SQ_EUlSP_E0_NS1_11comp_targetILNS1_3genE0ELNS1_11target_archE4294967295ELNS1_3gpuE0ELNS1_3repE0EEENS1_30default_config_static_selectorELNS0_4arch9wavefront6targetE0EEEvT1_ ; -- Begin function _ZN7rocprim17ROCPRIM_400000_NS6detail17trampoline_kernelINS0_14default_configENS1_20scan_config_selectorIiEEZZNS1_9scan_implILNS1_25lookback_scan_determinismE0ELb0ELb0ES3_N6thrust23THRUST_200600_302600_NS6detail15normal_iteratorINS9_10device_ptrIiEEEESE_iNS9_4plusIvEEiEEDaPvRmT3_T4_T5_mT6_P12ihipStream_tbENKUlT_T0_E_clISt17integral_constantIbLb1EESU_EEDaSP_SQ_EUlSP_E0_NS1_11comp_targetILNS1_3genE0ELNS1_11target_archE4294967295ELNS1_3gpuE0ELNS1_3repE0EEENS1_30default_config_static_selectorELNS0_4arch9wavefront6targetE0EEEvT1_
	.globl	_ZN7rocprim17ROCPRIM_400000_NS6detail17trampoline_kernelINS0_14default_configENS1_20scan_config_selectorIiEEZZNS1_9scan_implILNS1_25lookback_scan_determinismE0ELb0ELb0ES3_N6thrust23THRUST_200600_302600_NS6detail15normal_iteratorINS9_10device_ptrIiEEEESE_iNS9_4plusIvEEiEEDaPvRmT3_T4_T5_mT6_P12ihipStream_tbENKUlT_T0_E_clISt17integral_constantIbLb1EESU_EEDaSP_SQ_EUlSP_E0_NS1_11comp_targetILNS1_3genE0ELNS1_11target_archE4294967295ELNS1_3gpuE0ELNS1_3repE0EEENS1_30default_config_static_selectorELNS0_4arch9wavefront6targetE0EEEvT1_
	.p2align	8
	.type	_ZN7rocprim17ROCPRIM_400000_NS6detail17trampoline_kernelINS0_14default_configENS1_20scan_config_selectorIiEEZZNS1_9scan_implILNS1_25lookback_scan_determinismE0ELb0ELb0ES3_N6thrust23THRUST_200600_302600_NS6detail15normal_iteratorINS9_10device_ptrIiEEEESE_iNS9_4plusIvEEiEEDaPvRmT3_T4_T5_mT6_P12ihipStream_tbENKUlT_T0_E_clISt17integral_constantIbLb1EESU_EEDaSP_SQ_EUlSP_E0_NS1_11comp_targetILNS1_3genE0ELNS1_11target_archE4294967295ELNS1_3gpuE0ELNS1_3repE0EEENS1_30default_config_static_selectorELNS0_4arch9wavefront6targetE0EEEvT1_,@function
_ZN7rocprim17ROCPRIM_400000_NS6detail17trampoline_kernelINS0_14default_configENS1_20scan_config_selectorIiEEZZNS1_9scan_implILNS1_25lookback_scan_determinismE0ELb0ELb0ES3_N6thrust23THRUST_200600_302600_NS6detail15normal_iteratorINS9_10device_ptrIiEEEESE_iNS9_4plusIvEEiEEDaPvRmT3_T4_T5_mT6_P12ihipStream_tbENKUlT_T0_E_clISt17integral_constantIbLb1EESU_EEDaSP_SQ_EUlSP_E0_NS1_11comp_targetILNS1_3genE0ELNS1_11target_archE4294967295ELNS1_3gpuE0ELNS1_3repE0EEENS1_30default_config_static_selectorELNS0_4arch9wavefront6targetE0EEEvT1_: ; @_ZN7rocprim17ROCPRIM_400000_NS6detail17trampoline_kernelINS0_14default_configENS1_20scan_config_selectorIiEEZZNS1_9scan_implILNS1_25lookback_scan_determinismE0ELb0ELb0ES3_N6thrust23THRUST_200600_302600_NS6detail15normal_iteratorINS9_10device_ptrIiEEEESE_iNS9_4plusIvEEiEEDaPvRmT3_T4_T5_mT6_P12ihipStream_tbENKUlT_T0_E_clISt17integral_constantIbLb1EESU_EEDaSP_SQ_EUlSP_E0_NS1_11comp_targetILNS1_3genE0ELNS1_11target_archE4294967295ELNS1_3gpuE0ELNS1_3repE0EEENS1_30default_config_static_selectorELNS0_4arch9wavefront6targetE0EEEvT1_
; %bb.0:
	s_load_b128 s[16:19], s[0:1], 0x0
	s_wait_kmcnt 0x0
	v_cmp_gt_u32_e32 vcc_lo, s18, v0
	s_load_b32 s19, s[16:17], 0x0
	s_wait_kmcnt 0x0
	v_mov_b32_e32 v1, s19
	s_and_saveexec_b32 s2, vcc_lo
	s_cbranch_execz .LBB37_2
; %bb.1:
	global_load_b32 v1, v0, s[16:17] scale_offset
.LBB37_2:
	s_wait_xcnt 0x0
	s_or_b32 exec_lo, exec_lo, s2
	v_or_b32_e32 v2, 0x100, v0
	s_delay_alu instid0(VALU_DEP_1)
	v_cmp_gt_u32_e64 s2, s18, v2
	v_mov_b32_e32 v2, s19
	s_and_saveexec_b32 s3, s2
	s_cbranch_execz .LBB37_4
; %bb.3:
	global_load_b32 v2, v0, s[16:17] offset:1024 scale_offset
.LBB37_4:
	s_wait_xcnt 0x0
	s_or_b32 exec_lo, exec_lo, s3
	v_or_b32_e32 v3, 0x200, v0
	s_delay_alu instid0(VALU_DEP_1)
	v_cmp_gt_u32_e64 s3, s18, v3
	v_mov_b32_e32 v3, s19
	s_and_saveexec_b32 s4, s3
	s_cbranch_execz .LBB37_6
; %bb.5:
	global_load_b32 v3, v0, s[16:17] offset:2048 scale_offset
.LBB37_6:
	;; [unrolled: 11-line block ×12, first 2 shown]
	s_wait_xcnt 0x0
	s_or_b32 exec_lo, exec_lo, s14
	v_or_b32_e32 v14, 0xd00, v0
	s_delay_alu instid0(VALU_DEP_1) | instskip(SKIP_2) | instid1(SALU_CYCLE_1)
	v_cmp_gt_u32_e64 s14, s18, v14
	v_cmp_le_u32_e64 s15, s18, v14
	s_and_saveexec_b32 s18, s15
	s_xor_b32 s15, exec_lo, s18
	s_delay_alu instid0(SALU_CYCLE_1)
	s_or_saveexec_b32 s15, s15
	v_mov_b32_e32 v14, s19
	s_xor_b32 exec_lo, exec_lo, s15
	s_cbranch_execz .LBB37_28
; %bb.27:
	global_load_b32 v14, v0, s[16:17] offset:13312 scale_offset
.LBB37_28:
	s_wait_xcnt 0x0
	s_or_b32 exec_lo, exec_lo, s15
	v_dual_lshlrev_b32 v30, 2, v0 :: v_dual_bitop2_b32 v33, 31, v0 bitop3:0x54
	s_mov_b32 s16, exec_lo
	s_wait_loadcnt 0x0
	ds_store_2addr_stride64_b32 v30, v1, v2 offset1:4
	ds_store_2addr_stride64_b32 v30, v3, v4 offset0:8 offset1:12
	ds_store_2addr_stride64_b32 v30, v5, v6 offset0:16 offset1:20
	;; [unrolled: 1-line block ×6, first 2 shown]
	v_mad_u32_u24 v1, v0, 52, v30
	s_wait_dscnt 0x0
	s_barrier_signal -1
	s_barrier_wait -1
	ds_load_2addr_b64 v[6:9], v1 offset1:1
	ds_load_2addr_b64 v[2:5], v1 offset0:2 offset1:3
	ds_load_2addr_b64 v[10:13], v1 offset0:4 offset1:5
	ds_load_b64 v[28:29], v1 offset:48
	v_mbcnt_lo_u32_b32 v1, -1, 0
	s_wait_dscnt 0x0
	s_barrier_signal -1
	s_barrier_wait -1
	s_delay_alu instid0(VALU_DEP_1) | instskip(NEXT) | instid1(VALU_DEP_1)
	v_and_b32_e32 v14, 15, v1
	v_cmp_ne_u32_e64 s15, 0, v14
	v_add_nc_u32_e32 v15, v7, v6
	s_delay_alu instid0(VALU_DEP_1) | instskip(NEXT) | instid1(VALU_DEP_1)
	v_add_nc_u32_e32 v18, v15, v8
	v_add_nc_u32_e32 v19, v18, v9
	s_delay_alu instid0(VALU_DEP_1) | instskip(NEXT) | instid1(VALU_DEP_1)
	v_add_nc_u32_e32 v16, v19, v2
	;; [unrolled: 3-line block ×6, first 2 shown]
	v_add_nc_u32_e32 v27, v26, v29
	s_delay_alu instid0(VALU_DEP_1) | instskip(NEXT) | instid1(VALU_DEP_1)
	v_mov_b32_dpp v31, v27 row_shr:1 row_mask:0xf bank_mask:0xf
	v_cndmask_b32_e64 v31, 0, v31, s15
	s_delay_alu instid0(VALU_DEP_1) | instskip(SKIP_1) | instid1(VALU_DEP_2)
	v_add_nc_u32_e32 v31, v31, v27
	v_cmp_lt_u32_e64 s15, 1, v14
	v_mov_b32_dpp v32, v31 row_shr:2 row_mask:0xf bank_mask:0xf
	s_delay_alu instid0(VALU_DEP_1) | instskip(SKIP_1) | instid1(VALU_DEP_2)
	v_cndmask_b32_e64 v32, 0, v32, s15
	v_cmp_lt_u32_e64 s15, 3, v14
	v_add_nc_u32_e32 v31, v31, v32
	s_delay_alu instid0(VALU_DEP_1) | instskip(NEXT) | instid1(VALU_DEP_1)
	v_mov_b32_dpp v32, v31 row_shr:4 row_mask:0xf bank_mask:0xf
	v_cndmask_b32_e64 v32, 0, v32, s15
	v_cmp_lt_u32_e64 s15, 7, v14
	s_delay_alu instid0(VALU_DEP_2) | instskip(NEXT) | instid1(VALU_DEP_1)
	v_add_nc_u32_e32 v31, v31, v32
	v_mov_b32_dpp v32, v31 row_shr:8 row_mask:0xf bank_mask:0xf
	s_delay_alu instid0(VALU_DEP_1) | instskip(SKIP_1) | instid1(VALU_DEP_2)
	v_cndmask_b32_e64 v14, 0, v32, s15
	v_bfe_i32 v32, v1, 4, 1
	v_add_nc_u32_e32 v14, v31, v14
	ds_swizzle_b32 v31, v14 offset:swizzle(BROADCAST,32,15)
	s_wait_dscnt 0x0
	v_dual_lshrrev_b32 v31, 5, v0 :: v_dual_bitop2_b32 v32, v32, v31 bitop3:0x40
	s_delay_alu instid0(VALU_DEP_1)
	v_add_nc_u32_e32 v14, v14, v32
	v_cmpx_eq_u32_e64 v0, v33
; %bb.29:
	s_delay_alu instid0(VALU_DEP_3)
	v_lshlrev_b32_e32 v32, 2, v31
	ds_store_b32 v32, v14
; %bb.30:
	s_or_b32 exec_lo, exec_lo, s16
	s_delay_alu instid0(SALU_CYCLE_1)
	s_mov_b32 s16, exec_lo
	s_wait_dscnt 0x0
	s_barrier_signal -1
	s_barrier_wait -1
	v_cmpx_gt_u32_e32 8, v0
	s_cbranch_execz .LBB37_32
; %bb.31:
	ds_load_b32 v32, v30
	s_wait_dscnt 0x0
	v_mov_b32_dpp v34, v32 row_shr:1 row_mask:0xf bank_mask:0xf
	v_and_b32_e32 v33, 7, v1
	s_delay_alu instid0(VALU_DEP_1) | instskip(NEXT) | instid1(VALU_DEP_1)
	v_cmp_ne_u32_e64 s15, 0, v33
	v_cndmask_b32_e64 v34, 0, v34, s15
	v_cmp_lt_u32_e64 s15, 1, v33
	s_delay_alu instid0(VALU_DEP_2) | instskip(NEXT) | instid1(VALU_DEP_1)
	v_add_nc_u32_e32 v32, v34, v32
	v_mov_b32_dpp v34, v32 row_shr:2 row_mask:0xf bank_mask:0xf
	s_delay_alu instid0(VALU_DEP_1) | instskip(SKIP_1) | instid1(VALU_DEP_2)
	v_cndmask_b32_e64 v34, 0, v34, s15
	v_cmp_lt_u32_e64 s15, 3, v33
	v_add_nc_u32_e32 v32, v32, v34
	s_delay_alu instid0(VALU_DEP_1) | instskip(NEXT) | instid1(VALU_DEP_1)
	v_mov_b32_dpp v34, v32 row_shr:4 row_mask:0xf bank_mask:0xf
	v_cndmask_b32_e64 v33, 0, v34, s15
	s_delay_alu instid0(VALU_DEP_1)
	v_add_nc_u32_e32 v32, v32, v33
	ds_store_b32 v30, v32
.LBB37_32:
	s_or_b32 exec_lo, exec_lo, s16
	s_delay_alu instid0(SALU_CYCLE_1)
	s_mov_b32 s16, exec_lo
	s_wait_dscnt 0x0
	s_barrier_signal -1
	s_barrier_wait -1
                                        ; implicit-def: $vgpr32
	v_cmpx_lt_u32_e32 31, v0
	s_cbranch_execz .LBB37_34
; %bb.33:
	v_lshl_add_u32 v31, v31, 2, -4
	ds_load_b32 v32, v31
	s_wait_dscnt 0x0
	v_add_nc_u32_e32 v14, v32, v14
.LBB37_34:
	s_or_b32 exec_lo, exec_lo, s16
	v_add_nc_u32_e32 v31, -1, v1
	s_load_b64 s[16:17], s[0:1], 0x18
	s_wait_xcnt 0x0
	s_mov_b32 s1, exec_lo
	s_delay_alu instid0(VALU_DEP_1) | instskip(NEXT) | instid1(VALU_DEP_1)
	v_cmp_gt_i32_e64 s15, 0, v31
	v_cndmask_b32_e64 v31, v31, v1, s15
	s_delay_alu instid0(VALU_DEP_1)
	v_lshlrev_b32_e32 v31, 2, v31
	ds_bpermute_b32 v33, v31, v14
	v_mul_u32_u24_e32 v31, 52, v0
	v_mov_b32_e32 v14, v6
	v_cmpx_ne_u32_e32 0, v0
	s_cbranch_execz .LBB37_36
; %bb.35:
	v_cmp_eq_u32_e64 s0, 0, v1
	;;#ASMSTART
	;;#ASMEND
	s_wait_dscnt 0x0
	s_delay_alu instid0(VALU_DEP_1) | instskip(NEXT) | instid1(VALU_DEP_1)
	v_cndmask_b32_e64 v1, v33, v32, s0
	v_add_nc_u32_e32 v14, v1, v6
	s_delay_alu instid0(VALU_DEP_1) | instskip(NEXT) | instid1(VALU_DEP_1)
	v_add_nc_u32_e32 v15, v14, v7
	v_add_nc_u32_e32 v18, v15, v8
	s_delay_alu instid0(VALU_DEP_1) | instskip(NEXT) | instid1(VALU_DEP_1)
	v_add_nc_u32_e32 v19, v18, v9
	;; [unrolled: 3-line block ×6, first 2 shown]
	v_add_nc_u32_e32 v26, v25, v28
	s_delay_alu instid0(VALU_DEP_1)
	v_add_nc_u32_e32 v27, v26, v29
.LBB37_36:
	s_or_b32 exec_lo, exec_lo, s1
	v_dual_add_nc_u32 v1, v30, v31 :: v_dual_lshlrev_b32 v0, 2, v0
	s_wait_dscnt 0x0
	s_barrier_signal -1
	s_barrier_wait -1
	ds_store_2addr_b64 v1, v[14:15], v[18:19] offset1:1
	ds_store_2addr_b64 v1, v[16:17], v[22:23] offset0:2 offset1:3
	ds_store_2addr_b64 v1, v[20:21], v[24:25] offset0:4 offset1:5
	ds_store_b64 v1, v[26:27] offset:48
	s_wait_dscnt 0x0
	s_barrier_signal -1
	s_barrier_wait -1
	ds_load_2addr_stride64_b32 v[12:13], v30 offset0:4 offset1:8
	ds_load_2addr_stride64_b32 v[10:11], v30 offset0:12 offset1:16
	;; [unrolled: 1-line block ×6, first 2 shown]
	ds_load_b32 v14, v30 offset:13312
	v_mov_b32_e32 v1, 0
	s_wait_kmcnt 0x0
	s_delay_alu instid0(VALU_DEP_1)
	v_add_nc_u64_e32 v[0:1], s[16:17], v[0:1]
	s_and_saveexec_b32 s0, vcc_lo
	s_cbranch_execnz .LBB37_51
; %bb.37:
	s_or_b32 exec_lo, exec_lo, s0
	s_and_saveexec_b32 s0, s2
	s_cbranch_execnz .LBB37_52
.LBB37_38:
	s_or_b32 exec_lo, exec_lo, s0
	s_and_saveexec_b32 s0, s3
	s_cbranch_execnz .LBB37_53
.LBB37_39:
	s_or_b32 exec_lo, exec_lo, s0
	s_and_saveexec_b32 s0, s4
	s_cbranch_execnz .LBB37_54
.LBB37_40:
	s_or_b32 exec_lo, exec_lo, s0
	s_and_saveexec_b32 s0, s5
	s_cbranch_execnz .LBB37_55
.LBB37_41:
	s_or_b32 exec_lo, exec_lo, s0
	s_and_saveexec_b32 s0, s6
	s_cbranch_execnz .LBB37_56
.LBB37_42:
	s_or_b32 exec_lo, exec_lo, s0
	s_and_saveexec_b32 s0, s7
	s_cbranch_execnz .LBB37_57
.LBB37_43:
	s_or_b32 exec_lo, exec_lo, s0
	s_and_saveexec_b32 s0, s8
	s_cbranch_execnz .LBB37_58
.LBB37_44:
	s_or_b32 exec_lo, exec_lo, s0
	s_and_saveexec_b32 s0, s9
	s_cbranch_execnz .LBB37_59
.LBB37_45:
	s_or_b32 exec_lo, exec_lo, s0
	s_and_saveexec_b32 s0, s10
	s_cbranch_execnz .LBB37_60
.LBB37_46:
	s_or_b32 exec_lo, exec_lo, s0
	s_and_saveexec_b32 s0, s11
	s_cbranch_execnz .LBB37_61
.LBB37_47:
	s_or_b32 exec_lo, exec_lo, s0
	s_and_saveexec_b32 s0, s12
	s_cbranch_execnz .LBB37_62
.LBB37_48:
	s_or_b32 exec_lo, exec_lo, s0
	s_and_saveexec_b32 s0, s13
	s_cbranch_execnz .LBB37_63
.LBB37_49:
	s_or_b32 exec_lo, exec_lo, s0
	s_and_saveexec_b32 s0, s14
	s_cbranch_execnz .LBB37_64
.LBB37_50:
	s_endpgm
.LBB37_51:
	ds_load_b32 v15, v30
	s_wait_dscnt 0x0
	global_store_b32 v[0:1], v15, off
	s_wait_xcnt 0x0
	s_or_b32 exec_lo, exec_lo, s0
	s_and_saveexec_b32 s0, s2
	s_cbranch_execz .LBB37_38
.LBB37_52:
	s_wait_dscnt 0x6
	global_store_b32 v[0:1], v12, off offset:1024
	s_wait_xcnt 0x0
	s_or_b32 exec_lo, exec_lo, s0
	s_and_saveexec_b32 s0, s3
	s_cbranch_execz .LBB37_39
.LBB37_53:
	s_wait_dscnt 0x6
	global_store_b32 v[0:1], v13, off offset:2048
	s_wait_xcnt 0x0
	s_or_b32 exec_lo, exec_lo, s0
	s_and_saveexec_b32 s0, s4
	s_cbranch_execz .LBB37_40
.LBB37_54:
	s_wait_dscnt 0x5
	global_store_b32 v[0:1], v10, off offset:3072
	s_wait_xcnt 0x0
	s_or_b32 exec_lo, exec_lo, s0
	s_and_saveexec_b32 s0, s5
	s_cbranch_execz .LBB37_41
.LBB37_55:
	s_wait_dscnt 0x5
	global_store_b32 v[0:1], v11, off offset:4096
	s_wait_xcnt 0x0
	s_or_b32 exec_lo, exec_lo, s0
	s_and_saveexec_b32 s0, s6
	s_cbranch_execz .LBB37_42
.LBB37_56:
	s_wait_dscnt 0x4
	global_store_b32 v[0:1], v8, off offset:5120
	s_wait_xcnt 0x0
	s_or_b32 exec_lo, exec_lo, s0
	s_and_saveexec_b32 s0, s7
	s_cbranch_execz .LBB37_43
.LBB37_57:
	s_wait_dscnt 0x4
	global_store_b32 v[0:1], v9, off offset:6144
	s_wait_xcnt 0x0
	s_or_b32 exec_lo, exec_lo, s0
	s_and_saveexec_b32 s0, s8
	s_cbranch_execz .LBB37_44
.LBB37_58:
	s_wait_dscnt 0x3
	global_store_b32 v[0:1], v6, off offset:7168
	s_wait_xcnt 0x0
	s_or_b32 exec_lo, exec_lo, s0
	s_and_saveexec_b32 s0, s9
	s_cbranch_execz .LBB37_45
.LBB37_59:
	s_wait_dscnt 0x3
	global_store_b32 v[0:1], v7, off offset:8192
	s_wait_xcnt 0x0
	s_or_b32 exec_lo, exec_lo, s0
	s_and_saveexec_b32 s0, s10
	s_cbranch_execz .LBB37_46
.LBB37_60:
	s_wait_dscnt 0x2
	global_store_b32 v[0:1], v4, off offset:9216
	s_wait_xcnt 0x0
	s_or_b32 exec_lo, exec_lo, s0
	s_and_saveexec_b32 s0, s11
	s_cbranch_execz .LBB37_47
.LBB37_61:
	s_wait_dscnt 0x2
	global_store_b32 v[0:1], v5, off offset:10240
	s_wait_xcnt 0x0
	s_or_b32 exec_lo, exec_lo, s0
	s_and_saveexec_b32 s0, s12
	s_cbranch_execz .LBB37_48
.LBB37_62:
	s_wait_dscnt 0x1
	global_store_b32 v[0:1], v2, off offset:11264
	s_wait_xcnt 0x0
	s_or_b32 exec_lo, exec_lo, s0
	s_and_saveexec_b32 s0, s13
	s_cbranch_execz .LBB37_49
.LBB37_63:
	s_wait_dscnt 0x1
	global_store_b32 v[0:1], v3, off offset:12288
	s_wait_xcnt 0x0
	s_or_b32 exec_lo, exec_lo, s0
	s_and_saveexec_b32 s0, s14
	s_cbranch_execz .LBB37_50
.LBB37_64:
	s_wait_dscnt 0x0
	global_store_b32 v[0:1], v14, off offset:13312
	s_endpgm
	.section	.rodata,"a",@progbits
	.p2align	6, 0x0
	.amdhsa_kernel _ZN7rocprim17ROCPRIM_400000_NS6detail17trampoline_kernelINS0_14default_configENS1_20scan_config_selectorIiEEZZNS1_9scan_implILNS1_25lookback_scan_determinismE0ELb0ELb0ES3_N6thrust23THRUST_200600_302600_NS6detail15normal_iteratorINS9_10device_ptrIiEEEESE_iNS9_4plusIvEEiEEDaPvRmT3_T4_T5_mT6_P12ihipStream_tbENKUlT_T0_E_clISt17integral_constantIbLb1EESU_EEDaSP_SQ_EUlSP_E0_NS1_11comp_targetILNS1_3genE0ELNS1_11target_archE4294967295ELNS1_3gpuE0ELNS1_3repE0EEENS1_30default_config_static_selectorELNS0_4arch9wavefront6targetE0EEEvT1_
		.amdhsa_group_segment_fixed_size 14336
		.amdhsa_private_segment_fixed_size 0
		.amdhsa_kernarg_size 32
		.amdhsa_user_sgpr_count 2
		.amdhsa_user_sgpr_dispatch_ptr 0
		.amdhsa_user_sgpr_queue_ptr 0
		.amdhsa_user_sgpr_kernarg_segment_ptr 1
		.amdhsa_user_sgpr_dispatch_id 0
		.amdhsa_user_sgpr_kernarg_preload_length 0
		.amdhsa_user_sgpr_kernarg_preload_offset 0
		.amdhsa_user_sgpr_private_segment_size 0
		.amdhsa_wavefront_size32 1
		.amdhsa_uses_dynamic_stack 0
		.amdhsa_enable_private_segment 0
		.amdhsa_system_sgpr_workgroup_id_x 1
		.amdhsa_system_sgpr_workgroup_id_y 0
		.amdhsa_system_sgpr_workgroup_id_z 0
		.amdhsa_system_sgpr_workgroup_info 0
		.amdhsa_system_vgpr_workitem_id 0
		.amdhsa_next_free_vgpr 35
		.amdhsa_next_free_sgpr 20
		.amdhsa_named_barrier_count 0
		.amdhsa_reserve_vcc 1
		.amdhsa_float_round_mode_32 0
		.amdhsa_float_round_mode_16_64 0
		.amdhsa_float_denorm_mode_32 3
		.amdhsa_float_denorm_mode_16_64 3
		.amdhsa_fp16_overflow 0
		.amdhsa_memory_ordered 1
		.amdhsa_forward_progress 1
		.amdhsa_inst_pref_size 19
		.amdhsa_round_robin_scheduling 0
		.amdhsa_exception_fp_ieee_invalid_op 0
		.amdhsa_exception_fp_denorm_src 0
		.amdhsa_exception_fp_ieee_div_zero 0
		.amdhsa_exception_fp_ieee_overflow 0
		.amdhsa_exception_fp_ieee_underflow 0
		.amdhsa_exception_fp_ieee_inexact 0
		.amdhsa_exception_int_div_zero 0
	.end_amdhsa_kernel
	.section	.text._ZN7rocprim17ROCPRIM_400000_NS6detail17trampoline_kernelINS0_14default_configENS1_20scan_config_selectorIiEEZZNS1_9scan_implILNS1_25lookback_scan_determinismE0ELb0ELb0ES3_N6thrust23THRUST_200600_302600_NS6detail15normal_iteratorINS9_10device_ptrIiEEEESE_iNS9_4plusIvEEiEEDaPvRmT3_T4_T5_mT6_P12ihipStream_tbENKUlT_T0_E_clISt17integral_constantIbLb1EESU_EEDaSP_SQ_EUlSP_E0_NS1_11comp_targetILNS1_3genE0ELNS1_11target_archE4294967295ELNS1_3gpuE0ELNS1_3repE0EEENS1_30default_config_static_selectorELNS0_4arch9wavefront6targetE0EEEvT1_,"axG",@progbits,_ZN7rocprim17ROCPRIM_400000_NS6detail17trampoline_kernelINS0_14default_configENS1_20scan_config_selectorIiEEZZNS1_9scan_implILNS1_25lookback_scan_determinismE0ELb0ELb0ES3_N6thrust23THRUST_200600_302600_NS6detail15normal_iteratorINS9_10device_ptrIiEEEESE_iNS9_4plusIvEEiEEDaPvRmT3_T4_T5_mT6_P12ihipStream_tbENKUlT_T0_E_clISt17integral_constantIbLb1EESU_EEDaSP_SQ_EUlSP_E0_NS1_11comp_targetILNS1_3genE0ELNS1_11target_archE4294967295ELNS1_3gpuE0ELNS1_3repE0EEENS1_30default_config_static_selectorELNS0_4arch9wavefront6targetE0EEEvT1_,comdat
.Lfunc_end37:
	.size	_ZN7rocprim17ROCPRIM_400000_NS6detail17trampoline_kernelINS0_14default_configENS1_20scan_config_selectorIiEEZZNS1_9scan_implILNS1_25lookback_scan_determinismE0ELb0ELb0ES3_N6thrust23THRUST_200600_302600_NS6detail15normal_iteratorINS9_10device_ptrIiEEEESE_iNS9_4plusIvEEiEEDaPvRmT3_T4_T5_mT6_P12ihipStream_tbENKUlT_T0_E_clISt17integral_constantIbLb1EESU_EEDaSP_SQ_EUlSP_E0_NS1_11comp_targetILNS1_3genE0ELNS1_11target_archE4294967295ELNS1_3gpuE0ELNS1_3repE0EEENS1_30default_config_static_selectorELNS0_4arch9wavefront6targetE0EEEvT1_, .Lfunc_end37-_ZN7rocprim17ROCPRIM_400000_NS6detail17trampoline_kernelINS0_14default_configENS1_20scan_config_selectorIiEEZZNS1_9scan_implILNS1_25lookback_scan_determinismE0ELb0ELb0ES3_N6thrust23THRUST_200600_302600_NS6detail15normal_iteratorINS9_10device_ptrIiEEEESE_iNS9_4plusIvEEiEEDaPvRmT3_T4_T5_mT6_P12ihipStream_tbENKUlT_T0_E_clISt17integral_constantIbLb1EESU_EEDaSP_SQ_EUlSP_E0_NS1_11comp_targetILNS1_3genE0ELNS1_11target_archE4294967295ELNS1_3gpuE0ELNS1_3repE0EEENS1_30default_config_static_selectorELNS0_4arch9wavefront6targetE0EEEvT1_
                                        ; -- End function
	.set _ZN7rocprim17ROCPRIM_400000_NS6detail17trampoline_kernelINS0_14default_configENS1_20scan_config_selectorIiEEZZNS1_9scan_implILNS1_25lookback_scan_determinismE0ELb0ELb0ES3_N6thrust23THRUST_200600_302600_NS6detail15normal_iteratorINS9_10device_ptrIiEEEESE_iNS9_4plusIvEEiEEDaPvRmT3_T4_T5_mT6_P12ihipStream_tbENKUlT_T0_E_clISt17integral_constantIbLb1EESU_EEDaSP_SQ_EUlSP_E0_NS1_11comp_targetILNS1_3genE0ELNS1_11target_archE4294967295ELNS1_3gpuE0ELNS1_3repE0EEENS1_30default_config_static_selectorELNS0_4arch9wavefront6targetE0EEEvT1_.num_vgpr, 35
	.set _ZN7rocprim17ROCPRIM_400000_NS6detail17trampoline_kernelINS0_14default_configENS1_20scan_config_selectorIiEEZZNS1_9scan_implILNS1_25lookback_scan_determinismE0ELb0ELb0ES3_N6thrust23THRUST_200600_302600_NS6detail15normal_iteratorINS9_10device_ptrIiEEEESE_iNS9_4plusIvEEiEEDaPvRmT3_T4_T5_mT6_P12ihipStream_tbENKUlT_T0_E_clISt17integral_constantIbLb1EESU_EEDaSP_SQ_EUlSP_E0_NS1_11comp_targetILNS1_3genE0ELNS1_11target_archE4294967295ELNS1_3gpuE0ELNS1_3repE0EEENS1_30default_config_static_selectorELNS0_4arch9wavefront6targetE0EEEvT1_.num_agpr, 0
	.set _ZN7rocprim17ROCPRIM_400000_NS6detail17trampoline_kernelINS0_14default_configENS1_20scan_config_selectorIiEEZZNS1_9scan_implILNS1_25lookback_scan_determinismE0ELb0ELb0ES3_N6thrust23THRUST_200600_302600_NS6detail15normal_iteratorINS9_10device_ptrIiEEEESE_iNS9_4plusIvEEiEEDaPvRmT3_T4_T5_mT6_P12ihipStream_tbENKUlT_T0_E_clISt17integral_constantIbLb1EESU_EEDaSP_SQ_EUlSP_E0_NS1_11comp_targetILNS1_3genE0ELNS1_11target_archE4294967295ELNS1_3gpuE0ELNS1_3repE0EEENS1_30default_config_static_selectorELNS0_4arch9wavefront6targetE0EEEvT1_.numbered_sgpr, 20
	.set _ZN7rocprim17ROCPRIM_400000_NS6detail17trampoline_kernelINS0_14default_configENS1_20scan_config_selectorIiEEZZNS1_9scan_implILNS1_25lookback_scan_determinismE0ELb0ELb0ES3_N6thrust23THRUST_200600_302600_NS6detail15normal_iteratorINS9_10device_ptrIiEEEESE_iNS9_4plusIvEEiEEDaPvRmT3_T4_T5_mT6_P12ihipStream_tbENKUlT_T0_E_clISt17integral_constantIbLb1EESU_EEDaSP_SQ_EUlSP_E0_NS1_11comp_targetILNS1_3genE0ELNS1_11target_archE4294967295ELNS1_3gpuE0ELNS1_3repE0EEENS1_30default_config_static_selectorELNS0_4arch9wavefront6targetE0EEEvT1_.num_named_barrier, 0
	.set _ZN7rocprim17ROCPRIM_400000_NS6detail17trampoline_kernelINS0_14default_configENS1_20scan_config_selectorIiEEZZNS1_9scan_implILNS1_25lookback_scan_determinismE0ELb0ELb0ES3_N6thrust23THRUST_200600_302600_NS6detail15normal_iteratorINS9_10device_ptrIiEEEESE_iNS9_4plusIvEEiEEDaPvRmT3_T4_T5_mT6_P12ihipStream_tbENKUlT_T0_E_clISt17integral_constantIbLb1EESU_EEDaSP_SQ_EUlSP_E0_NS1_11comp_targetILNS1_3genE0ELNS1_11target_archE4294967295ELNS1_3gpuE0ELNS1_3repE0EEENS1_30default_config_static_selectorELNS0_4arch9wavefront6targetE0EEEvT1_.private_seg_size, 0
	.set _ZN7rocprim17ROCPRIM_400000_NS6detail17trampoline_kernelINS0_14default_configENS1_20scan_config_selectorIiEEZZNS1_9scan_implILNS1_25lookback_scan_determinismE0ELb0ELb0ES3_N6thrust23THRUST_200600_302600_NS6detail15normal_iteratorINS9_10device_ptrIiEEEESE_iNS9_4plusIvEEiEEDaPvRmT3_T4_T5_mT6_P12ihipStream_tbENKUlT_T0_E_clISt17integral_constantIbLb1EESU_EEDaSP_SQ_EUlSP_E0_NS1_11comp_targetILNS1_3genE0ELNS1_11target_archE4294967295ELNS1_3gpuE0ELNS1_3repE0EEENS1_30default_config_static_selectorELNS0_4arch9wavefront6targetE0EEEvT1_.uses_vcc, 1
	.set _ZN7rocprim17ROCPRIM_400000_NS6detail17trampoline_kernelINS0_14default_configENS1_20scan_config_selectorIiEEZZNS1_9scan_implILNS1_25lookback_scan_determinismE0ELb0ELb0ES3_N6thrust23THRUST_200600_302600_NS6detail15normal_iteratorINS9_10device_ptrIiEEEESE_iNS9_4plusIvEEiEEDaPvRmT3_T4_T5_mT6_P12ihipStream_tbENKUlT_T0_E_clISt17integral_constantIbLb1EESU_EEDaSP_SQ_EUlSP_E0_NS1_11comp_targetILNS1_3genE0ELNS1_11target_archE4294967295ELNS1_3gpuE0ELNS1_3repE0EEENS1_30default_config_static_selectorELNS0_4arch9wavefront6targetE0EEEvT1_.uses_flat_scratch, 0
	.set _ZN7rocprim17ROCPRIM_400000_NS6detail17trampoline_kernelINS0_14default_configENS1_20scan_config_selectorIiEEZZNS1_9scan_implILNS1_25lookback_scan_determinismE0ELb0ELb0ES3_N6thrust23THRUST_200600_302600_NS6detail15normal_iteratorINS9_10device_ptrIiEEEESE_iNS9_4plusIvEEiEEDaPvRmT3_T4_T5_mT6_P12ihipStream_tbENKUlT_T0_E_clISt17integral_constantIbLb1EESU_EEDaSP_SQ_EUlSP_E0_NS1_11comp_targetILNS1_3genE0ELNS1_11target_archE4294967295ELNS1_3gpuE0ELNS1_3repE0EEENS1_30default_config_static_selectorELNS0_4arch9wavefront6targetE0EEEvT1_.has_dyn_sized_stack, 0
	.set _ZN7rocprim17ROCPRIM_400000_NS6detail17trampoline_kernelINS0_14default_configENS1_20scan_config_selectorIiEEZZNS1_9scan_implILNS1_25lookback_scan_determinismE0ELb0ELb0ES3_N6thrust23THRUST_200600_302600_NS6detail15normal_iteratorINS9_10device_ptrIiEEEESE_iNS9_4plusIvEEiEEDaPvRmT3_T4_T5_mT6_P12ihipStream_tbENKUlT_T0_E_clISt17integral_constantIbLb1EESU_EEDaSP_SQ_EUlSP_E0_NS1_11comp_targetILNS1_3genE0ELNS1_11target_archE4294967295ELNS1_3gpuE0ELNS1_3repE0EEENS1_30default_config_static_selectorELNS0_4arch9wavefront6targetE0EEEvT1_.has_recursion, 0
	.set _ZN7rocprim17ROCPRIM_400000_NS6detail17trampoline_kernelINS0_14default_configENS1_20scan_config_selectorIiEEZZNS1_9scan_implILNS1_25lookback_scan_determinismE0ELb0ELb0ES3_N6thrust23THRUST_200600_302600_NS6detail15normal_iteratorINS9_10device_ptrIiEEEESE_iNS9_4plusIvEEiEEDaPvRmT3_T4_T5_mT6_P12ihipStream_tbENKUlT_T0_E_clISt17integral_constantIbLb1EESU_EEDaSP_SQ_EUlSP_E0_NS1_11comp_targetILNS1_3genE0ELNS1_11target_archE4294967295ELNS1_3gpuE0ELNS1_3repE0EEENS1_30default_config_static_selectorELNS0_4arch9wavefront6targetE0EEEvT1_.has_indirect_call, 0
	.section	.AMDGPU.csdata,"",@progbits
; Kernel info:
; codeLenInByte = 2348
; TotalNumSgprs: 22
; NumVgprs: 35
; ScratchSize: 0
; MemoryBound: 0
; FloatMode: 240
; IeeeMode: 1
; LDSByteSize: 14336 bytes/workgroup (compile time only)
; SGPRBlocks: 0
; VGPRBlocks: 2
; NumSGPRsForWavesPerEU: 22
; NumVGPRsForWavesPerEU: 35
; NamedBarCnt: 0
; Occupancy: 16
; WaveLimiterHint : 0
; COMPUTE_PGM_RSRC2:SCRATCH_EN: 0
; COMPUTE_PGM_RSRC2:USER_SGPR: 2
; COMPUTE_PGM_RSRC2:TRAP_HANDLER: 0
; COMPUTE_PGM_RSRC2:TGID_X_EN: 1
; COMPUTE_PGM_RSRC2:TGID_Y_EN: 0
; COMPUTE_PGM_RSRC2:TGID_Z_EN: 0
; COMPUTE_PGM_RSRC2:TIDIG_COMP_CNT: 0
	.section	.text._ZN7rocprim17ROCPRIM_400000_NS6detail17trampoline_kernelINS0_14default_configENS1_20scan_config_selectorIiEEZZNS1_9scan_implILNS1_25lookback_scan_determinismE0ELb0ELb0ES3_N6thrust23THRUST_200600_302600_NS6detail15normal_iteratorINS9_10device_ptrIiEEEESE_iNS9_4plusIvEEiEEDaPvRmT3_T4_T5_mT6_P12ihipStream_tbENKUlT_T0_E_clISt17integral_constantIbLb1EESU_EEDaSP_SQ_EUlSP_E0_NS1_11comp_targetILNS1_3genE5ELNS1_11target_archE942ELNS1_3gpuE9ELNS1_3repE0EEENS1_30default_config_static_selectorELNS0_4arch9wavefront6targetE0EEEvT1_,"axG",@progbits,_ZN7rocprim17ROCPRIM_400000_NS6detail17trampoline_kernelINS0_14default_configENS1_20scan_config_selectorIiEEZZNS1_9scan_implILNS1_25lookback_scan_determinismE0ELb0ELb0ES3_N6thrust23THRUST_200600_302600_NS6detail15normal_iteratorINS9_10device_ptrIiEEEESE_iNS9_4plusIvEEiEEDaPvRmT3_T4_T5_mT6_P12ihipStream_tbENKUlT_T0_E_clISt17integral_constantIbLb1EESU_EEDaSP_SQ_EUlSP_E0_NS1_11comp_targetILNS1_3genE5ELNS1_11target_archE942ELNS1_3gpuE9ELNS1_3repE0EEENS1_30default_config_static_selectorELNS0_4arch9wavefront6targetE0EEEvT1_,comdat
	.protected	_ZN7rocprim17ROCPRIM_400000_NS6detail17trampoline_kernelINS0_14default_configENS1_20scan_config_selectorIiEEZZNS1_9scan_implILNS1_25lookback_scan_determinismE0ELb0ELb0ES3_N6thrust23THRUST_200600_302600_NS6detail15normal_iteratorINS9_10device_ptrIiEEEESE_iNS9_4plusIvEEiEEDaPvRmT3_T4_T5_mT6_P12ihipStream_tbENKUlT_T0_E_clISt17integral_constantIbLb1EESU_EEDaSP_SQ_EUlSP_E0_NS1_11comp_targetILNS1_3genE5ELNS1_11target_archE942ELNS1_3gpuE9ELNS1_3repE0EEENS1_30default_config_static_selectorELNS0_4arch9wavefront6targetE0EEEvT1_ ; -- Begin function _ZN7rocprim17ROCPRIM_400000_NS6detail17trampoline_kernelINS0_14default_configENS1_20scan_config_selectorIiEEZZNS1_9scan_implILNS1_25lookback_scan_determinismE0ELb0ELb0ES3_N6thrust23THRUST_200600_302600_NS6detail15normal_iteratorINS9_10device_ptrIiEEEESE_iNS9_4plusIvEEiEEDaPvRmT3_T4_T5_mT6_P12ihipStream_tbENKUlT_T0_E_clISt17integral_constantIbLb1EESU_EEDaSP_SQ_EUlSP_E0_NS1_11comp_targetILNS1_3genE5ELNS1_11target_archE942ELNS1_3gpuE9ELNS1_3repE0EEENS1_30default_config_static_selectorELNS0_4arch9wavefront6targetE0EEEvT1_
	.globl	_ZN7rocprim17ROCPRIM_400000_NS6detail17trampoline_kernelINS0_14default_configENS1_20scan_config_selectorIiEEZZNS1_9scan_implILNS1_25lookback_scan_determinismE0ELb0ELb0ES3_N6thrust23THRUST_200600_302600_NS6detail15normal_iteratorINS9_10device_ptrIiEEEESE_iNS9_4plusIvEEiEEDaPvRmT3_T4_T5_mT6_P12ihipStream_tbENKUlT_T0_E_clISt17integral_constantIbLb1EESU_EEDaSP_SQ_EUlSP_E0_NS1_11comp_targetILNS1_3genE5ELNS1_11target_archE942ELNS1_3gpuE9ELNS1_3repE0EEENS1_30default_config_static_selectorELNS0_4arch9wavefront6targetE0EEEvT1_
	.p2align	8
	.type	_ZN7rocprim17ROCPRIM_400000_NS6detail17trampoline_kernelINS0_14default_configENS1_20scan_config_selectorIiEEZZNS1_9scan_implILNS1_25lookback_scan_determinismE0ELb0ELb0ES3_N6thrust23THRUST_200600_302600_NS6detail15normal_iteratorINS9_10device_ptrIiEEEESE_iNS9_4plusIvEEiEEDaPvRmT3_T4_T5_mT6_P12ihipStream_tbENKUlT_T0_E_clISt17integral_constantIbLb1EESU_EEDaSP_SQ_EUlSP_E0_NS1_11comp_targetILNS1_3genE5ELNS1_11target_archE942ELNS1_3gpuE9ELNS1_3repE0EEENS1_30default_config_static_selectorELNS0_4arch9wavefront6targetE0EEEvT1_,@function
_ZN7rocprim17ROCPRIM_400000_NS6detail17trampoline_kernelINS0_14default_configENS1_20scan_config_selectorIiEEZZNS1_9scan_implILNS1_25lookback_scan_determinismE0ELb0ELb0ES3_N6thrust23THRUST_200600_302600_NS6detail15normal_iteratorINS9_10device_ptrIiEEEESE_iNS9_4plusIvEEiEEDaPvRmT3_T4_T5_mT6_P12ihipStream_tbENKUlT_T0_E_clISt17integral_constantIbLb1EESU_EEDaSP_SQ_EUlSP_E0_NS1_11comp_targetILNS1_3genE5ELNS1_11target_archE942ELNS1_3gpuE9ELNS1_3repE0EEENS1_30default_config_static_selectorELNS0_4arch9wavefront6targetE0EEEvT1_: ; @_ZN7rocprim17ROCPRIM_400000_NS6detail17trampoline_kernelINS0_14default_configENS1_20scan_config_selectorIiEEZZNS1_9scan_implILNS1_25lookback_scan_determinismE0ELb0ELb0ES3_N6thrust23THRUST_200600_302600_NS6detail15normal_iteratorINS9_10device_ptrIiEEEESE_iNS9_4plusIvEEiEEDaPvRmT3_T4_T5_mT6_P12ihipStream_tbENKUlT_T0_E_clISt17integral_constantIbLb1EESU_EEDaSP_SQ_EUlSP_E0_NS1_11comp_targetILNS1_3genE5ELNS1_11target_archE942ELNS1_3gpuE9ELNS1_3repE0EEENS1_30default_config_static_selectorELNS0_4arch9wavefront6targetE0EEEvT1_
; %bb.0:
	.section	.rodata,"a",@progbits
	.p2align	6, 0x0
	.amdhsa_kernel _ZN7rocprim17ROCPRIM_400000_NS6detail17trampoline_kernelINS0_14default_configENS1_20scan_config_selectorIiEEZZNS1_9scan_implILNS1_25lookback_scan_determinismE0ELb0ELb0ES3_N6thrust23THRUST_200600_302600_NS6detail15normal_iteratorINS9_10device_ptrIiEEEESE_iNS9_4plusIvEEiEEDaPvRmT3_T4_T5_mT6_P12ihipStream_tbENKUlT_T0_E_clISt17integral_constantIbLb1EESU_EEDaSP_SQ_EUlSP_E0_NS1_11comp_targetILNS1_3genE5ELNS1_11target_archE942ELNS1_3gpuE9ELNS1_3repE0EEENS1_30default_config_static_selectorELNS0_4arch9wavefront6targetE0EEEvT1_
		.amdhsa_group_segment_fixed_size 0
		.amdhsa_private_segment_fixed_size 0
		.amdhsa_kernarg_size 32
		.amdhsa_user_sgpr_count 2
		.amdhsa_user_sgpr_dispatch_ptr 0
		.amdhsa_user_sgpr_queue_ptr 0
		.amdhsa_user_sgpr_kernarg_segment_ptr 1
		.amdhsa_user_sgpr_dispatch_id 0
		.amdhsa_user_sgpr_kernarg_preload_length 0
		.amdhsa_user_sgpr_kernarg_preload_offset 0
		.amdhsa_user_sgpr_private_segment_size 0
		.amdhsa_wavefront_size32 1
		.amdhsa_uses_dynamic_stack 0
		.amdhsa_enable_private_segment 0
		.amdhsa_system_sgpr_workgroup_id_x 1
		.amdhsa_system_sgpr_workgroup_id_y 0
		.amdhsa_system_sgpr_workgroup_id_z 0
		.amdhsa_system_sgpr_workgroup_info 0
		.amdhsa_system_vgpr_workitem_id 0
		.amdhsa_next_free_vgpr 1
		.amdhsa_next_free_sgpr 1
		.amdhsa_named_barrier_count 0
		.amdhsa_reserve_vcc 0
		.amdhsa_float_round_mode_32 0
		.amdhsa_float_round_mode_16_64 0
		.amdhsa_float_denorm_mode_32 3
		.amdhsa_float_denorm_mode_16_64 3
		.amdhsa_fp16_overflow 0
		.amdhsa_memory_ordered 1
		.amdhsa_forward_progress 1
		.amdhsa_inst_pref_size 0
		.amdhsa_round_robin_scheduling 0
		.amdhsa_exception_fp_ieee_invalid_op 0
		.amdhsa_exception_fp_denorm_src 0
		.amdhsa_exception_fp_ieee_div_zero 0
		.amdhsa_exception_fp_ieee_overflow 0
		.amdhsa_exception_fp_ieee_underflow 0
		.amdhsa_exception_fp_ieee_inexact 0
		.amdhsa_exception_int_div_zero 0
	.end_amdhsa_kernel
	.section	.text._ZN7rocprim17ROCPRIM_400000_NS6detail17trampoline_kernelINS0_14default_configENS1_20scan_config_selectorIiEEZZNS1_9scan_implILNS1_25lookback_scan_determinismE0ELb0ELb0ES3_N6thrust23THRUST_200600_302600_NS6detail15normal_iteratorINS9_10device_ptrIiEEEESE_iNS9_4plusIvEEiEEDaPvRmT3_T4_T5_mT6_P12ihipStream_tbENKUlT_T0_E_clISt17integral_constantIbLb1EESU_EEDaSP_SQ_EUlSP_E0_NS1_11comp_targetILNS1_3genE5ELNS1_11target_archE942ELNS1_3gpuE9ELNS1_3repE0EEENS1_30default_config_static_selectorELNS0_4arch9wavefront6targetE0EEEvT1_,"axG",@progbits,_ZN7rocprim17ROCPRIM_400000_NS6detail17trampoline_kernelINS0_14default_configENS1_20scan_config_selectorIiEEZZNS1_9scan_implILNS1_25lookback_scan_determinismE0ELb0ELb0ES3_N6thrust23THRUST_200600_302600_NS6detail15normal_iteratorINS9_10device_ptrIiEEEESE_iNS9_4plusIvEEiEEDaPvRmT3_T4_T5_mT6_P12ihipStream_tbENKUlT_T0_E_clISt17integral_constantIbLb1EESU_EEDaSP_SQ_EUlSP_E0_NS1_11comp_targetILNS1_3genE5ELNS1_11target_archE942ELNS1_3gpuE9ELNS1_3repE0EEENS1_30default_config_static_selectorELNS0_4arch9wavefront6targetE0EEEvT1_,comdat
.Lfunc_end38:
	.size	_ZN7rocprim17ROCPRIM_400000_NS6detail17trampoline_kernelINS0_14default_configENS1_20scan_config_selectorIiEEZZNS1_9scan_implILNS1_25lookback_scan_determinismE0ELb0ELb0ES3_N6thrust23THRUST_200600_302600_NS6detail15normal_iteratorINS9_10device_ptrIiEEEESE_iNS9_4plusIvEEiEEDaPvRmT3_T4_T5_mT6_P12ihipStream_tbENKUlT_T0_E_clISt17integral_constantIbLb1EESU_EEDaSP_SQ_EUlSP_E0_NS1_11comp_targetILNS1_3genE5ELNS1_11target_archE942ELNS1_3gpuE9ELNS1_3repE0EEENS1_30default_config_static_selectorELNS0_4arch9wavefront6targetE0EEEvT1_, .Lfunc_end38-_ZN7rocprim17ROCPRIM_400000_NS6detail17trampoline_kernelINS0_14default_configENS1_20scan_config_selectorIiEEZZNS1_9scan_implILNS1_25lookback_scan_determinismE0ELb0ELb0ES3_N6thrust23THRUST_200600_302600_NS6detail15normal_iteratorINS9_10device_ptrIiEEEESE_iNS9_4plusIvEEiEEDaPvRmT3_T4_T5_mT6_P12ihipStream_tbENKUlT_T0_E_clISt17integral_constantIbLb1EESU_EEDaSP_SQ_EUlSP_E0_NS1_11comp_targetILNS1_3genE5ELNS1_11target_archE942ELNS1_3gpuE9ELNS1_3repE0EEENS1_30default_config_static_selectorELNS0_4arch9wavefront6targetE0EEEvT1_
                                        ; -- End function
	.set _ZN7rocprim17ROCPRIM_400000_NS6detail17trampoline_kernelINS0_14default_configENS1_20scan_config_selectorIiEEZZNS1_9scan_implILNS1_25lookback_scan_determinismE0ELb0ELb0ES3_N6thrust23THRUST_200600_302600_NS6detail15normal_iteratorINS9_10device_ptrIiEEEESE_iNS9_4plusIvEEiEEDaPvRmT3_T4_T5_mT6_P12ihipStream_tbENKUlT_T0_E_clISt17integral_constantIbLb1EESU_EEDaSP_SQ_EUlSP_E0_NS1_11comp_targetILNS1_3genE5ELNS1_11target_archE942ELNS1_3gpuE9ELNS1_3repE0EEENS1_30default_config_static_selectorELNS0_4arch9wavefront6targetE0EEEvT1_.num_vgpr, 0
	.set _ZN7rocprim17ROCPRIM_400000_NS6detail17trampoline_kernelINS0_14default_configENS1_20scan_config_selectorIiEEZZNS1_9scan_implILNS1_25lookback_scan_determinismE0ELb0ELb0ES3_N6thrust23THRUST_200600_302600_NS6detail15normal_iteratorINS9_10device_ptrIiEEEESE_iNS9_4plusIvEEiEEDaPvRmT3_T4_T5_mT6_P12ihipStream_tbENKUlT_T0_E_clISt17integral_constantIbLb1EESU_EEDaSP_SQ_EUlSP_E0_NS1_11comp_targetILNS1_3genE5ELNS1_11target_archE942ELNS1_3gpuE9ELNS1_3repE0EEENS1_30default_config_static_selectorELNS0_4arch9wavefront6targetE0EEEvT1_.num_agpr, 0
	.set _ZN7rocprim17ROCPRIM_400000_NS6detail17trampoline_kernelINS0_14default_configENS1_20scan_config_selectorIiEEZZNS1_9scan_implILNS1_25lookback_scan_determinismE0ELb0ELb0ES3_N6thrust23THRUST_200600_302600_NS6detail15normal_iteratorINS9_10device_ptrIiEEEESE_iNS9_4plusIvEEiEEDaPvRmT3_T4_T5_mT6_P12ihipStream_tbENKUlT_T0_E_clISt17integral_constantIbLb1EESU_EEDaSP_SQ_EUlSP_E0_NS1_11comp_targetILNS1_3genE5ELNS1_11target_archE942ELNS1_3gpuE9ELNS1_3repE0EEENS1_30default_config_static_selectorELNS0_4arch9wavefront6targetE0EEEvT1_.numbered_sgpr, 0
	.set _ZN7rocprim17ROCPRIM_400000_NS6detail17trampoline_kernelINS0_14default_configENS1_20scan_config_selectorIiEEZZNS1_9scan_implILNS1_25lookback_scan_determinismE0ELb0ELb0ES3_N6thrust23THRUST_200600_302600_NS6detail15normal_iteratorINS9_10device_ptrIiEEEESE_iNS9_4plusIvEEiEEDaPvRmT3_T4_T5_mT6_P12ihipStream_tbENKUlT_T0_E_clISt17integral_constantIbLb1EESU_EEDaSP_SQ_EUlSP_E0_NS1_11comp_targetILNS1_3genE5ELNS1_11target_archE942ELNS1_3gpuE9ELNS1_3repE0EEENS1_30default_config_static_selectorELNS0_4arch9wavefront6targetE0EEEvT1_.num_named_barrier, 0
	.set _ZN7rocprim17ROCPRIM_400000_NS6detail17trampoline_kernelINS0_14default_configENS1_20scan_config_selectorIiEEZZNS1_9scan_implILNS1_25lookback_scan_determinismE0ELb0ELb0ES3_N6thrust23THRUST_200600_302600_NS6detail15normal_iteratorINS9_10device_ptrIiEEEESE_iNS9_4plusIvEEiEEDaPvRmT3_T4_T5_mT6_P12ihipStream_tbENKUlT_T0_E_clISt17integral_constantIbLb1EESU_EEDaSP_SQ_EUlSP_E0_NS1_11comp_targetILNS1_3genE5ELNS1_11target_archE942ELNS1_3gpuE9ELNS1_3repE0EEENS1_30default_config_static_selectorELNS0_4arch9wavefront6targetE0EEEvT1_.private_seg_size, 0
	.set _ZN7rocprim17ROCPRIM_400000_NS6detail17trampoline_kernelINS0_14default_configENS1_20scan_config_selectorIiEEZZNS1_9scan_implILNS1_25lookback_scan_determinismE0ELb0ELb0ES3_N6thrust23THRUST_200600_302600_NS6detail15normal_iteratorINS9_10device_ptrIiEEEESE_iNS9_4plusIvEEiEEDaPvRmT3_T4_T5_mT6_P12ihipStream_tbENKUlT_T0_E_clISt17integral_constantIbLb1EESU_EEDaSP_SQ_EUlSP_E0_NS1_11comp_targetILNS1_3genE5ELNS1_11target_archE942ELNS1_3gpuE9ELNS1_3repE0EEENS1_30default_config_static_selectorELNS0_4arch9wavefront6targetE0EEEvT1_.uses_vcc, 0
	.set _ZN7rocprim17ROCPRIM_400000_NS6detail17trampoline_kernelINS0_14default_configENS1_20scan_config_selectorIiEEZZNS1_9scan_implILNS1_25lookback_scan_determinismE0ELb0ELb0ES3_N6thrust23THRUST_200600_302600_NS6detail15normal_iteratorINS9_10device_ptrIiEEEESE_iNS9_4plusIvEEiEEDaPvRmT3_T4_T5_mT6_P12ihipStream_tbENKUlT_T0_E_clISt17integral_constantIbLb1EESU_EEDaSP_SQ_EUlSP_E0_NS1_11comp_targetILNS1_3genE5ELNS1_11target_archE942ELNS1_3gpuE9ELNS1_3repE0EEENS1_30default_config_static_selectorELNS0_4arch9wavefront6targetE0EEEvT1_.uses_flat_scratch, 0
	.set _ZN7rocprim17ROCPRIM_400000_NS6detail17trampoline_kernelINS0_14default_configENS1_20scan_config_selectorIiEEZZNS1_9scan_implILNS1_25lookback_scan_determinismE0ELb0ELb0ES3_N6thrust23THRUST_200600_302600_NS6detail15normal_iteratorINS9_10device_ptrIiEEEESE_iNS9_4plusIvEEiEEDaPvRmT3_T4_T5_mT6_P12ihipStream_tbENKUlT_T0_E_clISt17integral_constantIbLb1EESU_EEDaSP_SQ_EUlSP_E0_NS1_11comp_targetILNS1_3genE5ELNS1_11target_archE942ELNS1_3gpuE9ELNS1_3repE0EEENS1_30default_config_static_selectorELNS0_4arch9wavefront6targetE0EEEvT1_.has_dyn_sized_stack, 0
	.set _ZN7rocprim17ROCPRIM_400000_NS6detail17trampoline_kernelINS0_14default_configENS1_20scan_config_selectorIiEEZZNS1_9scan_implILNS1_25lookback_scan_determinismE0ELb0ELb0ES3_N6thrust23THRUST_200600_302600_NS6detail15normal_iteratorINS9_10device_ptrIiEEEESE_iNS9_4plusIvEEiEEDaPvRmT3_T4_T5_mT6_P12ihipStream_tbENKUlT_T0_E_clISt17integral_constantIbLb1EESU_EEDaSP_SQ_EUlSP_E0_NS1_11comp_targetILNS1_3genE5ELNS1_11target_archE942ELNS1_3gpuE9ELNS1_3repE0EEENS1_30default_config_static_selectorELNS0_4arch9wavefront6targetE0EEEvT1_.has_recursion, 0
	.set _ZN7rocprim17ROCPRIM_400000_NS6detail17trampoline_kernelINS0_14default_configENS1_20scan_config_selectorIiEEZZNS1_9scan_implILNS1_25lookback_scan_determinismE0ELb0ELb0ES3_N6thrust23THRUST_200600_302600_NS6detail15normal_iteratorINS9_10device_ptrIiEEEESE_iNS9_4plusIvEEiEEDaPvRmT3_T4_T5_mT6_P12ihipStream_tbENKUlT_T0_E_clISt17integral_constantIbLb1EESU_EEDaSP_SQ_EUlSP_E0_NS1_11comp_targetILNS1_3genE5ELNS1_11target_archE942ELNS1_3gpuE9ELNS1_3repE0EEENS1_30default_config_static_selectorELNS0_4arch9wavefront6targetE0EEEvT1_.has_indirect_call, 0
	.section	.AMDGPU.csdata,"",@progbits
; Kernel info:
; codeLenInByte = 0
; TotalNumSgprs: 0
; NumVgprs: 0
; ScratchSize: 0
; MemoryBound: 0
; FloatMode: 240
; IeeeMode: 1
; LDSByteSize: 0 bytes/workgroup (compile time only)
; SGPRBlocks: 0
; VGPRBlocks: 0
; NumSGPRsForWavesPerEU: 1
; NumVGPRsForWavesPerEU: 1
; NamedBarCnt: 0
; Occupancy: 16
; WaveLimiterHint : 0
; COMPUTE_PGM_RSRC2:SCRATCH_EN: 0
; COMPUTE_PGM_RSRC2:USER_SGPR: 2
; COMPUTE_PGM_RSRC2:TRAP_HANDLER: 0
; COMPUTE_PGM_RSRC2:TGID_X_EN: 1
; COMPUTE_PGM_RSRC2:TGID_Y_EN: 0
; COMPUTE_PGM_RSRC2:TGID_Z_EN: 0
; COMPUTE_PGM_RSRC2:TIDIG_COMP_CNT: 0
	.section	.text._ZN7rocprim17ROCPRIM_400000_NS6detail17trampoline_kernelINS0_14default_configENS1_20scan_config_selectorIiEEZZNS1_9scan_implILNS1_25lookback_scan_determinismE0ELb0ELb0ES3_N6thrust23THRUST_200600_302600_NS6detail15normal_iteratorINS9_10device_ptrIiEEEESE_iNS9_4plusIvEEiEEDaPvRmT3_T4_T5_mT6_P12ihipStream_tbENKUlT_T0_E_clISt17integral_constantIbLb1EESU_EEDaSP_SQ_EUlSP_E0_NS1_11comp_targetILNS1_3genE4ELNS1_11target_archE910ELNS1_3gpuE8ELNS1_3repE0EEENS1_30default_config_static_selectorELNS0_4arch9wavefront6targetE0EEEvT1_,"axG",@progbits,_ZN7rocprim17ROCPRIM_400000_NS6detail17trampoline_kernelINS0_14default_configENS1_20scan_config_selectorIiEEZZNS1_9scan_implILNS1_25lookback_scan_determinismE0ELb0ELb0ES3_N6thrust23THRUST_200600_302600_NS6detail15normal_iteratorINS9_10device_ptrIiEEEESE_iNS9_4plusIvEEiEEDaPvRmT3_T4_T5_mT6_P12ihipStream_tbENKUlT_T0_E_clISt17integral_constantIbLb1EESU_EEDaSP_SQ_EUlSP_E0_NS1_11comp_targetILNS1_3genE4ELNS1_11target_archE910ELNS1_3gpuE8ELNS1_3repE0EEENS1_30default_config_static_selectorELNS0_4arch9wavefront6targetE0EEEvT1_,comdat
	.protected	_ZN7rocprim17ROCPRIM_400000_NS6detail17trampoline_kernelINS0_14default_configENS1_20scan_config_selectorIiEEZZNS1_9scan_implILNS1_25lookback_scan_determinismE0ELb0ELb0ES3_N6thrust23THRUST_200600_302600_NS6detail15normal_iteratorINS9_10device_ptrIiEEEESE_iNS9_4plusIvEEiEEDaPvRmT3_T4_T5_mT6_P12ihipStream_tbENKUlT_T0_E_clISt17integral_constantIbLb1EESU_EEDaSP_SQ_EUlSP_E0_NS1_11comp_targetILNS1_3genE4ELNS1_11target_archE910ELNS1_3gpuE8ELNS1_3repE0EEENS1_30default_config_static_selectorELNS0_4arch9wavefront6targetE0EEEvT1_ ; -- Begin function _ZN7rocprim17ROCPRIM_400000_NS6detail17trampoline_kernelINS0_14default_configENS1_20scan_config_selectorIiEEZZNS1_9scan_implILNS1_25lookback_scan_determinismE0ELb0ELb0ES3_N6thrust23THRUST_200600_302600_NS6detail15normal_iteratorINS9_10device_ptrIiEEEESE_iNS9_4plusIvEEiEEDaPvRmT3_T4_T5_mT6_P12ihipStream_tbENKUlT_T0_E_clISt17integral_constantIbLb1EESU_EEDaSP_SQ_EUlSP_E0_NS1_11comp_targetILNS1_3genE4ELNS1_11target_archE910ELNS1_3gpuE8ELNS1_3repE0EEENS1_30default_config_static_selectorELNS0_4arch9wavefront6targetE0EEEvT1_
	.globl	_ZN7rocprim17ROCPRIM_400000_NS6detail17trampoline_kernelINS0_14default_configENS1_20scan_config_selectorIiEEZZNS1_9scan_implILNS1_25lookback_scan_determinismE0ELb0ELb0ES3_N6thrust23THRUST_200600_302600_NS6detail15normal_iteratorINS9_10device_ptrIiEEEESE_iNS9_4plusIvEEiEEDaPvRmT3_T4_T5_mT6_P12ihipStream_tbENKUlT_T0_E_clISt17integral_constantIbLb1EESU_EEDaSP_SQ_EUlSP_E0_NS1_11comp_targetILNS1_3genE4ELNS1_11target_archE910ELNS1_3gpuE8ELNS1_3repE0EEENS1_30default_config_static_selectorELNS0_4arch9wavefront6targetE0EEEvT1_
	.p2align	8
	.type	_ZN7rocprim17ROCPRIM_400000_NS6detail17trampoline_kernelINS0_14default_configENS1_20scan_config_selectorIiEEZZNS1_9scan_implILNS1_25lookback_scan_determinismE0ELb0ELb0ES3_N6thrust23THRUST_200600_302600_NS6detail15normal_iteratorINS9_10device_ptrIiEEEESE_iNS9_4plusIvEEiEEDaPvRmT3_T4_T5_mT6_P12ihipStream_tbENKUlT_T0_E_clISt17integral_constantIbLb1EESU_EEDaSP_SQ_EUlSP_E0_NS1_11comp_targetILNS1_3genE4ELNS1_11target_archE910ELNS1_3gpuE8ELNS1_3repE0EEENS1_30default_config_static_selectorELNS0_4arch9wavefront6targetE0EEEvT1_,@function
_ZN7rocprim17ROCPRIM_400000_NS6detail17trampoline_kernelINS0_14default_configENS1_20scan_config_selectorIiEEZZNS1_9scan_implILNS1_25lookback_scan_determinismE0ELb0ELb0ES3_N6thrust23THRUST_200600_302600_NS6detail15normal_iteratorINS9_10device_ptrIiEEEESE_iNS9_4plusIvEEiEEDaPvRmT3_T4_T5_mT6_P12ihipStream_tbENKUlT_T0_E_clISt17integral_constantIbLb1EESU_EEDaSP_SQ_EUlSP_E0_NS1_11comp_targetILNS1_3genE4ELNS1_11target_archE910ELNS1_3gpuE8ELNS1_3repE0EEENS1_30default_config_static_selectorELNS0_4arch9wavefront6targetE0EEEvT1_: ; @_ZN7rocprim17ROCPRIM_400000_NS6detail17trampoline_kernelINS0_14default_configENS1_20scan_config_selectorIiEEZZNS1_9scan_implILNS1_25lookback_scan_determinismE0ELb0ELb0ES3_N6thrust23THRUST_200600_302600_NS6detail15normal_iteratorINS9_10device_ptrIiEEEESE_iNS9_4plusIvEEiEEDaPvRmT3_T4_T5_mT6_P12ihipStream_tbENKUlT_T0_E_clISt17integral_constantIbLb1EESU_EEDaSP_SQ_EUlSP_E0_NS1_11comp_targetILNS1_3genE4ELNS1_11target_archE910ELNS1_3gpuE8ELNS1_3repE0EEENS1_30default_config_static_selectorELNS0_4arch9wavefront6targetE0EEEvT1_
; %bb.0:
	.section	.rodata,"a",@progbits
	.p2align	6, 0x0
	.amdhsa_kernel _ZN7rocprim17ROCPRIM_400000_NS6detail17trampoline_kernelINS0_14default_configENS1_20scan_config_selectorIiEEZZNS1_9scan_implILNS1_25lookback_scan_determinismE0ELb0ELb0ES3_N6thrust23THRUST_200600_302600_NS6detail15normal_iteratorINS9_10device_ptrIiEEEESE_iNS9_4plusIvEEiEEDaPvRmT3_T4_T5_mT6_P12ihipStream_tbENKUlT_T0_E_clISt17integral_constantIbLb1EESU_EEDaSP_SQ_EUlSP_E0_NS1_11comp_targetILNS1_3genE4ELNS1_11target_archE910ELNS1_3gpuE8ELNS1_3repE0EEENS1_30default_config_static_selectorELNS0_4arch9wavefront6targetE0EEEvT1_
		.amdhsa_group_segment_fixed_size 0
		.amdhsa_private_segment_fixed_size 0
		.amdhsa_kernarg_size 32
		.amdhsa_user_sgpr_count 2
		.amdhsa_user_sgpr_dispatch_ptr 0
		.amdhsa_user_sgpr_queue_ptr 0
		.amdhsa_user_sgpr_kernarg_segment_ptr 1
		.amdhsa_user_sgpr_dispatch_id 0
		.amdhsa_user_sgpr_kernarg_preload_length 0
		.amdhsa_user_sgpr_kernarg_preload_offset 0
		.amdhsa_user_sgpr_private_segment_size 0
		.amdhsa_wavefront_size32 1
		.amdhsa_uses_dynamic_stack 0
		.amdhsa_enable_private_segment 0
		.amdhsa_system_sgpr_workgroup_id_x 1
		.amdhsa_system_sgpr_workgroup_id_y 0
		.amdhsa_system_sgpr_workgroup_id_z 0
		.amdhsa_system_sgpr_workgroup_info 0
		.amdhsa_system_vgpr_workitem_id 0
		.amdhsa_next_free_vgpr 1
		.amdhsa_next_free_sgpr 1
		.amdhsa_named_barrier_count 0
		.amdhsa_reserve_vcc 0
		.amdhsa_float_round_mode_32 0
		.amdhsa_float_round_mode_16_64 0
		.amdhsa_float_denorm_mode_32 3
		.amdhsa_float_denorm_mode_16_64 3
		.amdhsa_fp16_overflow 0
		.amdhsa_memory_ordered 1
		.amdhsa_forward_progress 1
		.amdhsa_inst_pref_size 0
		.amdhsa_round_robin_scheduling 0
		.amdhsa_exception_fp_ieee_invalid_op 0
		.amdhsa_exception_fp_denorm_src 0
		.amdhsa_exception_fp_ieee_div_zero 0
		.amdhsa_exception_fp_ieee_overflow 0
		.amdhsa_exception_fp_ieee_underflow 0
		.amdhsa_exception_fp_ieee_inexact 0
		.amdhsa_exception_int_div_zero 0
	.end_amdhsa_kernel
	.section	.text._ZN7rocprim17ROCPRIM_400000_NS6detail17trampoline_kernelINS0_14default_configENS1_20scan_config_selectorIiEEZZNS1_9scan_implILNS1_25lookback_scan_determinismE0ELb0ELb0ES3_N6thrust23THRUST_200600_302600_NS6detail15normal_iteratorINS9_10device_ptrIiEEEESE_iNS9_4plusIvEEiEEDaPvRmT3_T4_T5_mT6_P12ihipStream_tbENKUlT_T0_E_clISt17integral_constantIbLb1EESU_EEDaSP_SQ_EUlSP_E0_NS1_11comp_targetILNS1_3genE4ELNS1_11target_archE910ELNS1_3gpuE8ELNS1_3repE0EEENS1_30default_config_static_selectorELNS0_4arch9wavefront6targetE0EEEvT1_,"axG",@progbits,_ZN7rocprim17ROCPRIM_400000_NS6detail17trampoline_kernelINS0_14default_configENS1_20scan_config_selectorIiEEZZNS1_9scan_implILNS1_25lookback_scan_determinismE0ELb0ELb0ES3_N6thrust23THRUST_200600_302600_NS6detail15normal_iteratorINS9_10device_ptrIiEEEESE_iNS9_4plusIvEEiEEDaPvRmT3_T4_T5_mT6_P12ihipStream_tbENKUlT_T0_E_clISt17integral_constantIbLb1EESU_EEDaSP_SQ_EUlSP_E0_NS1_11comp_targetILNS1_3genE4ELNS1_11target_archE910ELNS1_3gpuE8ELNS1_3repE0EEENS1_30default_config_static_selectorELNS0_4arch9wavefront6targetE0EEEvT1_,comdat
.Lfunc_end39:
	.size	_ZN7rocprim17ROCPRIM_400000_NS6detail17trampoline_kernelINS0_14default_configENS1_20scan_config_selectorIiEEZZNS1_9scan_implILNS1_25lookback_scan_determinismE0ELb0ELb0ES3_N6thrust23THRUST_200600_302600_NS6detail15normal_iteratorINS9_10device_ptrIiEEEESE_iNS9_4plusIvEEiEEDaPvRmT3_T4_T5_mT6_P12ihipStream_tbENKUlT_T0_E_clISt17integral_constantIbLb1EESU_EEDaSP_SQ_EUlSP_E0_NS1_11comp_targetILNS1_3genE4ELNS1_11target_archE910ELNS1_3gpuE8ELNS1_3repE0EEENS1_30default_config_static_selectorELNS0_4arch9wavefront6targetE0EEEvT1_, .Lfunc_end39-_ZN7rocprim17ROCPRIM_400000_NS6detail17trampoline_kernelINS0_14default_configENS1_20scan_config_selectorIiEEZZNS1_9scan_implILNS1_25lookback_scan_determinismE0ELb0ELb0ES3_N6thrust23THRUST_200600_302600_NS6detail15normal_iteratorINS9_10device_ptrIiEEEESE_iNS9_4plusIvEEiEEDaPvRmT3_T4_T5_mT6_P12ihipStream_tbENKUlT_T0_E_clISt17integral_constantIbLb1EESU_EEDaSP_SQ_EUlSP_E0_NS1_11comp_targetILNS1_3genE4ELNS1_11target_archE910ELNS1_3gpuE8ELNS1_3repE0EEENS1_30default_config_static_selectorELNS0_4arch9wavefront6targetE0EEEvT1_
                                        ; -- End function
	.set _ZN7rocprim17ROCPRIM_400000_NS6detail17trampoline_kernelINS0_14default_configENS1_20scan_config_selectorIiEEZZNS1_9scan_implILNS1_25lookback_scan_determinismE0ELb0ELb0ES3_N6thrust23THRUST_200600_302600_NS6detail15normal_iteratorINS9_10device_ptrIiEEEESE_iNS9_4plusIvEEiEEDaPvRmT3_T4_T5_mT6_P12ihipStream_tbENKUlT_T0_E_clISt17integral_constantIbLb1EESU_EEDaSP_SQ_EUlSP_E0_NS1_11comp_targetILNS1_3genE4ELNS1_11target_archE910ELNS1_3gpuE8ELNS1_3repE0EEENS1_30default_config_static_selectorELNS0_4arch9wavefront6targetE0EEEvT1_.num_vgpr, 0
	.set _ZN7rocprim17ROCPRIM_400000_NS6detail17trampoline_kernelINS0_14default_configENS1_20scan_config_selectorIiEEZZNS1_9scan_implILNS1_25lookback_scan_determinismE0ELb0ELb0ES3_N6thrust23THRUST_200600_302600_NS6detail15normal_iteratorINS9_10device_ptrIiEEEESE_iNS9_4plusIvEEiEEDaPvRmT3_T4_T5_mT6_P12ihipStream_tbENKUlT_T0_E_clISt17integral_constantIbLb1EESU_EEDaSP_SQ_EUlSP_E0_NS1_11comp_targetILNS1_3genE4ELNS1_11target_archE910ELNS1_3gpuE8ELNS1_3repE0EEENS1_30default_config_static_selectorELNS0_4arch9wavefront6targetE0EEEvT1_.num_agpr, 0
	.set _ZN7rocprim17ROCPRIM_400000_NS6detail17trampoline_kernelINS0_14default_configENS1_20scan_config_selectorIiEEZZNS1_9scan_implILNS1_25lookback_scan_determinismE0ELb0ELb0ES3_N6thrust23THRUST_200600_302600_NS6detail15normal_iteratorINS9_10device_ptrIiEEEESE_iNS9_4plusIvEEiEEDaPvRmT3_T4_T5_mT6_P12ihipStream_tbENKUlT_T0_E_clISt17integral_constantIbLb1EESU_EEDaSP_SQ_EUlSP_E0_NS1_11comp_targetILNS1_3genE4ELNS1_11target_archE910ELNS1_3gpuE8ELNS1_3repE0EEENS1_30default_config_static_selectorELNS0_4arch9wavefront6targetE0EEEvT1_.numbered_sgpr, 0
	.set _ZN7rocprim17ROCPRIM_400000_NS6detail17trampoline_kernelINS0_14default_configENS1_20scan_config_selectorIiEEZZNS1_9scan_implILNS1_25lookback_scan_determinismE0ELb0ELb0ES3_N6thrust23THRUST_200600_302600_NS6detail15normal_iteratorINS9_10device_ptrIiEEEESE_iNS9_4plusIvEEiEEDaPvRmT3_T4_T5_mT6_P12ihipStream_tbENKUlT_T0_E_clISt17integral_constantIbLb1EESU_EEDaSP_SQ_EUlSP_E0_NS1_11comp_targetILNS1_3genE4ELNS1_11target_archE910ELNS1_3gpuE8ELNS1_3repE0EEENS1_30default_config_static_selectorELNS0_4arch9wavefront6targetE0EEEvT1_.num_named_barrier, 0
	.set _ZN7rocprim17ROCPRIM_400000_NS6detail17trampoline_kernelINS0_14default_configENS1_20scan_config_selectorIiEEZZNS1_9scan_implILNS1_25lookback_scan_determinismE0ELb0ELb0ES3_N6thrust23THRUST_200600_302600_NS6detail15normal_iteratorINS9_10device_ptrIiEEEESE_iNS9_4plusIvEEiEEDaPvRmT3_T4_T5_mT6_P12ihipStream_tbENKUlT_T0_E_clISt17integral_constantIbLb1EESU_EEDaSP_SQ_EUlSP_E0_NS1_11comp_targetILNS1_3genE4ELNS1_11target_archE910ELNS1_3gpuE8ELNS1_3repE0EEENS1_30default_config_static_selectorELNS0_4arch9wavefront6targetE0EEEvT1_.private_seg_size, 0
	.set _ZN7rocprim17ROCPRIM_400000_NS6detail17trampoline_kernelINS0_14default_configENS1_20scan_config_selectorIiEEZZNS1_9scan_implILNS1_25lookback_scan_determinismE0ELb0ELb0ES3_N6thrust23THRUST_200600_302600_NS6detail15normal_iteratorINS9_10device_ptrIiEEEESE_iNS9_4plusIvEEiEEDaPvRmT3_T4_T5_mT6_P12ihipStream_tbENKUlT_T0_E_clISt17integral_constantIbLb1EESU_EEDaSP_SQ_EUlSP_E0_NS1_11comp_targetILNS1_3genE4ELNS1_11target_archE910ELNS1_3gpuE8ELNS1_3repE0EEENS1_30default_config_static_selectorELNS0_4arch9wavefront6targetE0EEEvT1_.uses_vcc, 0
	.set _ZN7rocprim17ROCPRIM_400000_NS6detail17trampoline_kernelINS0_14default_configENS1_20scan_config_selectorIiEEZZNS1_9scan_implILNS1_25lookback_scan_determinismE0ELb0ELb0ES3_N6thrust23THRUST_200600_302600_NS6detail15normal_iteratorINS9_10device_ptrIiEEEESE_iNS9_4plusIvEEiEEDaPvRmT3_T4_T5_mT6_P12ihipStream_tbENKUlT_T0_E_clISt17integral_constantIbLb1EESU_EEDaSP_SQ_EUlSP_E0_NS1_11comp_targetILNS1_3genE4ELNS1_11target_archE910ELNS1_3gpuE8ELNS1_3repE0EEENS1_30default_config_static_selectorELNS0_4arch9wavefront6targetE0EEEvT1_.uses_flat_scratch, 0
	.set _ZN7rocprim17ROCPRIM_400000_NS6detail17trampoline_kernelINS0_14default_configENS1_20scan_config_selectorIiEEZZNS1_9scan_implILNS1_25lookback_scan_determinismE0ELb0ELb0ES3_N6thrust23THRUST_200600_302600_NS6detail15normal_iteratorINS9_10device_ptrIiEEEESE_iNS9_4plusIvEEiEEDaPvRmT3_T4_T5_mT6_P12ihipStream_tbENKUlT_T0_E_clISt17integral_constantIbLb1EESU_EEDaSP_SQ_EUlSP_E0_NS1_11comp_targetILNS1_3genE4ELNS1_11target_archE910ELNS1_3gpuE8ELNS1_3repE0EEENS1_30default_config_static_selectorELNS0_4arch9wavefront6targetE0EEEvT1_.has_dyn_sized_stack, 0
	.set _ZN7rocprim17ROCPRIM_400000_NS6detail17trampoline_kernelINS0_14default_configENS1_20scan_config_selectorIiEEZZNS1_9scan_implILNS1_25lookback_scan_determinismE0ELb0ELb0ES3_N6thrust23THRUST_200600_302600_NS6detail15normal_iteratorINS9_10device_ptrIiEEEESE_iNS9_4plusIvEEiEEDaPvRmT3_T4_T5_mT6_P12ihipStream_tbENKUlT_T0_E_clISt17integral_constantIbLb1EESU_EEDaSP_SQ_EUlSP_E0_NS1_11comp_targetILNS1_3genE4ELNS1_11target_archE910ELNS1_3gpuE8ELNS1_3repE0EEENS1_30default_config_static_selectorELNS0_4arch9wavefront6targetE0EEEvT1_.has_recursion, 0
	.set _ZN7rocprim17ROCPRIM_400000_NS6detail17trampoline_kernelINS0_14default_configENS1_20scan_config_selectorIiEEZZNS1_9scan_implILNS1_25lookback_scan_determinismE0ELb0ELb0ES3_N6thrust23THRUST_200600_302600_NS6detail15normal_iteratorINS9_10device_ptrIiEEEESE_iNS9_4plusIvEEiEEDaPvRmT3_T4_T5_mT6_P12ihipStream_tbENKUlT_T0_E_clISt17integral_constantIbLb1EESU_EEDaSP_SQ_EUlSP_E0_NS1_11comp_targetILNS1_3genE4ELNS1_11target_archE910ELNS1_3gpuE8ELNS1_3repE0EEENS1_30default_config_static_selectorELNS0_4arch9wavefront6targetE0EEEvT1_.has_indirect_call, 0
	.section	.AMDGPU.csdata,"",@progbits
; Kernel info:
; codeLenInByte = 0
; TotalNumSgprs: 0
; NumVgprs: 0
; ScratchSize: 0
; MemoryBound: 0
; FloatMode: 240
; IeeeMode: 1
; LDSByteSize: 0 bytes/workgroup (compile time only)
; SGPRBlocks: 0
; VGPRBlocks: 0
; NumSGPRsForWavesPerEU: 1
; NumVGPRsForWavesPerEU: 1
; NamedBarCnt: 0
; Occupancy: 16
; WaveLimiterHint : 0
; COMPUTE_PGM_RSRC2:SCRATCH_EN: 0
; COMPUTE_PGM_RSRC2:USER_SGPR: 2
; COMPUTE_PGM_RSRC2:TRAP_HANDLER: 0
; COMPUTE_PGM_RSRC2:TGID_X_EN: 1
; COMPUTE_PGM_RSRC2:TGID_Y_EN: 0
; COMPUTE_PGM_RSRC2:TGID_Z_EN: 0
; COMPUTE_PGM_RSRC2:TIDIG_COMP_CNT: 0
	.section	.text._ZN7rocprim17ROCPRIM_400000_NS6detail17trampoline_kernelINS0_14default_configENS1_20scan_config_selectorIiEEZZNS1_9scan_implILNS1_25lookback_scan_determinismE0ELb0ELb0ES3_N6thrust23THRUST_200600_302600_NS6detail15normal_iteratorINS9_10device_ptrIiEEEESE_iNS9_4plusIvEEiEEDaPvRmT3_T4_T5_mT6_P12ihipStream_tbENKUlT_T0_E_clISt17integral_constantIbLb1EESU_EEDaSP_SQ_EUlSP_E0_NS1_11comp_targetILNS1_3genE3ELNS1_11target_archE908ELNS1_3gpuE7ELNS1_3repE0EEENS1_30default_config_static_selectorELNS0_4arch9wavefront6targetE0EEEvT1_,"axG",@progbits,_ZN7rocprim17ROCPRIM_400000_NS6detail17trampoline_kernelINS0_14default_configENS1_20scan_config_selectorIiEEZZNS1_9scan_implILNS1_25lookback_scan_determinismE0ELb0ELb0ES3_N6thrust23THRUST_200600_302600_NS6detail15normal_iteratorINS9_10device_ptrIiEEEESE_iNS9_4plusIvEEiEEDaPvRmT3_T4_T5_mT6_P12ihipStream_tbENKUlT_T0_E_clISt17integral_constantIbLb1EESU_EEDaSP_SQ_EUlSP_E0_NS1_11comp_targetILNS1_3genE3ELNS1_11target_archE908ELNS1_3gpuE7ELNS1_3repE0EEENS1_30default_config_static_selectorELNS0_4arch9wavefront6targetE0EEEvT1_,comdat
	.protected	_ZN7rocprim17ROCPRIM_400000_NS6detail17trampoline_kernelINS0_14default_configENS1_20scan_config_selectorIiEEZZNS1_9scan_implILNS1_25lookback_scan_determinismE0ELb0ELb0ES3_N6thrust23THRUST_200600_302600_NS6detail15normal_iteratorINS9_10device_ptrIiEEEESE_iNS9_4plusIvEEiEEDaPvRmT3_T4_T5_mT6_P12ihipStream_tbENKUlT_T0_E_clISt17integral_constantIbLb1EESU_EEDaSP_SQ_EUlSP_E0_NS1_11comp_targetILNS1_3genE3ELNS1_11target_archE908ELNS1_3gpuE7ELNS1_3repE0EEENS1_30default_config_static_selectorELNS0_4arch9wavefront6targetE0EEEvT1_ ; -- Begin function _ZN7rocprim17ROCPRIM_400000_NS6detail17trampoline_kernelINS0_14default_configENS1_20scan_config_selectorIiEEZZNS1_9scan_implILNS1_25lookback_scan_determinismE0ELb0ELb0ES3_N6thrust23THRUST_200600_302600_NS6detail15normal_iteratorINS9_10device_ptrIiEEEESE_iNS9_4plusIvEEiEEDaPvRmT3_T4_T5_mT6_P12ihipStream_tbENKUlT_T0_E_clISt17integral_constantIbLb1EESU_EEDaSP_SQ_EUlSP_E0_NS1_11comp_targetILNS1_3genE3ELNS1_11target_archE908ELNS1_3gpuE7ELNS1_3repE0EEENS1_30default_config_static_selectorELNS0_4arch9wavefront6targetE0EEEvT1_
	.globl	_ZN7rocprim17ROCPRIM_400000_NS6detail17trampoline_kernelINS0_14default_configENS1_20scan_config_selectorIiEEZZNS1_9scan_implILNS1_25lookback_scan_determinismE0ELb0ELb0ES3_N6thrust23THRUST_200600_302600_NS6detail15normal_iteratorINS9_10device_ptrIiEEEESE_iNS9_4plusIvEEiEEDaPvRmT3_T4_T5_mT6_P12ihipStream_tbENKUlT_T0_E_clISt17integral_constantIbLb1EESU_EEDaSP_SQ_EUlSP_E0_NS1_11comp_targetILNS1_3genE3ELNS1_11target_archE908ELNS1_3gpuE7ELNS1_3repE0EEENS1_30default_config_static_selectorELNS0_4arch9wavefront6targetE0EEEvT1_
	.p2align	8
	.type	_ZN7rocprim17ROCPRIM_400000_NS6detail17trampoline_kernelINS0_14default_configENS1_20scan_config_selectorIiEEZZNS1_9scan_implILNS1_25lookback_scan_determinismE0ELb0ELb0ES3_N6thrust23THRUST_200600_302600_NS6detail15normal_iteratorINS9_10device_ptrIiEEEESE_iNS9_4plusIvEEiEEDaPvRmT3_T4_T5_mT6_P12ihipStream_tbENKUlT_T0_E_clISt17integral_constantIbLb1EESU_EEDaSP_SQ_EUlSP_E0_NS1_11comp_targetILNS1_3genE3ELNS1_11target_archE908ELNS1_3gpuE7ELNS1_3repE0EEENS1_30default_config_static_selectorELNS0_4arch9wavefront6targetE0EEEvT1_,@function
_ZN7rocprim17ROCPRIM_400000_NS6detail17trampoline_kernelINS0_14default_configENS1_20scan_config_selectorIiEEZZNS1_9scan_implILNS1_25lookback_scan_determinismE0ELb0ELb0ES3_N6thrust23THRUST_200600_302600_NS6detail15normal_iteratorINS9_10device_ptrIiEEEESE_iNS9_4plusIvEEiEEDaPvRmT3_T4_T5_mT6_P12ihipStream_tbENKUlT_T0_E_clISt17integral_constantIbLb1EESU_EEDaSP_SQ_EUlSP_E0_NS1_11comp_targetILNS1_3genE3ELNS1_11target_archE908ELNS1_3gpuE7ELNS1_3repE0EEENS1_30default_config_static_selectorELNS0_4arch9wavefront6targetE0EEEvT1_: ; @_ZN7rocprim17ROCPRIM_400000_NS6detail17trampoline_kernelINS0_14default_configENS1_20scan_config_selectorIiEEZZNS1_9scan_implILNS1_25lookback_scan_determinismE0ELb0ELb0ES3_N6thrust23THRUST_200600_302600_NS6detail15normal_iteratorINS9_10device_ptrIiEEEESE_iNS9_4plusIvEEiEEDaPvRmT3_T4_T5_mT6_P12ihipStream_tbENKUlT_T0_E_clISt17integral_constantIbLb1EESU_EEDaSP_SQ_EUlSP_E0_NS1_11comp_targetILNS1_3genE3ELNS1_11target_archE908ELNS1_3gpuE7ELNS1_3repE0EEENS1_30default_config_static_selectorELNS0_4arch9wavefront6targetE0EEEvT1_
; %bb.0:
	.section	.rodata,"a",@progbits
	.p2align	6, 0x0
	.amdhsa_kernel _ZN7rocprim17ROCPRIM_400000_NS6detail17trampoline_kernelINS0_14default_configENS1_20scan_config_selectorIiEEZZNS1_9scan_implILNS1_25lookback_scan_determinismE0ELb0ELb0ES3_N6thrust23THRUST_200600_302600_NS6detail15normal_iteratorINS9_10device_ptrIiEEEESE_iNS9_4plusIvEEiEEDaPvRmT3_T4_T5_mT6_P12ihipStream_tbENKUlT_T0_E_clISt17integral_constantIbLb1EESU_EEDaSP_SQ_EUlSP_E0_NS1_11comp_targetILNS1_3genE3ELNS1_11target_archE908ELNS1_3gpuE7ELNS1_3repE0EEENS1_30default_config_static_selectorELNS0_4arch9wavefront6targetE0EEEvT1_
		.amdhsa_group_segment_fixed_size 0
		.amdhsa_private_segment_fixed_size 0
		.amdhsa_kernarg_size 32
		.amdhsa_user_sgpr_count 2
		.amdhsa_user_sgpr_dispatch_ptr 0
		.amdhsa_user_sgpr_queue_ptr 0
		.amdhsa_user_sgpr_kernarg_segment_ptr 1
		.amdhsa_user_sgpr_dispatch_id 0
		.amdhsa_user_sgpr_kernarg_preload_length 0
		.amdhsa_user_sgpr_kernarg_preload_offset 0
		.amdhsa_user_sgpr_private_segment_size 0
		.amdhsa_wavefront_size32 1
		.amdhsa_uses_dynamic_stack 0
		.amdhsa_enable_private_segment 0
		.amdhsa_system_sgpr_workgroup_id_x 1
		.amdhsa_system_sgpr_workgroup_id_y 0
		.amdhsa_system_sgpr_workgroup_id_z 0
		.amdhsa_system_sgpr_workgroup_info 0
		.amdhsa_system_vgpr_workitem_id 0
		.amdhsa_next_free_vgpr 1
		.amdhsa_next_free_sgpr 1
		.amdhsa_named_barrier_count 0
		.amdhsa_reserve_vcc 0
		.amdhsa_float_round_mode_32 0
		.amdhsa_float_round_mode_16_64 0
		.amdhsa_float_denorm_mode_32 3
		.amdhsa_float_denorm_mode_16_64 3
		.amdhsa_fp16_overflow 0
		.amdhsa_memory_ordered 1
		.amdhsa_forward_progress 1
		.amdhsa_inst_pref_size 0
		.amdhsa_round_robin_scheduling 0
		.amdhsa_exception_fp_ieee_invalid_op 0
		.amdhsa_exception_fp_denorm_src 0
		.amdhsa_exception_fp_ieee_div_zero 0
		.amdhsa_exception_fp_ieee_overflow 0
		.amdhsa_exception_fp_ieee_underflow 0
		.amdhsa_exception_fp_ieee_inexact 0
		.amdhsa_exception_int_div_zero 0
	.end_amdhsa_kernel
	.section	.text._ZN7rocprim17ROCPRIM_400000_NS6detail17trampoline_kernelINS0_14default_configENS1_20scan_config_selectorIiEEZZNS1_9scan_implILNS1_25lookback_scan_determinismE0ELb0ELb0ES3_N6thrust23THRUST_200600_302600_NS6detail15normal_iteratorINS9_10device_ptrIiEEEESE_iNS9_4plusIvEEiEEDaPvRmT3_T4_T5_mT6_P12ihipStream_tbENKUlT_T0_E_clISt17integral_constantIbLb1EESU_EEDaSP_SQ_EUlSP_E0_NS1_11comp_targetILNS1_3genE3ELNS1_11target_archE908ELNS1_3gpuE7ELNS1_3repE0EEENS1_30default_config_static_selectorELNS0_4arch9wavefront6targetE0EEEvT1_,"axG",@progbits,_ZN7rocprim17ROCPRIM_400000_NS6detail17trampoline_kernelINS0_14default_configENS1_20scan_config_selectorIiEEZZNS1_9scan_implILNS1_25lookback_scan_determinismE0ELb0ELb0ES3_N6thrust23THRUST_200600_302600_NS6detail15normal_iteratorINS9_10device_ptrIiEEEESE_iNS9_4plusIvEEiEEDaPvRmT3_T4_T5_mT6_P12ihipStream_tbENKUlT_T0_E_clISt17integral_constantIbLb1EESU_EEDaSP_SQ_EUlSP_E0_NS1_11comp_targetILNS1_3genE3ELNS1_11target_archE908ELNS1_3gpuE7ELNS1_3repE0EEENS1_30default_config_static_selectorELNS0_4arch9wavefront6targetE0EEEvT1_,comdat
.Lfunc_end40:
	.size	_ZN7rocprim17ROCPRIM_400000_NS6detail17trampoline_kernelINS0_14default_configENS1_20scan_config_selectorIiEEZZNS1_9scan_implILNS1_25lookback_scan_determinismE0ELb0ELb0ES3_N6thrust23THRUST_200600_302600_NS6detail15normal_iteratorINS9_10device_ptrIiEEEESE_iNS9_4plusIvEEiEEDaPvRmT3_T4_T5_mT6_P12ihipStream_tbENKUlT_T0_E_clISt17integral_constantIbLb1EESU_EEDaSP_SQ_EUlSP_E0_NS1_11comp_targetILNS1_3genE3ELNS1_11target_archE908ELNS1_3gpuE7ELNS1_3repE0EEENS1_30default_config_static_selectorELNS0_4arch9wavefront6targetE0EEEvT1_, .Lfunc_end40-_ZN7rocprim17ROCPRIM_400000_NS6detail17trampoline_kernelINS0_14default_configENS1_20scan_config_selectorIiEEZZNS1_9scan_implILNS1_25lookback_scan_determinismE0ELb0ELb0ES3_N6thrust23THRUST_200600_302600_NS6detail15normal_iteratorINS9_10device_ptrIiEEEESE_iNS9_4plusIvEEiEEDaPvRmT3_T4_T5_mT6_P12ihipStream_tbENKUlT_T0_E_clISt17integral_constantIbLb1EESU_EEDaSP_SQ_EUlSP_E0_NS1_11comp_targetILNS1_3genE3ELNS1_11target_archE908ELNS1_3gpuE7ELNS1_3repE0EEENS1_30default_config_static_selectorELNS0_4arch9wavefront6targetE0EEEvT1_
                                        ; -- End function
	.set _ZN7rocprim17ROCPRIM_400000_NS6detail17trampoline_kernelINS0_14default_configENS1_20scan_config_selectorIiEEZZNS1_9scan_implILNS1_25lookback_scan_determinismE0ELb0ELb0ES3_N6thrust23THRUST_200600_302600_NS6detail15normal_iteratorINS9_10device_ptrIiEEEESE_iNS9_4plusIvEEiEEDaPvRmT3_T4_T5_mT6_P12ihipStream_tbENKUlT_T0_E_clISt17integral_constantIbLb1EESU_EEDaSP_SQ_EUlSP_E0_NS1_11comp_targetILNS1_3genE3ELNS1_11target_archE908ELNS1_3gpuE7ELNS1_3repE0EEENS1_30default_config_static_selectorELNS0_4arch9wavefront6targetE0EEEvT1_.num_vgpr, 0
	.set _ZN7rocprim17ROCPRIM_400000_NS6detail17trampoline_kernelINS0_14default_configENS1_20scan_config_selectorIiEEZZNS1_9scan_implILNS1_25lookback_scan_determinismE0ELb0ELb0ES3_N6thrust23THRUST_200600_302600_NS6detail15normal_iteratorINS9_10device_ptrIiEEEESE_iNS9_4plusIvEEiEEDaPvRmT3_T4_T5_mT6_P12ihipStream_tbENKUlT_T0_E_clISt17integral_constantIbLb1EESU_EEDaSP_SQ_EUlSP_E0_NS1_11comp_targetILNS1_3genE3ELNS1_11target_archE908ELNS1_3gpuE7ELNS1_3repE0EEENS1_30default_config_static_selectorELNS0_4arch9wavefront6targetE0EEEvT1_.num_agpr, 0
	.set _ZN7rocprim17ROCPRIM_400000_NS6detail17trampoline_kernelINS0_14default_configENS1_20scan_config_selectorIiEEZZNS1_9scan_implILNS1_25lookback_scan_determinismE0ELb0ELb0ES3_N6thrust23THRUST_200600_302600_NS6detail15normal_iteratorINS9_10device_ptrIiEEEESE_iNS9_4plusIvEEiEEDaPvRmT3_T4_T5_mT6_P12ihipStream_tbENKUlT_T0_E_clISt17integral_constantIbLb1EESU_EEDaSP_SQ_EUlSP_E0_NS1_11comp_targetILNS1_3genE3ELNS1_11target_archE908ELNS1_3gpuE7ELNS1_3repE0EEENS1_30default_config_static_selectorELNS0_4arch9wavefront6targetE0EEEvT1_.numbered_sgpr, 0
	.set _ZN7rocprim17ROCPRIM_400000_NS6detail17trampoline_kernelINS0_14default_configENS1_20scan_config_selectorIiEEZZNS1_9scan_implILNS1_25lookback_scan_determinismE0ELb0ELb0ES3_N6thrust23THRUST_200600_302600_NS6detail15normal_iteratorINS9_10device_ptrIiEEEESE_iNS9_4plusIvEEiEEDaPvRmT3_T4_T5_mT6_P12ihipStream_tbENKUlT_T0_E_clISt17integral_constantIbLb1EESU_EEDaSP_SQ_EUlSP_E0_NS1_11comp_targetILNS1_3genE3ELNS1_11target_archE908ELNS1_3gpuE7ELNS1_3repE0EEENS1_30default_config_static_selectorELNS0_4arch9wavefront6targetE0EEEvT1_.num_named_barrier, 0
	.set _ZN7rocprim17ROCPRIM_400000_NS6detail17trampoline_kernelINS0_14default_configENS1_20scan_config_selectorIiEEZZNS1_9scan_implILNS1_25lookback_scan_determinismE0ELb0ELb0ES3_N6thrust23THRUST_200600_302600_NS6detail15normal_iteratorINS9_10device_ptrIiEEEESE_iNS9_4plusIvEEiEEDaPvRmT3_T4_T5_mT6_P12ihipStream_tbENKUlT_T0_E_clISt17integral_constantIbLb1EESU_EEDaSP_SQ_EUlSP_E0_NS1_11comp_targetILNS1_3genE3ELNS1_11target_archE908ELNS1_3gpuE7ELNS1_3repE0EEENS1_30default_config_static_selectorELNS0_4arch9wavefront6targetE0EEEvT1_.private_seg_size, 0
	.set _ZN7rocprim17ROCPRIM_400000_NS6detail17trampoline_kernelINS0_14default_configENS1_20scan_config_selectorIiEEZZNS1_9scan_implILNS1_25lookback_scan_determinismE0ELb0ELb0ES3_N6thrust23THRUST_200600_302600_NS6detail15normal_iteratorINS9_10device_ptrIiEEEESE_iNS9_4plusIvEEiEEDaPvRmT3_T4_T5_mT6_P12ihipStream_tbENKUlT_T0_E_clISt17integral_constantIbLb1EESU_EEDaSP_SQ_EUlSP_E0_NS1_11comp_targetILNS1_3genE3ELNS1_11target_archE908ELNS1_3gpuE7ELNS1_3repE0EEENS1_30default_config_static_selectorELNS0_4arch9wavefront6targetE0EEEvT1_.uses_vcc, 0
	.set _ZN7rocprim17ROCPRIM_400000_NS6detail17trampoline_kernelINS0_14default_configENS1_20scan_config_selectorIiEEZZNS1_9scan_implILNS1_25lookback_scan_determinismE0ELb0ELb0ES3_N6thrust23THRUST_200600_302600_NS6detail15normal_iteratorINS9_10device_ptrIiEEEESE_iNS9_4plusIvEEiEEDaPvRmT3_T4_T5_mT6_P12ihipStream_tbENKUlT_T0_E_clISt17integral_constantIbLb1EESU_EEDaSP_SQ_EUlSP_E0_NS1_11comp_targetILNS1_3genE3ELNS1_11target_archE908ELNS1_3gpuE7ELNS1_3repE0EEENS1_30default_config_static_selectorELNS0_4arch9wavefront6targetE0EEEvT1_.uses_flat_scratch, 0
	.set _ZN7rocprim17ROCPRIM_400000_NS6detail17trampoline_kernelINS0_14default_configENS1_20scan_config_selectorIiEEZZNS1_9scan_implILNS1_25lookback_scan_determinismE0ELb0ELb0ES3_N6thrust23THRUST_200600_302600_NS6detail15normal_iteratorINS9_10device_ptrIiEEEESE_iNS9_4plusIvEEiEEDaPvRmT3_T4_T5_mT6_P12ihipStream_tbENKUlT_T0_E_clISt17integral_constantIbLb1EESU_EEDaSP_SQ_EUlSP_E0_NS1_11comp_targetILNS1_3genE3ELNS1_11target_archE908ELNS1_3gpuE7ELNS1_3repE0EEENS1_30default_config_static_selectorELNS0_4arch9wavefront6targetE0EEEvT1_.has_dyn_sized_stack, 0
	.set _ZN7rocprim17ROCPRIM_400000_NS6detail17trampoline_kernelINS0_14default_configENS1_20scan_config_selectorIiEEZZNS1_9scan_implILNS1_25lookback_scan_determinismE0ELb0ELb0ES3_N6thrust23THRUST_200600_302600_NS6detail15normal_iteratorINS9_10device_ptrIiEEEESE_iNS9_4plusIvEEiEEDaPvRmT3_T4_T5_mT6_P12ihipStream_tbENKUlT_T0_E_clISt17integral_constantIbLb1EESU_EEDaSP_SQ_EUlSP_E0_NS1_11comp_targetILNS1_3genE3ELNS1_11target_archE908ELNS1_3gpuE7ELNS1_3repE0EEENS1_30default_config_static_selectorELNS0_4arch9wavefront6targetE0EEEvT1_.has_recursion, 0
	.set _ZN7rocprim17ROCPRIM_400000_NS6detail17trampoline_kernelINS0_14default_configENS1_20scan_config_selectorIiEEZZNS1_9scan_implILNS1_25lookback_scan_determinismE0ELb0ELb0ES3_N6thrust23THRUST_200600_302600_NS6detail15normal_iteratorINS9_10device_ptrIiEEEESE_iNS9_4plusIvEEiEEDaPvRmT3_T4_T5_mT6_P12ihipStream_tbENKUlT_T0_E_clISt17integral_constantIbLb1EESU_EEDaSP_SQ_EUlSP_E0_NS1_11comp_targetILNS1_3genE3ELNS1_11target_archE908ELNS1_3gpuE7ELNS1_3repE0EEENS1_30default_config_static_selectorELNS0_4arch9wavefront6targetE0EEEvT1_.has_indirect_call, 0
	.section	.AMDGPU.csdata,"",@progbits
; Kernel info:
; codeLenInByte = 0
; TotalNumSgprs: 0
; NumVgprs: 0
; ScratchSize: 0
; MemoryBound: 0
; FloatMode: 240
; IeeeMode: 1
; LDSByteSize: 0 bytes/workgroup (compile time only)
; SGPRBlocks: 0
; VGPRBlocks: 0
; NumSGPRsForWavesPerEU: 1
; NumVGPRsForWavesPerEU: 1
; NamedBarCnt: 0
; Occupancy: 16
; WaveLimiterHint : 0
; COMPUTE_PGM_RSRC2:SCRATCH_EN: 0
; COMPUTE_PGM_RSRC2:USER_SGPR: 2
; COMPUTE_PGM_RSRC2:TRAP_HANDLER: 0
; COMPUTE_PGM_RSRC2:TGID_X_EN: 1
; COMPUTE_PGM_RSRC2:TGID_Y_EN: 0
; COMPUTE_PGM_RSRC2:TGID_Z_EN: 0
; COMPUTE_PGM_RSRC2:TIDIG_COMP_CNT: 0
	.section	.text._ZN7rocprim17ROCPRIM_400000_NS6detail17trampoline_kernelINS0_14default_configENS1_20scan_config_selectorIiEEZZNS1_9scan_implILNS1_25lookback_scan_determinismE0ELb0ELb0ES3_N6thrust23THRUST_200600_302600_NS6detail15normal_iteratorINS9_10device_ptrIiEEEESE_iNS9_4plusIvEEiEEDaPvRmT3_T4_T5_mT6_P12ihipStream_tbENKUlT_T0_E_clISt17integral_constantIbLb1EESU_EEDaSP_SQ_EUlSP_E0_NS1_11comp_targetILNS1_3genE2ELNS1_11target_archE906ELNS1_3gpuE6ELNS1_3repE0EEENS1_30default_config_static_selectorELNS0_4arch9wavefront6targetE0EEEvT1_,"axG",@progbits,_ZN7rocprim17ROCPRIM_400000_NS6detail17trampoline_kernelINS0_14default_configENS1_20scan_config_selectorIiEEZZNS1_9scan_implILNS1_25lookback_scan_determinismE0ELb0ELb0ES3_N6thrust23THRUST_200600_302600_NS6detail15normal_iteratorINS9_10device_ptrIiEEEESE_iNS9_4plusIvEEiEEDaPvRmT3_T4_T5_mT6_P12ihipStream_tbENKUlT_T0_E_clISt17integral_constantIbLb1EESU_EEDaSP_SQ_EUlSP_E0_NS1_11comp_targetILNS1_3genE2ELNS1_11target_archE906ELNS1_3gpuE6ELNS1_3repE0EEENS1_30default_config_static_selectorELNS0_4arch9wavefront6targetE0EEEvT1_,comdat
	.protected	_ZN7rocprim17ROCPRIM_400000_NS6detail17trampoline_kernelINS0_14default_configENS1_20scan_config_selectorIiEEZZNS1_9scan_implILNS1_25lookback_scan_determinismE0ELb0ELb0ES3_N6thrust23THRUST_200600_302600_NS6detail15normal_iteratorINS9_10device_ptrIiEEEESE_iNS9_4plusIvEEiEEDaPvRmT3_T4_T5_mT6_P12ihipStream_tbENKUlT_T0_E_clISt17integral_constantIbLb1EESU_EEDaSP_SQ_EUlSP_E0_NS1_11comp_targetILNS1_3genE2ELNS1_11target_archE906ELNS1_3gpuE6ELNS1_3repE0EEENS1_30default_config_static_selectorELNS0_4arch9wavefront6targetE0EEEvT1_ ; -- Begin function _ZN7rocprim17ROCPRIM_400000_NS6detail17trampoline_kernelINS0_14default_configENS1_20scan_config_selectorIiEEZZNS1_9scan_implILNS1_25lookback_scan_determinismE0ELb0ELb0ES3_N6thrust23THRUST_200600_302600_NS6detail15normal_iteratorINS9_10device_ptrIiEEEESE_iNS9_4plusIvEEiEEDaPvRmT3_T4_T5_mT6_P12ihipStream_tbENKUlT_T0_E_clISt17integral_constantIbLb1EESU_EEDaSP_SQ_EUlSP_E0_NS1_11comp_targetILNS1_3genE2ELNS1_11target_archE906ELNS1_3gpuE6ELNS1_3repE0EEENS1_30default_config_static_selectorELNS0_4arch9wavefront6targetE0EEEvT1_
	.globl	_ZN7rocprim17ROCPRIM_400000_NS6detail17trampoline_kernelINS0_14default_configENS1_20scan_config_selectorIiEEZZNS1_9scan_implILNS1_25lookback_scan_determinismE0ELb0ELb0ES3_N6thrust23THRUST_200600_302600_NS6detail15normal_iteratorINS9_10device_ptrIiEEEESE_iNS9_4plusIvEEiEEDaPvRmT3_T4_T5_mT6_P12ihipStream_tbENKUlT_T0_E_clISt17integral_constantIbLb1EESU_EEDaSP_SQ_EUlSP_E0_NS1_11comp_targetILNS1_3genE2ELNS1_11target_archE906ELNS1_3gpuE6ELNS1_3repE0EEENS1_30default_config_static_selectorELNS0_4arch9wavefront6targetE0EEEvT1_
	.p2align	8
	.type	_ZN7rocprim17ROCPRIM_400000_NS6detail17trampoline_kernelINS0_14default_configENS1_20scan_config_selectorIiEEZZNS1_9scan_implILNS1_25lookback_scan_determinismE0ELb0ELb0ES3_N6thrust23THRUST_200600_302600_NS6detail15normal_iteratorINS9_10device_ptrIiEEEESE_iNS9_4plusIvEEiEEDaPvRmT3_T4_T5_mT6_P12ihipStream_tbENKUlT_T0_E_clISt17integral_constantIbLb1EESU_EEDaSP_SQ_EUlSP_E0_NS1_11comp_targetILNS1_3genE2ELNS1_11target_archE906ELNS1_3gpuE6ELNS1_3repE0EEENS1_30default_config_static_selectorELNS0_4arch9wavefront6targetE0EEEvT1_,@function
_ZN7rocprim17ROCPRIM_400000_NS6detail17trampoline_kernelINS0_14default_configENS1_20scan_config_selectorIiEEZZNS1_9scan_implILNS1_25lookback_scan_determinismE0ELb0ELb0ES3_N6thrust23THRUST_200600_302600_NS6detail15normal_iteratorINS9_10device_ptrIiEEEESE_iNS9_4plusIvEEiEEDaPvRmT3_T4_T5_mT6_P12ihipStream_tbENKUlT_T0_E_clISt17integral_constantIbLb1EESU_EEDaSP_SQ_EUlSP_E0_NS1_11comp_targetILNS1_3genE2ELNS1_11target_archE906ELNS1_3gpuE6ELNS1_3repE0EEENS1_30default_config_static_selectorELNS0_4arch9wavefront6targetE0EEEvT1_: ; @_ZN7rocprim17ROCPRIM_400000_NS6detail17trampoline_kernelINS0_14default_configENS1_20scan_config_selectorIiEEZZNS1_9scan_implILNS1_25lookback_scan_determinismE0ELb0ELb0ES3_N6thrust23THRUST_200600_302600_NS6detail15normal_iteratorINS9_10device_ptrIiEEEESE_iNS9_4plusIvEEiEEDaPvRmT3_T4_T5_mT6_P12ihipStream_tbENKUlT_T0_E_clISt17integral_constantIbLb1EESU_EEDaSP_SQ_EUlSP_E0_NS1_11comp_targetILNS1_3genE2ELNS1_11target_archE906ELNS1_3gpuE6ELNS1_3repE0EEENS1_30default_config_static_selectorELNS0_4arch9wavefront6targetE0EEEvT1_
; %bb.0:
	.section	.rodata,"a",@progbits
	.p2align	6, 0x0
	.amdhsa_kernel _ZN7rocprim17ROCPRIM_400000_NS6detail17trampoline_kernelINS0_14default_configENS1_20scan_config_selectorIiEEZZNS1_9scan_implILNS1_25lookback_scan_determinismE0ELb0ELb0ES3_N6thrust23THRUST_200600_302600_NS6detail15normal_iteratorINS9_10device_ptrIiEEEESE_iNS9_4plusIvEEiEEDaPvRmT3_T4_T5_mT6_P12ihipStream_tbENKUlT_T0_E_clISt17integral_constantIbLb1EESU_EEDaSP_SQ_EUlSP_E0_NS1_11comp_targetILNS1_3genE2ELNS1_11target_archE906ELNS1_3gpuE6ELNS1_3repE0EEENS1_30default_config_static_selectorELNS0_4arch9wavefront6targetE0EEEvT1_
		.amdhsa_group_segment_fixed_size 0
		.amdhsa_private_segment_fixed_size 0
		.amdhsa_kernarg_size 32
		.amdhsa_user_sgpr_count 2
		.amdhsa_user_sgpr_dispatch_ptr 0
		.amdhsa_user_sgpr_queue_ptr 0
		.amdhsa_user_sgpr_kernarg_segment_ptr 1
		.amdhsa_user_sgpr_dispatch_id 0
		.amdhsa_user_sgpr_kernarg_preload_length 0
		.amdhsa_user_sgpr_kernarg_preload_offset 0
		.amdhsa_user_sgpr_private_segment_size 0
		.amdhsa_wavefront_size32 1
		.amdhsa_uses_dynamic_stack 0
		.amdhsa_enable_private_segment 0
		.amdhsa_system_sgpr_workgroup_id_x 1
		.amdhsa_system_sgpr_workgroup_id_y 0
		.amdhsa_system_sgpr_workgroup_id_z 0
		.amdhsa_system_sgpr_workgroup_info 0
		.amdhsa_system_vgpr_workitem_id 0
		.amdhsa_next_free_vgpr 1
		.amdhsa_next_free_sgpr 1
		.amdhsa_named_barrier_count 0
		.amdhsa_reserve_vcc 0
		.amdhsa_float_round_mode_32 0
		.amdhsa_float_round_mode_16_64 0
		.amdhsa_float_denorm_mode_32 3
		.amdhsa_float_denorm_mode_16_64 3
		.amdhsa_fp16_overflow 0
		.amdhsa_memory_ordered 1
		.amdhsa_forward_progress 1
		.amdhsa_inst_pref_size 0
		.amdhsa_round_robin_scheduling 0
		.amdhsa_exception_fp_ieee_invalid_op 0
		.amdhsa_exception_fp_denorm_src 0
		.amdhsa_exception_fp_ieee_div_zero 0
		.amdhsa_exception_fp_ieee_overflow 0
		.amdhsa_exception_fp_ieee_underflow 0
		.amdhsa_exception_fp_ieee_inexact 0
		.amdhsa_exception_int_div_zero 0
	.end_amdhsa_kernel
	.section	.text._ZN7rocprim17ROCPRIM_400000_NS6detail17trampoline_kernelINS0_14default_configENS1_20scan_config_selectorIiEEZZNS1_9scan_implILNS1_25lookback_scan_determinismE0ELb0ELb0ES3_N6thrust23THRUST_200600_302600_NS6detail15normal_iteratorINS9_10device_ptrIiEEEESE_iNS9_4plusIvEEiEEDaPvRmT3_T4_T5_mT6_P12ihipStream_tbENKUlT_T0_E_clISt17integral_constantIbLb1EESU_EEDaSP_SQ_EUlSP_E0_NS1_11comp_targetILNS1_3genE2ELNS1_11target_archE906ELNS1_3gpuE6ELNS1_3repE0EEENS1_30default_config_static_selectorELNS0_4arch9wavefront6targetE0EEEvT1_,"axG",@progbits,_ZN7rocprim17ROCPRIM_400000_NS6detail17trampoline_kernelINS0_14default_configENS1_20scan_config_selectorIiEEZZNS1_9scan_implILNS1_25lookback_scan_determinismE0ELb0ELb0ES3_N6thrust23THRUST_200600_302600_NS6detail15normal_iteratorINS9_10device_ptrIiEEEESE_iNS9_4plusIvEEiEEDaPvRmT3_T4_T5_mT6_P12ihipStream_tbENKUlT_T0_E_clISt17integral_constantIbLb1EESU_EEDaSP_SQ_EUlSP_E0_NS1_11comp_targetILNS1_3genE2ELNS1_11target_archE906ELNS1_3gpuE6ELNS1_3repE0EEENS1_30default_config_static_selectorELNS0_4arch9wavefront6targetE0EEEvT1_,comdat
.Lfunc_end41:
	.size	_ZN7rocprim17ROCPRIM_400000_NS6detail17trampoline_kernelINS0_14default_configENS1_20scan_config_selectorIiEEZZNS1_9scan_implILNS1_25lookback_scan_determinismE0ELb0ELb0ES3_N6thrust23THRUST_200600_302600_NS6detail15normal_iteratorINS9_10device_ptrIiEEEESE_iNS9_4plusIvEEiEEDaPvRmT3_T4_T5_mT6_P12ihipStream_tbENKUlT_T0_E_clISt17integral_constantIbLb1EESU_EEDaSP_SQ_EUlSP_E0_NS1_11comp_targetILNS1_3genE2ELNS1_11target_archE906ELNS1_3gpuE6ELNS1_3repE0EEENS1_30default_config_static_selectorELNS0_4arch9wavefront6targetE0EEEvT1_, .Lfunc_end41-_ZN7rocprim17ROCPRIM_400000_NS6detail17trampoline_kernelINS0_14default_configENS1_20scan_config_selectorIiEEZZNS1_9scan_implILNS1_25lookback_scan_determinismE0ELb0ELb0ES3_N6thrust23THRUST_200600_302600_NS6detail15normal_iteratorINS9_10device_ptrIiEEEESE_iNS9_4plusIvEEiEEDaPvRmT3_T4_T5_mT6_P12ihipStream_tbENKUlT_T0_E_clISt17integral_constantIbLb1EESU_EEDaSP_SQ_EUlSP_E0_NS1_11comp_targetILNS1_3genE2ELNS1_11target_archE906ELNS1_3gpuE6ELNS1_3repE0EEENS1_30default_config_static_selectorELNS0_4arch9wavefront6targetE0EEEvT1_
                                        ; -- End function
	.set _ZN7rocprim17ROCPRIM_400000_NS6detail17trampoline_kernelINS0_14default_configENS1_20scan_config_selectorIiEEZZNS1_9scan_implILNS1_25lookback_scan_determinismE0ELb0ELb0ES3_N6thrust23THRUST_200600_302600_NS6detail15normal_iteratorINS9_10device_ptrIiEEEESE_iNS9_4plusIvEEiEEDaPvRmT3_T4_T5_mT6_P12ihipStream_tbENKUlT_T0_E_clISt17integral_constantIbLb1EESU_EEDaSP_SQ_EUlSP_E0_NS1_11comp_targetILNS1_3genE2ELNS1_11target_archE906ELNS1_3gpuE6ELNS1_3repE0EEENS1_30default_config_static_selectorELNS0_4arch9wavefront6targetE0EEEvT1_.num_vgpr, 0
	.set _ZN7rocprim17ROCPRIM_400000_NS6detail17trampoline_kernelINS0_14default_configENS1_20scan_config_selectorIiEEZZNS1_9scan_implILNS1_25lookback_scan_determinismE0ELb0ELb0ES3_N6thrust23THRUST_200600_302600_NS6detail15normal_iteratorINS9_10device_ptrIiEEEESE_iNS9_4plusIvEEiEEDaPvRmT3_T4_T5_mT6_P12ihipStream_tbENKUlT_T0_E_clISt17integral_constantIbLb1EESU_EEDaSP_SQ_EUlSP_E0_NS1_11comp_targetILNS1_3genE2ELNS1_11target_archE906ELNS1_3gpuE6ELNS1_3repE0EEENS1_30default_config_static_selectorELNS0_4arch9wavefront6targetE0EEEvT1_.num_agpr, 0
	.set _ZN7rocprim17ROCPRIM_400000_NS6detail17trampoline_kernelINS0_14default_configENS1_20scan_config_selectorIiEEZZNS1_9scan_implILNS1_25lookback_scan_determinismE0ELb0ELb0ES3_N6thrust23THRUST_200600_302600_NS6detail15normal_iteratorINS9_10device_ptrIiEEEESE_iNS9_4plusIvEEiEEDaPvRmT3_T4_T5_mT6_P12ihipStream_tbENKUlT_T0_E_clISt17integral_constantIbLb1EESU_EEDaSP_SQ_EUlSP_E0_NS1_11comp_targetILNS1_3genE2ELNS1_11target_archE906ELNS1_3gpuE6ELNS1_3repE0EEENS1_30default_config_static_selectorELNS0_4arch9wavefront6targetE0EEEvT1_.numbered_sgpr, 0
	.set _ZN7rocprim17ROCPRIM_400000_NS6detail17trampoline_kernelINS0_14default_configENS1_20scan_config_selectorIiEEZZNS1_9scan_implILNS1_25lookback_scan_determinismE0ELb0ELb0ES3_N6thrust23THRUST_200600_302600_NS6detail15normal_iteratorINS9_10device_ptrIiEEEESE_iNS9_4plusIvEEiEEDaPvRmT3_T4_T5_mT6_P12ihipStream_tbENKUlT_T0_E_clISt17integral_constantIbLb1EESU_EEDaSP_SQ_EUlSP_E0_NS1_11comp_targetILNS1_3genE2ELNS1_11target_archE906ELNS1_3gpuE6ELNS1_3repE0EEENS1_30default_config_static_selectorELNS0_4arch9wavefront6targetE0EEEvT1_.num_named_barrier, 0
	.set _ZN7rocprim17ROCPRIM_400000_NS6detail17trampoline_kernelINS0_14default_configENS1_20scan_config_selectorIiEEZZNS1_9scan_implILNS1_25lookback_scan_determinismE0ELb0ELb0ES3_N6thrust23THRUST_200600_302600_NS6detail15normal_iteratorINS9_10device_ptrIiEEEESE_iNS9_4plusIvEEiEEDaPvRmT3_T4_T5_mT6_P12ihipStream_tbENKUlT_T0_E_clISt17integral_constantIbLb1EESU_EEDaSP_SQ_EUlSP_E0_NS1_11comp_targetILNS1_3genE2ELNS1_11target_archE906ELNS1_3gpuE6ELNS1_3repE0EEENS1_30default_config_static_selectorELNS0_4arch9wavefront6targetE0EEEvT1_.private_seg_size, 0
	.set _ZN7rocprim17ROCPRIM_400000_NS6detail17trampoline_kernelINS0_14default_configENS1_20scan_config_selectorIiEEZZNS1_9scan_implILNS1_25lookback_scan_determinismE0ELb0ELb0ES3_N6thrust23THRUST_200600_302600_NS6detail15normal_iteratorINS9_10device_ptrIiEEEESE_iNS9_4plusIvEEiEEDaPvRmT3_T4_T5_mT6_P12ihipStream_tbENKUlT_T0_E_clISt17integral_constantIbLb1EESU_EEDaSP_SQ_EUlSP_E0_NS1_11comp_targetILNS1_3genE2ELNS1_11target_archE906ELNS1_3gpuE6ELNS1_3repE0EEENS1_30default_config_static_selectorELNS0_4arch9wavefront6targetE0EEEvT1_.uses_vcc, 0
	.set _ZN7rocprim17ROCPRIM_400000_NS6detail17trampoline_kernelINS0_14default_configENS1_20scan_config_selectorIiEEZZNS1_9scan_implILNS1_25lookback_scan_determinismE0ELb0ELb0ES3_N6thrust23THRUST_200600_302600_NS6detail15normal_iteratorINS9_10device_ptrIiEEEESE_iNS9_4plusIvEEiEEDaPvRmT3_T4_T5_mT6_P12ihipStream_tbENKUlT_T0_E_clISt17integral_constantIbLb1EESU_EEDaSP_SQ_EUlSP_E0_NS1_11comp_targetILNS1_3genE2ELNS1_11target_archE906ELNS1_3gpuE6ELNS1_3repE0EEENS1_30default_config_static_selectorELNS0_4arch9wavefront6targetE0EEEvT1_.uses_flat_scratch, 0
	.set _ZN7rocprim17ROCPRIM_400000_NS6detail17trampoline_kernelINS0_14default_configENS1_20scan_config_selectorIiEEZZNS1_9scan_implILNS1_25lookback_scan_determinismE0ELb0ELb0ES3_N6thrust23THRUST_200600_302600_NS6detail15normal_iteratorINS9_10device_ptrIiEEEESE_iNS9_4plusIvEEiEEDaPvRmT3_T4_T5_mT6_P12ihipStream_tbENKUlT_T0_E_clISt17integral_constantIbLb1EESU_EEDaSP_SQ_EUlSP_E0_NS1_11comp_targetILNS1_3genE2ELNS1_11target_archE906ELNS1_3gpuE6ELNS1_3repE0EEENS1_30default_config_static_selectorELNS0_4arch9wavefront6targetE0EEEvT1_.has_dyn_sized_stack, 0
	.set _ZN7rocprim17ROCPRIM_400000_NS6detail17trampoline_kernelINS0_14default_configENS1_20scan_config_selectorIiEEZZNS1_9scan_implILNS1_25lookback_scan_determinismE0ELb0ELb0ES3_N6thrust23THRUST_200600_302600_NS6detail15normal_iteratorINS9_10device_ptrIiEEEESE_iNS9_4plusIvEEiEEDaPvRmT3_T4_T5_mT6_P12ihipStream_tbENKUlT_T0_E_clISt17integral_constantIbLb1EESU_EEDaSP_SQ_EUlSP_E0_NS1_11comp_targetILNS1_3genE2ELNS1_11target_archE906ELNS1_3gpuE6ELNS1_3repE0EEENS1_30default_config_static_selectorELNS0_4arch9wavefront6targetE0EEEvT1_.has_recursion, 0
	.set _ZN7rocprim17ROCPRIM_400000_NS6detail17trampoline_kernelINS0_14default_configENS1_20scan_config_selectorIiEEZZNS1_9scan_implILNS1_25lookback_scan_determinismE0ELb0ELb0ES3_N6thrust23THRUST_200600_302600_NS6detail15normal_iteratorINS9_10device_ptrIiEEEESE_iNS9_4plusIvEEiEEDaPvRmT3_T4_T5_mT6_P12ihipStream_tbENKUlT_T0_E_clISt17integral_constantIbLb1EESU_EEDaSP_SQ_EUlSP_E0_NS1_11comp_targetILNS1_3genE2ELNS1_11target_archE906ELNS1_3gpuE6ELNS1_3repE0EEENS1_30default_config_static_selectorELNS0_4arch9wavefront6targetE0EEEvT1_.has_indirect_call, 0
	.section	.AMDGPU.csdata,"",@progbits
; Kernel info:
; codeLenInByte = 0
; TotalNumSgprs: 0
; NumVgprs: 0
; ScratchSize: 0
; MemoryBound: 0
; FloatMode: 240
; IeeeMode: 1
; LDSByteSize: 0 bytes/workgroup (compile time only)
; SGPRBlocks: 0
; VGPRBlocks: 0
; NumSGPRsForWavesPerEU: 1
; NumVGPRsForWavesPerEU: 1
; NamedBarCnt: 0
; Occupancy: 16
; WaveLimiterHint : 0
; COMPUTE_PGM_RSRC2:SCRATCH_EN: 0
; COMPUTE_PGM_RSRC2:USER_SGPR: 2
; COMPUTE_PGM_RSRC2:TRAP_HANDLER: 0
; COMPUTE_PGM_RSRC2:TGID_X_EN: 1
; COMPUTE_PGM_RSRC2:TGID_Y_EN: 0
; COMPUTE_PGM_RSRC2:TGID_Z_EN: 0
; COMPUTE_PGM_RSRC2:TIDIG_COMP_CNT: 0
	.section	.text._ZN7rocprim17ROCPRIM_400000_NS6detail17trampoline_kernelINS0_14default_configENS1_20scan_config_selectorIiEEZZNS1_9scan_implILNS1_25lookback_scan_determinismE0ELb0ELb0ES3_N6thrust23THRUST_200600_302600_NS6detail15normal_iteratorINS9_10device_ptrIiEEEESE_iNS9_4plusIvEEiEEDaPvRmT3_T4_T5_mT6_P12ihipStream_tbENKUlT_T0_E_clISt17integral_constantIbLb1EESU_EEDaSP_SQ_EUlSP_E0_NS1_11comp_targetILNS1_3genE10ELNS1_11target_archE1201ELNS1_3gpuE5ELNS1_3repE0EEENS1_30default_config_static_selectorELNS0_4arch9wavefront6targetE0EEEvT1_,"axG",@progbits,_ZN7rocprim17ROCPRIM_400000_NS6detail17trampoline_kernelINS0_14default_configENS1_20scan_config_selectorIiEEZZNS1_9scan_implILNS1_25lookback_scan_determinismE0ELb0ELb0ES3_N6thrust23THRUST_200600_302600_NS6detail15normal_iteratorINS9_10device_ptrIiEEEESE_iNS9_4plusIvEEiEEDaPvRmT3_T4_T5_mT6_P12ihipStream_tbENKUlT_T0_E_clISt17integral_constantIbLb1EESU_EEDaSP_SQ_EUlSP_E0_NS1_11comp_targetILNS1_3genE10ELNS1_11target_archE1201ELNS1_3gpuE5ELNS1_3repE0EEENS1_30default_config_static_selectorELNS0_4arch9wavefront6targetE0EEEvT1_,comdat
	.protected	_ZN7rocprim17ROCPRIM_400000_NS6detail17trampoline_kernelINS0_14default_configENS1_20scan_config_selectorIiEEZZNS1_9scan_implILNS1_25lookback_scan_determinismE0ELb0ELb0ES3_N6thrust23THRUST_200600_302600_NS6detail15normal_iteratorINS9_10device_ptrIiEEEESE_iNS9_4plusIvEEiEEDaPvRmT3_T4_T5_mT6_P12ihipStream_tbENKUlT_T0_E_clISt17integral_constantIbLb1EESU_EEDaSP_SQ_EUlSP_E0_NS1_11comp_targetILNS1_3genE10ELNS1_11target_archE1201ELNS1_3gpuE5ELNS1_3repE0EEENS1_30default_config_static_selectorELNS0_4arch9wavefront6targetE0EEEvT1_ ; -- Begin function _ZN7rocprim17ROCPRIM_400000_NS6detail17trampoline_kernelINS0_14default_configENS1_20scan_config_selectorIiEEZZNS1_9scan_implILNS1_25lookback_scan_determinismE0ELb0ELb0ES3_N6thrust23THRUST_200600_302600_NS6detail15normal_iteratorINS9_10device_ptrIiEEEESE_iNS9_4plusIvEEiEEDaPvRmT3_T4_T5_mT6_P12ihipStream_tbENKUlT_T0_E_clISt17integral_constantIbLb1EESU_EEDaSP_SQ_EUlSP_E0_NS1_11comp_targetILNS1_3genE10ELNS1_11target_archE1201ELNS1_3gpuE5ELNS1_3repE0EEENS1_30default_config_static_selectorELNS0_4arch9wavefront6targetE0EEEvT1_
	.globl	_ZN7rocprim17ROCPRIM_400000_NS6detail17trampoline_kernelINS0_14default_configENS1_20scan_config_selectorIiEEZZNS1_9scan_implILNS1_25lookback_scan_determinismE0ELb0ELb0ES3_N6thrust23THRUST_200600_302600_NS6detail15normal_iteratorINS9_10device_ptrIiEEEESE_iNS9_4plusIvEEiEEDaPvRmT3_T4_T5_mT6_P12ihipStream_tbENKUlT_T0_E_clISt17integral_constantIbLb1EESU_EEDaSP_SQ_EUlSP_E0_NS1_11comp_targetILNS1_3genE10ELNS1_11target_archE1201ELNS1_3gpuE5ELNS1_3repE0EEENS1_30default_config_static_selectorELNS0_4arch9wavefront6targetE0EEEvT1_
	.p2align	8
	.type	_ZN7rocprim17ROCPRIM_400000_NS6detail17trampoline_kernelINS0_14default_configENS1_20scan_config_selectorIiEEZZNS1_9scan_implILNS1_25lookback_scan_determinismE0ELb0ELb0ES3_N6thrust23THRUST_200600_302600_NS6detail15normal_iteratorINS9_10device_ptrIiEEEESE_iNS9_4plusIvEEiEEDaPvRmT3_T4_T5_mT6_P12ihipStream_tbENKUlT_T0_E_clISt17integral_constantIbLb1EESU_EEDaSP_SQ_EUlSP_E0_NS1_11comp_targetILNS1_3genE10ELNS1_11target_archE1201ELNS1_3gpuE5ELNS1_3repE0EEENS1_30default_config_static_selectorELNS0_4arch9wavefront6targetE0EEEvT1_,@function
_ZN7rocprim17ROCPRIM_400000_NS6detail17trampoline_kernelINS0_14default_configENS1_20scan_config_selectorIiEEZZNS1_9scan_implILNS1_25lookback_scan_determinismE0ELb0ELb0ES3_N6thrust23THRUST_200600_302600_NS6detail15normal_iteratorINS9_10device_ptrIiEEEESE_iNS9_4plusIvEEiEEDaPvRmT3_T4_T5_mT6_P12ihipStream_tbENKUlT_T0_E_clISt17integral_constantIbLb1EESU_EEDaSP_SQ_EUlSP_E0_NS1_11comp_targetILNS1_3genE10ELNS1_11target_archE1201ELNS1_3gpuE5ELNS1_3repE0EEENS1_30default_config_static_selectorELNS0_4arch9wavefront6targetE0EEEvT1_: ; @_ZN7rocprim17ROCPRIM_400000_NS6detail17trampoline_kernelINS0_14default_configENS1_20scan_config_selectorIiEEZZNS1_9scan_implILNS1_25lookback_scan_determinismE0ELb0ELb0ES3_N6thrust23THRUST_200600_302600_NS6detail15normal_iteratorINS9_10device_ptrIiEEEESE_iNS9_4plusIvEEiEEDaPvRmT3_T4_T5_mT6_P12ihipStream_tbENKUlT_T0_E_clISt17integral_constantIbLb1EESU_EEDaSP_SQ_EUlSP_E0_NS1_11comp_targetILNS1_3genE10ELNS1_11target_archE1201ELNS1_3gpuE5ELNS1_3repE0EEENS1_30default_config_static_selectorELNS0_4arch9wavefront6targetE0EEEvT1_
; %bb.0:
	.section	.rodata,"a",@progbits
	.p2align	6, 0x0
	.amdhsa_kernel _ZN7rocprim17ROCPRIM_400000_NS6detail17trampoline_kernelINS0_14default_configENS1_20scan_config_selectorIiEEZZNS1_9scan_implILNS1_25lookback_scan_determinismE0ELb0ELb0ES3_N6thrust23THRUST_200600_302600_NS6detail15normal_iteratorINS9_10device_ptrIiEEEESE_iNS9_4plusIvEEiEEDaPvRmT3_T4_T5_mT6_P12ihipStream_tbENKUlT_T0_E_clISt17integral_constantIbLb1EESU_EEDaSP_SQ_EUlSP_E0_NS1_11comp_targetILNS1_3genE10ELNS1_11target_archE1201ELNS1_3gpuE5ELNS1_3repE0EEENS1_30default_config_static_selectorELNS0_4arch9wavefront6targetE0EEEvT1_
		.amdhsa_group_segment_fixed_size 0
		.amdhsa_private_segment_fixed_size 0
		.amdhsa_kernarg_size 32
		.amdhsa_user_sgpr_count 2
		.amdhsa_user_sgpr_dispatch_ptr 0
		.amdhsa_user_sgpr_queue_ptr 0
		.amdhsa_user_sgpr_kernarg_segment_ptr 1
		.amdhsa_user_sgpr_dispatch_id 0
		.amdhsa_user_sgpr_kernarg_preload_length 0
		.amdhsa_user_sgpr_kernarg_preload_offset 0
		.amdhsa_user_sgpr_private_segment_size 0
		.amdhsa_wavefront_size32 1
		.amdhsa_uses_dynamic_stack 0
		.amdhsa_enable_private_segment 0
		.amdhsa_system_sgpr_workgroup_id_x 1
		.amdhsa_system_sgpr_workgroup_id_y 0
		.amdhsa_system_sgpr_workgroup_id_z 0
		.amdhsa_system_sgpr_workgroup_info 0
		.amdhsa_system_vgpr_workitem_id 0
		.amdhsa_next_free_vgpr 1
		.amdhsa_next_free_sgpr 1
		.amdhsa_named_barrier_count 0
		.amdhsa_reserve_vcc 0
		.amdhsa_float_round_mode_32 0
		.amdhsa_float_round_mode_16_64 0
		.amdhsa_float_denorm_mode_32 3
		.amdhsa_float_denorm_mode_16_64 3
		.amdhsa_fp16_overflow 0
		.amdhsa_memory_ordered 1
		.amdhsa_forward_progress 1
		.amdhsa_inst_pref_size 0
		.amdhsa_round_robin_scheduling 0
		.amdhsa_exception_fp_ieee_invalid_op 0
		.amdhsa_exception_fp_denorm_src 0
		.amdhsa_exception_fp_ieee_div_zero 0
		.amdhsa_exception_fp_ieee_overflow 0
		.amdhsa_exception_fp_ieee_underflow 0
		.amdhsa_exception_fp_ieee_inexact 0
		.amdhsa_exception_int_div_zero 0
	.end_amdhsa_kernel
	.section	.text._ZN7rocprim17ROCPRIM_400000_NS6detail17trampoline_kernelINS0_14default_configENS1_20scan_config_selectorIiEEZZNS1_9scan_implILNS1_25lookback_scan_determinismE0ELb0ELb0ES3_N6thrust23THRUST_200600_302600_NS6detail15normal_iteratorINS9_10device_ptrIiEEEESE_iNS9_4plusIvEEiEEDaPvRmT3_T4_T5_mT6_P12ihipStream_tbENKUlT_T0_E_clISt17integral_constantIbLb1EESU_EEDaSP_SQ_EUlSP_E0_NS1_11comp_targetILNS1_3genE10ELNS1_11target_archE1201ELNS1_3gpuE5ELNS1_3repE0EEENS1_30default_config_static_selectorELNS0_4arch9wavefront6targetE0EEEvT1_,"axG",@progbits,_ZN7rocprim17ROCPRIM_400000_NS6detail17trampoline_kernelINS0_14default_configENS1_20scan_config_selectorIiEEZZNS1_9scan_implILNS1_25lookback_scan_determinismE0ELb0ELb0ES3_N6thrust23THRUST_200600_302600_NS6detail15normal_iteratorINS9_10device_ptrIiEEEESE_iNS9_4plusIvEEiEEDaPvRmT3_T4_T5_mT6_P12ihipStream_tbENKUlT_T0_E_clISt17integral_constantIbLb1EESU_EEDaSP_SQ_EUlSP_E0_NS1_11comp_targetILNS1_3genE10ELNS1_11target_archE1201ELNS1_3gpuE5ELNS1_3repE0EEENS1_30default_config_static_selectorELNS0_4arch9wavefront6targetE0EEEvT1_,comdat
.Lfunc_end42:
	.size	_ZN7rocprim17ROCPRIM_400000_NS6detail17trampoline_kernelINS0_14default_configENS1_20scan_config_selectorIiEEZZNS1_9scan_implILNS1_25lookback_scan_determinismE0ELb0ELb0ES3_N6thrust23THRUST_200600_302600_NS6detail15normal_iteratorINS9_10device_ptrIiEEEESE_iNS9_4plusIvEEiEEDaPvRmT3_T4_T5_mT6_P12ihipStream_tbENKUlT_T0_E_clISt17integral_constantIbLb1EESU_EEDaSP_SQ_EUlSP_E0_NS1_11comp_targetILNS1_3genE10ELNS1_11target_archE1201ELNS1_3gpuE5ELNS1_3repE0EEENS1_30default_config_static_selectorELNS0_4arch9wavefront6targetE0EEEvT1_, .Lfunc_end42-_ZN7rocprim17ROCPRIM_400000_NS6detail17trampoline_kernelINS0_14default_configENS1_20scan_config_selectorIiEEZZNS1_9scan_implILNS1_25lookback_scan_determinismE0ELb0ELb0ES3_N6thrust23THRUST_200600_302600_NS6detail15normal_iteratorINS9_10device_ptrIiEEEESE_iNS9_4plusIvEEiEEDaPvRmT3_T4_T5_mT6_P12ihipStream_tbENKUlT_T0_E_clISt17integral_constantIbLb1EESU_EEDaSP_SQ_EUlSP_E0_NS1_11comp_targetILNS1_3genE10ELNS1_11target_archE1201ELNS1_3gpuE5ELNS1_3repE0EEENS1_30default_config_static_selectorELNS0_4arch9wavefront6targetE0EEEvT1_
                                        ; -- End function
	.set _ZN7rocprim17ROCPRIM_400000_NS6detail17trampoline_kernelINS0_14default_configENS1_20scan_config_selectorIiEEZZNS1_9scan_implILNS1_25lookback_scan_determinismE0ELb0ELb0ES3_N6thrust23THRUST_200600_302600_NS6detail15normal_iteratorINS9_10device_ptrIiEEEESE_iNS9_4plusIvEEiEEDaPvRmT3_T4_T5_mT6_P12ihipStream_tbENKUlT_T0_E_clISt17integral_constantIbLb1EESU_EEDaSP_SQ_EUlSP_E0_NS1_11comp_targetILNS1_3genE10ELNS1_11target_archE1201ELNS1_3gpuE5ELNS1_3repE0EEENS1_30default_config_static_selectorELNS0_4arch9wavefront6targetE0EEEvT1_.num_vgpr, 0
	.set _ZN7rocprim17ROCPRIM_400000_NS6detail17trampoline_kernelINS0_14default_configENS1_20scan_config_selectorIiEEZZNS1_9scan_implILNS1_25lookback_scan_determinismE0ELb0ELb0ES3_N6thrust23THRUST_200600_302600_NS6detail15normal_iteratorINS9_10device_ptrIiEEEESE_iNS9_4plusIvEEiEEDaPvRmT3_T4_T5_mT6_P12ihipStream_tbENKUlT_T0_E_clISt17integral_constantIbLb1EESU_EEDaSP_SQ_EUlSP_E0_NS1_11comp_targetILNS1_3genE10ELNS1_11target_archE1201ELNS1_3gpuE5ELNS1_3repE0EEENS1_30default_config_static_selectorELNS0_4arch9wavefront6targetE0EEEvT1_.num_agpr, 0
	.set _ZN7rocprim17ROCPRIM_400000_NS6detail17trampoline_kernelINS0_14default_configENS1_20scan_config_selectorIiEEZZNS1_9scan_implILNS1_25lookback_scan_determinismE0ELb0ELb0ES3_N6thrust23THRUST_200600_302600_NS6detail15normal_iteratorINS9_10device_ptrIiEEEESE_iNS9_4plusIvEEiEEDaPvRmT3_T4_T5_mT6_P12ihipStream_tbENKUlT_T0_E_clISt17integral_constantIbLb1EESU_EEDaSP_SQ_EUlSP_E0_NS1_11comp_targetILNS1_3genE10ELNS1_11target_archE1201ELNS1_3gpuE5ELNS1_3repE0EEENS1_30default_config_static_selectorELNS0_4arch9wavefront6targetE0EEEvT1_.numbered_sgpr, 0
	.set _ZN7rocprim17ROCPRIM_400000_NS6detail17trampoline_kernelINS0_14default_configENS1_20scan_config_selectorIiEEZZNS1_9scan_implILNS1_25lookback_scan_determinismE0ELb0ELb0ES3_N6thrust23THRUST_200600_302600_NS6detail15normal_iteratorINS9_10device_ptrIiEEEESE_iNS9_4plusIvEEiEEDaPvRmT3_T4_T5_mT6_P12ihipStream_tbENKUlT_T0_E_clISt17integral_constantIbLb1EESU_EEDaSP_SQ_EUlSP_E0_NS1_11comp_targetILNS1_3genE10ELNS1_11target_archE1201ELNS1_3gpuE5ELNS1_3repE0EEENS1_30default_config_static_selectorELNS0_4arch9wavefront6targetE0EEEvT1_.num_named_barrier, 0
	.set _ZN7rocprim17ROCPRIM_400000_NS6detail17trampoline_kernelINS0_14default_configENS1_20scan_config_selectorIiEEZZNS1_9scan_implILNS1_25lookback_scan_determinismE0ELb0ELb0ES3_N6thrust23THRUST_200600_302600_NS6detail15normal_iteratorINS9_10device_ptrIiEEEESE_iNS9_4plusIvEEiEEDaPvRmT3_T4_T5_mT6_P12ihipStream_tbENKUlT_T0_E_clISt17integral_constantIbLb1EESU_EEDaSP_SQ_EUlSP_E0_NS1_11comp_targetILNS1_3genE10ELNS1_11target_archE1201ELNS1_3gpuE5ELNS1_3repE0EEENS1_30default_config_static_selectorELNS0_4arch9wavefront6targetE0EEEvT1_.private_seg_size, 0
	.set _ZN7rocprim17ROCPRIM_400000_NS6detail17trampoline_kernelINS0_14default_configENS1_20scan_config_selectorIiEEZZNS1_9scan_implILNS1_25lookback_scan_determinismE0ELb0ELb0ES3_N6thrust23THRUST_200600_302600_NS6detail15normal_iteratorINS9_10device_ptrIiEEEESE_iNS9_4plusIvEEiEEDaPvRmT3_T4_T5_mT6_P12ihipStream_tbENKUlT_T0_E_clISt17integral_constantIbLb1EESU_EEDaSP_SQ_EUlSP_E0_NS1_11comp_targetILNS1_3genE10ELNS1_11target_archE1201ELNS1_3gpuE5ELNS1_3repE0EEENS1_30default_config_static_selectorELNS0_4arch9wavefront6targetE0EEEvT1_.uses_vcc, 0
	.set _ZN7rocprim17ROCPRIM_400000_NS6detail17trampoline_kernelINS0_14default_configENS1_20scan_config_selectorIiEEZZNS1_9scan_implILNS1_25lookback_scan_determinismE0ELb0ELb0ES3_N6thrust23THRUST_200600_302600_NS6detail15normal_iteratorINS9_10device_ptrIiEEEESE_iNS9_4plusIvEEiEEDaPvRmT3_T4_T5_mT6_P12ihipStream_tbENKUlT_T0_E_clISt17integral_constantIbLb1EESU_EEDaSP_SQ_EUlSP_E0_NS1_11comp_targetILNS1_3genE10ELNS1_11target_archE1201ELNS1_3gpuE5ELNS1_3repE0EEENS1_30default_config_static_selectorELNS0_4arch9wavefront6targetE0EEEvT1_.uses_flat_scratch, 0
	.set _ZN7rocprim17ROCPRIM_400000_NS6detail17trampoline_kernelINS0_14default_configENS1_20scan_config_selectorIiEEZZNS1_9scan_implILNS1_25lookback_scan_determinismE0ELb0ELb0ES3_N6thrust23THRUST_200600_302600_NS6detail15normal_iteratorINS9_10device_ptrIiEEEESE_iNS9_4plusIvEEiEEDaPvRmT3_T4_T5_mT6_P12ihipStream_tbENKUlT_T0_E_clISt17integral_constantIbLb1EESU_EEDaSP_SQ_EUlSP_E0_NS1_11comp_targetILNS1_3genE10ELNS1_11target_archE1201ELNS1_3gpuE5ELNS1_3repE0EEENS1_30default_config_static_selectorELNS0_4arch9wavefront6targetE0EEEvT1_.has_dyn_sized_stack, 0
	.set _ZN7rocprim17ROCPRIM_400000_NS6detail17trampoline_kernelINS0_14default_configENS1_20scan_config_selectorIiEEZZNS1_9scan_implILNS1_25lookback_scan_determinismE0ELb0ELb0ES3_N6thrust23THRUST_200600_302600_NS6detail15normal_iteratorINS9_10device_ptrIiEEEESE_iNS9_4plusIvEEiEEDaPvRmT3_T4_T5_mT6_P12ihipStream_tbENKUlT_T0_E_clISt17integral_constantIbLb1EESU_EEDaSP_SQ_EUlSP_E0_NS1_11comp_targetILNS1_3genE10ELNS1_11target_archE1201ELNS1_3gpuE5ELNS1_3repE0EEENS1_30default_config_static_selectorELNS0_4arch9wavefront6targetE0EEEvT1_.has_recursion, 0
	.set _ZN7rocprim17ROCPRIM_400000_NS6detail17trampoline_kernelINS0_14default_configENS1_20scan_config_selectorIiEEZZNS1_9scan_implILNS1_25lookback_scan_determinismE0ELb0ELb0ES3_N6thrust23THRUST_200600_302600_NS6detail15normal_iteratorINS9_10device_ptrIiEEEESE_iNS9_4plusIvEEiEEDaPvRmT3_T4_T5_mT6_P12ihipStream_tbENKUlT_T0_E_clISt17integral_constantIbLb1EESU_EEDaSP_SQ_EUlSP_E0_NS1_11comp_targetILNS1_3genE10ELNS1_11target_archE1201ELNS1_3gpuE5ELNS1_3repE0EEENS1_30default_config_static_selectorELNS0_4arch9wavefront6targetE0EEEvT1_.has_indirect_call, 0
	.section	.AMDGPU.csdata,"",@progbits
; Kernel info:
; codeLenInByte = 0
; TotalNumSgprs: 0
; NumVgprs: 0
; ScratchSize: 0
; MemoryBound: 0
; FloatMode: 240
; IeeeMode: 1
; LDSByteSize: 0 bytes/workgroup (compile time only)
; SGPRBlocks: 0
; VGPRBlocks: 0
; NumSGPRsForWavesPerEU: 1
; NumVGPRsForWavesPerEU: 1
; NamedBarCnt: 0
; Occupancy: 16
; WaveLimiterHint : 0
; COMPUTE_PGM_RSRC2:SCRATCH_EN: 0
; COMPUTE_PGM_RSRC2:USER_SGPR: 2
; COMPUTE_PGM_RSRC2:TRAP_HANDLER: 0
; COMPUTE_PGM_RSRC2:TGID_X_EN: 1
; COMPUTE_PGM_RSRC2:TGID_Y_EN: 0
; COMPUTE_PGM_RSRC2:TGID_Z_EN: 0
; COMPUTE_PGM_RSRC2:TIDIG_COMP_CNT: 0
	.section	.text._ZN7rocprim17ROCPRIM_400000_NS6detail17trampoline_kernelINS0_14default_configENS1_20scan_config_selectorIiEEZZNS1_9scan_implILNS1_25lookback_scan_determinismE0ELb0ELb0ES3_N6thrust23THRUST_200600_302600_NS6detail15normal_iteratorINS9_10device_ptrIiEEEESE_iNS9_4plusIvEEiEEDaPvRmT3_T4_T5_mT6_P12ihipStream_tbENKUlT_T0_E_clISt17integral_constantIbLb1EESU_EEDaSP_SQ_EUlSP_E0_NS1_11comp_targetILNS1_3genE10ELNS1_11target_archE1200ELNS1_3gpuE4ELNS1_3repE0EEENS1_30default_config_static_selectorELNS0_4arch9wavefront6targetE0EEEvT1_,"axG",@progbits,_ZN7rocprim17ROCPRIM_400000_NS6detail17trampoline_kernelINS0_14default_configENS1_20scan_config_selectorIiEEZZNS1_9scan_implILNS1_25lookback_scan_determinismE0ELb0ELb0ES3_N6thrust23THRUST_200600_302600_NS6detail15normal_iteratorINS9_10device_ptrIiEEEESE_iNS9_4plusIvEEiEEDaPvRmT3_T4_T5_mT6_P12ihipStream_tbENKUlT_T0_E_clISt17integral_constantIbLb1EESU_EEDaSP_SQ_EUlSP_E0_NS1_11comp_targetILNS1_3genE10ELNS1_11target_archE1200ELNS1_3gpuE4ELNS1_3repE0EEENS1_30default_config_static_selectorELNS0_4arch9wavefront6targetE0EEEvT1_,comdat
	.protected	_ZN7rocprim17ROCPRIM_400000_NS6detail17trampoline_kernelINS0_14default_configENS1_20scan_config_selectorIiEEZZNS1_9scan_implILNS1_25lookback_scan_determinismE0ELb0ELb0ES3_N6thrust23THRUST_200600_302600_NS6detail15normal_iteratorINS9_10device_ptrIiEEEESE_iNS9_4plusIvEEiEEDaPvRmT3_T4_T5_mT6_P12ihipStream_tbENKUlT_T0_E_clISt17integral_constantIbLb1EESU_EEDaSP_SQ_EUlSP_E0_NS1_11comp_targetILNS1_3genE10ELNS1_11target_archE1200ELNS1_3gpuE4ELNS1_3repE0EEENS1_30default_config_static_selectorELNS0_4arch9wavefront6targetE0EEEvT1_ ; -- Begin function _ZN7rocprim17ROCPRIM_400000_NS6detail17trampoline_kernelINS0_14default_configENS1_20scan_config_selectorIiEEZZNS1_9scan_implILNS1_25lookback_scan_determinismE0ELb0ELb0ES3_N6thrust23THRUST_200600_302600_NS6detail15normal_iteratorINS9_10device_ptrIiEEEESE_iNS9_4plusIvEEiEEDaPvRmT3_T4_T5_mT6_P12ihipStream_tbENKUlT_T0_E_clISt17integral_constantIbLb1EESU_EEDaSP_SQ_EUlSP_E0_NS1_11comp_targetILNS1_3genE10ELNS1_11target_archE1200ELNS1_3gpuE4ELNS1_3repE0EEENS1_30default_config_static_selectorELNS0_4arch9wavefront6targetE0EEEvT1_
	.globl	_ZN7rocprim17ROCPRIM_400000_NS6detail17trampoline_kernelINS0_14default_configENS1_20scan_config_selectorIiEEZZNS1_9scan_implILNS1_25lookback_scan_determinismE0ELb0ELb0ES3_N6thrust23THRUST_200600_302600_NS6detail15normal_iteratorINS9_10device_ptrIiEEEESE_iNS9_4plusIvEEiEEDaPvRmT3_T4_T5_mT6_P12ihipStream_tbENKUlT_T0_E_clISt17integral_constantIbLb1EESU_EEDaSP_SQ_EUlSP_E0_NS1_11comp_targetILNS1_3genE10ELNS1_11target_archE1200ELNS1_3gpuE4ELNS1_3repE0EEENS1_30default_config_static_selectorELNS0_4arch9wavefront6targetE0EEEvT1_
	.p2align	8
	.type	_ZN7rocprim17ROCPRIM_400000_NS6detail17trampoline_kernelINS0_14default_configENS1_20scan_config_selectorIiEEZZNS1_9scan_implILNS1_25lookback_scan_determinismE0ELb0ELb0ES3_N6thrust23THRUST_200600_302600_NS6detail15normal_iteratorINS9_10device_ptrIiEEEESE_iNS9_4plusIvEEiEEDaPvRmT3_T4_T5_mT6_P12ihipStream_tbENKUlT_T0_E_clISt17integral_constantIbLb1EESU_EEDaSP_SQ_EUlSP_E0_NS1_11comp_targetILNS1_3genE10ELNS1_11target_archE1200ELNS1_3gpuE4ELNS1_3repE0EEENS1_30default_config_static_selectorELNS0_4arch9wavefront6targetE0EEEvT1_,@function
_ZN7rocprim17ROCPRIM_400000_NS6detail17trampoline_kernelINS0_14default_configENS1_20scan_config_selectorIiEEZZNS1_9scan_implILNS1_25lookback_scan_determinismE0ELb0ELb0ES3_N6thrust23THRUST_200600_302600_NS6detail15normal_iteratorINS9_10device_ptrIiEEEESE_iNS9_4plusIvEEiEEDaPvRmT3_T4_T5_mT6_P12ihipStream_tbENKUlT_T0_E_clISt17integral_constantIbLb1EESU_EEDaSP_SQ_EUlSP_E0_NS1_11comp_targetILNS1_3genE10ELNS1_11target_archE1200ELNS1_3gpuE4ELNS1_3repE0EEENS1_30default_config_static_selectorELNS0_4arch9wavefront6targetE0EEEvT1_: ; @_ZN7rocprim17ROCPRIM_400000_NS6detail17trampoline_kernelINS0_14default_configENS1_20scan_config_selectorIiEEZZNS1_9scan_implILNS1_25lookback_scan_determinismE0ELb0ELb0ES3_N6thrust23THRUST_200600_302600_NS6detail15normal_iteratorINS9_10device_ptrIiEEEESE_iNS9_4plusIvEEiEEDaPvRmT3_T4_T5_mT6_P12ihipStream_tbENKUlT_T0_E_clISt17integral_constantIbLb1EESU_EEDaSP_SQ_EUlSP_E0_NS1_11comp_targetILNS1_3genE10ELNS1_11target_archE1200ELNS1_3gpuE4ELNS1_3repE0EEENS1_30default_config_static_selectorELNS0_4arch9wavefront6targetE0EEEvT1_
; %bb.0:
	.section	.rodata,"a",@progbits
	.p2align	6, 0x0
	.amdhsa_kernel _ZN7rocprim17ROCPRIM_400000_NS6detail17trampoline_kernelINS0_14default_configENS1_20scan_config_selectorIiEEZZNS1_9scan_implILNS1_25lookback_scan_determinismE0ELb0ELb0ES3_N6thrust23THRUST_200600_302600_NS6detail15normal_iteratorINS9_10device_ptrIiEEEESE_iNS9_4plusIvEEiEEDaPvRmT3_T4_T5_mT6_P12ihipStream_tbENKUlT_T0_E_clISt17integral_constantIbLb1EESU_EEDaSP_SQ_EUlSP_E0_NS1_11comp_targetILNS1_3genE10ELNS1_11target_archE1200ELNS1_3gpuE4ELNS1_3repE0EEENS1_30default_config_static_selectorELNS0_4arch9wavefront6targetE0EEEvT1_
		.amdhsa_group_segment_fixed_size 0
		.amdhsa_private_segment_fixed_size 0
		.amdhsa_kernarg_size 32
		.amdhsa_user_sgpr_count 2
		.amdhsa_user_sgpr_dispatch_ptr 0
		.amdhsa_user_sgpr_queue_ptr 0
		.amdhsa_user_sgpr_kernarg_segment_ptr 1
		.amdhsa_user_sgpr_dispatch_id 0
		.amdhsa_user_sgpr_kernarg_preload_length 0
		.amdhsa_user_sgpr_kernarg_preload_offset 0
		.amdhsa_user_sgpr_private_segment_size 0
		.amdhsa_wavefront_size32 1
		.amdhsa_uses_dynamic_stack 0
		.amdhsa_enable_private_segment 0
		.amdhsa_system_sgpr_workgroup_id_x 1
		.amdhsa_system_sgpr_workgroup_id_y 0
		.amdhsa_system_sgpr_workgroup_id_z 0
		.amdhsa_system_sgpr_workgroup_info 0
		.amdhsa_system_vgpr_workitem_id 0
		.amdhsa_next_free_vgpr 1
		.amdhsa_next_free_sgpr 1
		.amdhsa_named_barrier_count 0
		.amdhsa_reserve_vcc 0
		.amdhsa_float_round_mode_32 0
		.amdhsa_float_round_mode_16_64 0
		.amdhsa_float_denorm_mode_32 3
		.amdhsa_float_denorm_mode_16_64 3
		.amdhsa_fp16_overflow 0
		.amdhsa_memory_ordered 1
		.amdhsa_forward_progress 1
		.amdhsa_inst_pref_size 0
		.amdhsa_round_robin_scheduling 0
		.amdhsa_exception_fp_ieee_invalid_op 0
		.amdhsa_exception_fp_denorm_src 0
		.amdhsa_exception_fp_ieee_div_zero 0
		.amdhsa_exception_fp_ieee_overflow 0
		.amdhsa_exception_fp_ieee_underflow 0
		.amdhsa_exception_fp_ieee_inexact 0
		.amdhsa_exception_int_div_zero 0
	.end_amdhsa_kernel
	.section	.text._ZN7rocprim17ROCPRIM_400000_NS6detail17trampoline_kernelINS0_14default_configENS1_20scan_config_selectorIiEEZZNS1_9scan_implILNS1_25lookback_scan_determinismE0ELb0ELb0ES3_N6thrust23THRUST_200600_302600_NS6detail15normal_iteratorINS9_10device_ptrIiEEEESE_iNS9_4plusIvEEiEEDaPvRmT3_T4_T5_mT6_P12ihipStream_tbENKUlT_T0_E_clISt17integral_constantIbLb1EESU_EEDaSP_SQ_EUlSP_E0_NS1_11comp_targetILNS1_3genE10ELNS1_11target_archE1200ELNS1_3gpuE4ELNS1_3repE0EEENS1_30default_config_static_selectorELNS0_4arch9wavefront6targetE0EEEvT1_,"axG",@progbits,_ZN7rocprim17ROCPRIM_400000_NS6detail17trampoline_kernelINS0_14default_configENS1_20scan_config_selectorIiEEZZNS1_9scan_implILNS1_25lookback_scan_determinismE0ELb0ELb0ES3_N6thrust23THRUST_200600_302600_NS6detail15normal_iteratorINS9_10device_ptrIiEEEESE_iNS9_4plusIvEEiEEDaPvRmT3_T4_T5_mT6_P12ihipStream_tbENKUlT_T0_E_clISt17integral_constantIbLb1EESU_EEDaSP_SQ_EUlSP_E0_NS1_11comp_targetILNS1_3genE10ELNS1_11target_archE1200ELNS1_3gpuE4ELNS1_3repE0EEENS1_30default_config_static_selectorELNS0_4arch9wavefront6targetE0EEEvT1_,comdat
.Lfunc_end43:
	.size	_ZN7rocprim17ROCPRIM_400000_NS6detail17trampoline_kernelINS0_14default_configENS1_20scan_config_selectorIiEEZZNS1_9scan_implILNS1_25lookback_scan_determinismE0ELb0ELb0ES3_N6thrust23THRUST_200600_302600_NS6detail15normal_iteratorINS9_10device_ptrIiEEEESE_iNS9_4plusIvEEiEEDaPvRmT3_T4_T5_mT6_P12ihipStream_tbENKUlT_T0_E_clISt17integral_constantIbLb1EESU_EEDaSP_SQ_EUlSP_E0_NS1_11comp_targetILNS1_3genE10ELNS1_11target_archE1200ELNS1_3gpuE4ELNS1_3repE0EEENS1_30default_config_static_selectorELNS0_4arch9wavefront6targetE0EEEvT1_, .Lfunc_end43-_ZN7rocprim17ROCPRIM_400000_NS6detail17trampoline_kernelINS0_14default_configENS1_20scan_config_selectorIiEEZZNS1_9scan_implILNS1_25lookback_scan_determinismE0ELb0ELb0ES3_N6thrust23THRUST_200600_302600_NS6detail15normal_iteratorINS9_10device_ptrIiEEEESE_iNS9_4plusIvEEiEEDaPvRmT3_T4_T5_mT6_P12ihipStream_tbENKUlT_T0_E_clISt17integral_constantIbLb1EESU_EEDaSP_SQ_EUlSP_E0_NS1_11comp_targetILNS1_3genE10ELNS1_11target_archE1200ELNS1_3gpuE4ELNS1_3repE0EEENS1_30default_config_static_selectorELNS0_4arch9wavefront6targetE0EEEvT1_
                                        ; -- End function
	.set _ZN7rocprim17ROCPRIM_400000_NS6detail17trampoline_kernelINS0_14default_configENS1_20scan_config_selectorIiEEZZNS1_9scan_implILNS1_25lookback_scan_determinismE0ELb0ELb0ES3_N6thrust23THRUST_200600_302600_NS6detail15normal_iteratorINS9_10device_ptrIiEEEESE_iNS9_4plusIvEEiEEDaPvRmT3_T4_T5_mT6_P12ihipStream_tbENKUlT_T0_E_clISt17integral_constantIbLb1EESU_EEDaSP_SQ_EUlSP_E0_NS1_11comp_targetILNS1_3genE10ELNS1_11target_archE1200ELNS1_3gpuE4ELNS1_3repE0EEENS1_30default_config_static_selectorELNS0_4arch9wavefront6targetE0EEEvT1_.num_vgpr, 0
	.set _ZN7rocprim17ROCPRIM_400000_NS6detail17trampoline_kernelINS0_14default_configENS1_20scan_config_selectorIiEEZZNS1_9scan_implILNS1_25lookback_scan_determinismE0ELb0ELb0ES3_N6thrust23THRUST_200600_302600_NS6detail15normal_iteratorINS9_10device_ptrIiEEEESE_iNS9_4plusIvEEiEEDaPvRmT3_T4_T5_mT6_P12ihipStream_tbENKUlT_T0_E_clISt17integral_constantIbLb1EESU_EEDaSP_SQ_EUlSP_E0_NS1_11comp_targetILNS1_3genE10ELNS1_11target_archE1200ELNS1_3gpuE4ELNS1_3repE0EEENS1_30default_config_static_selectorELNS0_4arch9wavefront6targetE0EEEvT1_.num_agpr, 0
	.set _ZN7rocprim17ROCPRIM_400000_NS6detail17trampoline_kernelINS0_14default_configENS1_20scan_config_selectorIiEEZZNS1_9scan_implILNS1_25lookback_scan_determinismE0ELb0ELb0ES3_N6thrust23THRUST_200600_302600_NS6detail15normal_iteratorINS9_10device_ptrIiEEEESE_iNS9_4plusIvEEiEEDaPvRmT3_T4_T5_mT6_P12ihipStream_tbENKUlT_T0_E_clISt17integral_constantIbLb1EESU_EEDaSP_SQ_EUlSP_E0_NS1_11comp_targetILNS1_3genE10ELNS1_11target_archE1200ELNS1_3gpuE4ELNS1_3repE0EEENS1_30default_config_static_selectorELNS0_4arch9wavefront6targetE0EEEvT1_.numbered_sgpr, 0
	.set _ZN7rocprim17ROCPRIM_400000_NS6detail17trampoline_kernelINS0_14default_configENS1_20scan_config_selectorIiEEZZNS1_9scan_implILNS1_25lookback_scan_determinismE0ELb0ELb0ES3_N6thrust23THRUST_200600_302600_NS6detail15normal_iteratorINS9_10device_ptrIiEEEESE_iNS9_4plusIvEEiEEDaPvRmT3_T4_T5_mT6_P12ihipStream_tbENKUlT_T0_E_clISt17integral_constantIbLb1EESU_EEDaSP_SQ_EUlSP_E0_NS1_11comp_targetILNS1_3genE10ELNS1_11target_archE1200ELNS1_3gpuE4ELNS1_3repE0EEENS1_30default_config_static_selectorELNS0_4arch9wavefront6targetE0EEEvT1_.num_named_barrier, 0
	.set _ZN7rocprim17ROCPRIM_400000_NS6detail17trampoline_kernelINS0_14default_configENS1_20scan_config_selectorIiEEZZNS1_9scan_implILNS1_25lookback_scan_determinismE0ELb0ELb0ES3_N6thrust23THRUST_200600_302600_NS6detail15normal_iteratorINS9_10device_ptrIiEEEESE_iNS9_4plusIvEEiEEDaPvRmT3_T4_T5_mT6_P12ihipStream_tbENKUlT_T0_E_clISt17integral_constantIbLb1EESU_EEDaSP_SQ_EUlSP_E0_NS1_11comp_targetILNS1_3genE10ELNS1_11target_archE1200ELNS1_3gpuE4ELNS1_3repE0EEENS1_30default_config_static_selectorELNS0_4arch9wavefront6targetE0EEEvT1_.private_seg_size, 0
	.set _ZN7rocprim17ROCPRIM_400000_NS6detail17trampoline_kernelINS0_14default_configENS1_20scan_config_selectorIiEEZZNS1_9scan_implILNS1_25lookback_scan_determinismE0ELb0ELb0ES3_N6thrust23THRUST_200600_302600_NS6detail15normal_iteratorINS9_10device_ptrIiEEEESE_iNS9_4plusIvEEiEEDaPvRmT3_T4_T5_mT6_P12ihipStream_tbENKUlT_T0_E_clISt17integral_constantIbLb1EESU_EEDaSP_SQ_EUlSP_E0_NS1_11comp_targetILNS1_3genE10ELNS1_11target_archE1200ELNS1_3gpuE4ELNS1_3repE0EEENS1_30default_config_static_selectorELNS0_4arch9wavefront6targetE0EEEvT1_.uses_vcc, 0
	.set _ZN7rocprim17ROCPRIM_400000_NS6detail17trampoline_kernelINS0_14default_configENS1_20scan_config_selectorIiEEZZNS1_9scan_implILNS1_25lookback_scan_determinismE0ELb0ELb0ES3_N6thrust23THRUST_200600_302600_NS6detail15normal_iteratorINS9_10device_ptrIiEEEESE_iNS9_4plusIvEEiEEDaPvRmT3_T4_T5_mT6_P12ihipStream_tbENKUlT_T0_E_clISt17integral_constantIbLb1EESU_EEDaSP_SQ_EUlSP_E0_NS1_11comp_targetILNS1_3genE10ELNS1_11target_archE1200ELNS1_3gpuE4ELNS1_3repE0EEENS1_30default_config_static_selectorELNS0_4arch9wavefront6targetE0EEEvT1_.uses_flat_scratch, 0
	.set _ZN7rocprim17ROCPRIM_400000_NS6detail17trampoline_kernelINS0_14default_configENS1_20scan_config_selectorIiEEZZNS1_9scan_implILNS1_25lookback_scan_determinismE0ELb0ELb0ES3_N6thrust23THRUST_200600_302600_NS6detail15normal_iteratorINS9_10device_ptrIiEEEESE_iNS9_4plusIvEEiEEDaPvRmT3_T4_T5_mT6_P12ihipStream_tbENKUlT_T0_E_clISt17integral_constantIbLb1EESU_EEDaSP_SQ_EUlSP_E0_NS1_11comp_targetILNS1_3genE10ELNS1_11target_archE1200ELNS1_3gpuE4ELNS1_3repE0EEENS1_30default_config_static_selectorELNS0_4arch9wavefront6targetE0EEEvT1_.has_dyn_sized_stack, 0
	.set _ZN7rocprim17ROCPRIM_400000_NS6detail17trampoline_kernelINS0_14default_configENS1_20scan_config_selectorIiEEZZNS1_9scan_implILNS1_25lookback_scan_determinismE0ELb0ELb0ES3_N6thrust23THRUST_200600_302600_NS6detail15normal_iteratorINS9_10device_ptrIiEEEESE_iNS9_4plusIvEEiEEDaPvRmT3_T4_T5_mT6_P12ihipStream_tbENKUlT_T0_E_clISt17integral_constantIbLb1EESU_EEDaSP_SQ_EUlSP_E0_NS1_11comp_targetILNS1_3genE10ELNS1_11target_archE1200ELNS1_3gpuE4ELNS1_3repE0EEENS1_30default_config_static_selectorELNS0_4arch9wavefront6targetE0EEEvT1_.has_recursion, 0
	.set _ZN7rocprim17ROCPRIM_400000_NS6detail17trampoline_kernelINS0_14default_configENS1_20scan_config_selectorIiEEZZNS1_9scan_implILNS1_25lookback_scan_determinismE0ELb0ELb0ES3_N6thrust23THRUST_200600_302600_NS6detail15normal_iteratorINS9_10device_ptrIiEEEESE_iNS9_4plusIvEEiEEDaPvRmT3_T4_T5_mT6_P12ihipStream_tbENKUlT_T0_E_clISt17integral_constantIbLb1EESU_EEDaSP_SQ_EUlSP_E0_NS1_11comp_targetILNS1_3genE10ELNS1_11target_archE1200ELNS1_3gpuE4ELNS1_3repE0EEENS1_30default_config_static_selectorELNS0_4arch9wavefront6targetE0EEEvT1_.has_indirect_call, 0
	.section	.AMDGPU.csdata,"",@progbits
; Kernel info:
; codeLenInByte = 0
; TotalNumSgprs: 0
; NumVgprs: 0
; ScratchSize: 0
; MemoryBound: 0
; FloatMode: 240
; IeeeMode: 1
; LDSByteSize: 0 bytes/workgroup (compile time only)
; SGPRBlocks: 0
; VGPRBlocks: 0
; NumSGPRsForWavesPerEU: 1
; NumVGPRsForWavesPerEU: 1
; NamedBarCnt: 0
; Occupancy: 16
; WaveLimiterHint : 0
; COMPUTE_PGM_RSRC2:SCRATCH_EN: 0
; COMPUTE_PGM_RSRC2:USER_SGPR: 2
; COMPUTE_PGM_RSRC2:TRAP_HANDLER: 0
; COMPUTE_PGM_RSRC2:TGID_X_EN: 1
; COMPUTE_PGM_RSRC2:TGID_Y_EN: 0
; COMPUTE_PGM_RSRC2:TGID_Z_EN: 0
; COMPUTE_PGM_RSRC2:TIDIG_COMP_CNT: 0
	.section	.text._ZN7rocprim17ROCPRIM_400000_NS6detail17trampoline_kernelINS0_14default_configENS1_20scan_config_selectorIiEEZZNS1_9scan_implILNS1_25lookback_scan_determinismE0ELb0ELb0ES3_N6thrust23THRUST_200600_302600_NS6detail15normal_iteratorINS9_10device_ptrIiEEEESE_iNS9_4plusIvEEiEEDaPvRmT3_T4_T5_mT6_P12ihipStream_tbENKUlT_T0_E_clISt17integral_constantIbLb1EESU_EEDaSP_SQ_EUlSP_E0_NS1_11comp_targetILNS1_3genE9ELNS1_11target_archE1100ELNS1_3gpuE3ELNS1_3repE0EEENS1_30default_config_static_selectorELNS0_4arch9wavefront6targetE0EEEvT1_,"axG",@progbits,_ZN7rocprim17ROCPRIM_400000_NS6detail17trampoline_kernelINS0_14default_configENS1_20scan_config_selectorIiEEZZNS1_9scan_implILNS1_25lookback_scan_determinismE0ELb0ELb0ES3_N6thrust23THRUST_200600_302600_NS6detail15normal_iteratorINS9_10device_ptrIiEEEESE_iNS9_4plusIvEEiEEDaPvRmT3_T4_T5_mT6_P12ihipStream_tbENKUlT_T0_E_clISt17integral_constantIbLb1EESU_EEDaSP_SQ_EUlSP_E0_NS1_11comp_targetILNS1_3genE9ELNS1_11target_archE1100ELNS1_3gpuE3ELNS1_3repE0EEENS1_30default_config_static_selectorELNS0_4arch9wavefront6targetE0EEEvT1_,comdat
	.protected	_ZN7rocprim17ROCPRIM_400000_NS6detail17trampoline_kernelINS0_14default_configENS1_20scan_config_selectorIiEEZZNS1_9scan_implILNS1_25lookback_scan_determinismE0ELb0ELb0ES3_N6thrust23THRUST_200600_302600_NS6detail15normal_iteratorINS9_10device_ptrIiEEEESE_iNS9_4plusIvEEiEEDaPvRmT3_T4_T5_mT6_P12ihipStream_tbENKUlT_T0_E_clISt17integral_constantIbLb1EESU_EEDaSP_SQ_EUlSP_E0_NS1_11comp_targetILNS1_3genE9ELNS1_11target_archE1100ELNS1_3gpuE3ELNS1_3repE0EEENS1_30default_config_static_selectorELNS0_4arch9wavefront6targetE0EEEvT1_ ; -- Begin function _ZN7rocprim17ROCPRIM_400000_NS6detail17trampoline_kernelINS0_14default_configENS1_20scan_config_selectorIiEEZZNS1_9scan_implILNS1_25lookback_scan_determinismE0ELb0ELb0ES3_N6thrust23THRUST_200600_302600_NS6detail15normal_iteratorINS9_10device_ptrIiEEEESE_iNS9_4plusIvEEiEEDaPvRmT3_T4_T5_mT6_P12ihipStream_tbENKUlT_T0_E_clISt17integral_constantIbLb1EESU_EEDaSP_SQ_EUlSP_E0_NS1_11comp_targetILNS1_3genE9ELNS1_11target_archE1100ELNS1_3gpuE3ELNS1_3repE0EEENS1_30default_config_static_selectorELNS0_4arch9wavefront6targetE0EEEvT1_
	.globl	_ZN7rocprim17ROCPRIM_400000_NS6detail17trampoline_kernelINS0_14default_configENS1_20scan_config_selectorIiEEZZNS1_9scan_implILNS1_25lookback_scan_determinismE0ELb0ELb0ES3_N6thrust23THRUST_200600_302600_NS6detail15normal_iteratorINS9_10device_ptrIiEEEESE_iNS9_4plusIvEEiEEDaPvRmT3_T4_T5_mT6_P12ihipStream_tbENKUlT_T0_E_clISt17integral_constantIbLb1EESU_EEDaSP_SQ_EUlSP_E0_NS1_11comp_targetILNS1_3genE9ELNS1_11target_archE1100ELNS1_3gpuE3ELNS1_3repE0EEENS1_30default_config_static_selectorELNS0_4arch9wavefront6targetE0EEEvT1_
	.p2align	8
	.type	_ZN7rocprim17ROCPRIM_400000_NS6detail17trampoline_kernelINS0_14default_configENS1_20scan_config_selectorIiEEZZNS1_9scan_implILNS1_25lookback_scan_determinismE0ELb0ELb0ES3_N6thrust23THRUST_200600_302600_NS6detail15normal_iteratorINS9_10device_ptrIiEEEESE_iNS9_4plusIvEEiEEDaPvRmT3_T4_T5_mT6_P12ihipStream_tbENKUlT_T0_E_clISt17integral_constantIbLb1EESU_EEDaSP_SQ_EUlSP_E0_NS1_11comp_targetILNS1_3genE9ELNS1_11target_archE1100ELNS1_3gpuE3ELNS1_3repE0EEENS1_30default_config_static_selectorELNS0_4arch9wavefront6targetE0EEEvT1_,@function
_ZN7rocprim17ROCPRIM_400000_NS6detail17trampoline_kernelINS0_14default_configENS1_20scan_config_selectorIiEEZZNS1_9scan_implILNS1_25lookback_scan_determinismE0ELb0ELb0ES3_N6thrust23THRUST_200600_302600_NS6detail15normal_iteratorINS9_10device_ptrIiEEEESE_iNS9_4plusIvEEiEEDaPvRmT3_T4_T5_mT6_P12ihipStream_tbENKUlT_T0_E_clISt17integral_constantIbLb1EESU_EEDaSP_SQ_EUlSP_E0_NS1_11comp_targetILNS1_3genE9ELNS1_11target_archE1100ELNS1_3gpuE3ELNS1_3repE0EEENS1_30default_config_static_selectorELNS0_4arch9wavefront6targetE0EEEvT1_: ; @_ZN7rocprim17ROCPRIM_400000_NS6detail17trampoline_kernelINS0_14default_configENS1_20scan_config_selectorIiEEZZNS1_9scan_implILNS1_25lookback_scan_determinismE0ELb0ELb0ES3_N6thrust23THRUST_200600_302600_NS6detail15normal_iteratorINS9_10device_ptrIiEEEESE_iNS9_4plusIvEEiEEDaPvRmT3_T4_T5_mT6_P12ihipStream_tbENKUlT_T0_E_clISt17integral_constantIbLb1EESU_EEDaSP_SQ_EUlSP_E0_NS1_11comp_targetILNS1_3genE9ELNS1_11target_archE1100ELNS1_3gpuE3ELNS1_3repE0EEENS1_30default_config_static_selectorELNS0_4arch9wavefront6targetE0EEEvT1_
; %bb.0:
	.section	.rodata,"a",@progbits
	.p2align	6, 0x0
	.amdhsa_kernel _ZN7rocprim17ROCPRIM_400000_NS6detail17trampoline_kernelINS0_14default_configENS1_20scan_config_selectorIiEEZZNS1_9scan_implILNS1_25lookback_scan_determinismE0ELb0ELb0ES3_N6thrust23THRUST_200600_302600_NS6detail15normal_iteratorINS9_10device_ptrIiEEEESE_iNS9_4plusIvEEiEEDaPvRmT3_T4_T5_mT6_P12ihipStream_tbENKUlT_T0_E_clISt17integral_constantIbLb1EESU_EEDaSP_SQ_EUlSP_E0_NS1_11comp_targetILNS1_3genE9ELNS1_11target_archE1100ELNS1_3gpuE3ELNS1_3repE0EEENS1_30default_config_static_selectorELNS0_4arch9wavefront6targetE0EEEvT1_
		.amdhsa_group_segment_fixed_size 0
		.amdhsa_private_segment_fixed_size 0
		.amdhsa_kernarg_size 32
		.amdhsa_user_sgpr_count 2
		.amdhsa_user_sgpr_dispatch_ptr 0
		.amdhsa_user_sgpr_queue_ptr 0
		.amdhsa_user_sgpr_kernarg_segment_ptr 1
		.amdhsa_user_sgpr_dispatch_id 0
		.amdhsa_user_sgpr_kernarg_preload_length 0
		.amdhsa_user_sgpr_kernarg_preload_offset 0
		.amdhsa_user_sgpr_private_segment_size 0
		.amdhsa_wavefront_size32 1
		.amdhsa_uses_dynamic_stack 0
		.amdhsa_enable_private_segment 0
		.amdhsa_system_sgpr_workgroup_id_x 1
		.amdhsa_system_sgpr_workgroup_id_y 0
		.amdhsa_system_sgpr_workgroup_id_z 0
		.amdhsa_system_sgpr_workgroup_info 0
		.amdhsa_system_vgpr_workitem_id 0
		.amdhsa_next_free_vgpr 1
		.amdhsa_next_free_sgpr 1
		.amdhsa_named_barrier_count 0
		.amdhsa_reserve_vcc 0
		.amdhsa_float_round_mode_32 0
		.amdhsa_float_round_mode_16_64 0
		.amdhsa_float_denorm_mode_32 3
		.amdhsa_float_denorm_mode_16_64 3
		.amdhsa_fp16_overflow 0
		.amdhsa_memory_ordered 1
		.amdhsa_forward_progress 1
		.amdhsa_inst_pref_size 0
		.amdhsa_round_robin_scheduling 0
		.amdhsa_exception_fp_ieee_invalid_op 0
		.amdhsa_exception_fp_denorm_src 0
		.amdhsa_exception_fp_ieee_div_zero 0
		.amdhsa_exception_fp_ieee_overflow 0
		.amdhsa_exception_fp_ieee_underflow 0
		.amdhsa_exception_fp_ieee_inexact 0
		.amdhsa_exception_int_div_zero 0
	.end_amdhsa_kernel
	.section	.text._ZN7rocprim17ROCPRIM_400000_NS6detail17trampoline_kernelINS0_14default_configENS1_20scan_config_selectorIiEEZZNS1_9scan_implILNS1_25lookback_scan_determinismE0ELb0ELb0ES3_N6thrust23THRUST_200600_302600_NS6detail15normal_iteratorINS9_10device_ptrIiEEEESE_iNS9_4plusIvEEiEEDaPvRmT3_T4_T5_mT6_P12ihipStream_tbENKUlT_T0_E_clISt17integral_constantIbLb1EESU_EEDaSP_SQ_EUlSP_E0_NS1_11comp_targetILNS1_3genE9ELNS1_11target_archE1100ELNS1_3gpuE3ELNS1_3repE0EEENS1_30default_config_static_selectorELNS0_4arch9wavefront6targetE0EEEvT1_,"axG",@progbits,_ZN7rocprim17ROCPRIM_400000_NS6detail17trampoline_kernelINS0_14default_configENS1_20scan_config_selectorIiEEZZNS1_9scan_implILNS1_25lookback_scan_determinismE0ELb0ELb0ES3_N6thrust23THRUST_200600_302600_NS6detail15normal_iteratorINS9_10device_ptrIiEEEESE_iNS9_4plusIvEEiEEDaPvRmT3_T4_T5_mT6_P12ihipStream_tbENKUlT_T0_E_clISt17integral_constantIbLb1EESU_EEDaSP_SQ_EUlSP_E0_NS1_11comp_targetILNS1_3genE9ELNS1_11target_archE1100ELNS1_3gpuE3ELNS1_3repE0EEENS1_30default_config_static_selectorELNS0_4arch9wavefront6targetE0EEEvT1_,comdat
.Lfunc_end44:
	.size	_ZN7rocprim17ROCPRIM_400000_NS6detail17trampoline_kernelINS0_14default_configENS1_20scan_config_selectorIiEEZZNS1_9scan_implILNS1_25lookback_scan_determinismE0ELb0ELb0ES3_N6thrust23THRUST_200600_302600_NS6detail15normal_iteratorINS9_10device_ptrIiEEEESE_iNS9_4plusIvEEiEEDaPvRmT3_T4_T5_mT6_P12ihipStream_tbENKUlT_T0_E_clISt17integral_constantIbLb1EESU_EEDaSP_SQ_EUlSP_E0_NS1_11comp_targetILNS1_3genE9ELNS1_11target_archE1100ELNS1_3gpuE3ELNS1_3repE0EEENS1_30default_config_static_selectorELNS0_4arch9wavefront6targetE0EEEvT1_, .Lfunc_end44-_ZN7rocprim17ROCPRIM_400000_NS6detail17trampoline_kernelINS0_14default_configENS1_20scan_config_selectorIiEEZZNS1_9scan_implILNS1_25lookback_scan_determinismE0ELb0ELb0ES3_N6thrust23THRUST_200600_302600_NS6detail15normal_iteratorINS9_10device_ptrIiEEEESE_iNS9_4plusIvEEiEEDaPvRmT3_T4_T5_mT6_P12ihipStream_tbENKUlT_T0_E_clISt17integral_constantIbLb1EESU_EEDaSP_SQ_EUlSP_E0_NS1_11comp_targetILNS1_3genE9ELNS1_11target_archE1100ELNS1_3gpuE3ELNS1_3repE0EEENS1_30default_config_static_selectorELNS0_4arch9wavefront6targetE0EEEvT1_
                                        ; -- End function
	.set _ZN7rocprim17ROCPRIM_400000_NS6detail17trampoline_kernelINS0_14default_configENS1_20scan_config_selectorIiEEZZNS1_9scan_implILNS1_25lookback_scan_determinismE0ELb0ELb0ES3_N6thrust23THRUST_200600_302600_NS6detail15normal_iteratorINS9_10device_ptrIiEEEESE_iNS9_4plusIvEEiEEDaPvRmT3_T4_T5_mT6_P12ihipStream_tbENKUlT_T0_E_clISt17integral_constantIbLb1EESU_EEDaSP_SQ_EUlSP_E0_NS1_11comp_targetILNS1_3genE9ELNS1_11target_archE1100ELNS1_3gpuE3ELNS1_3repE0EEENS1_30default_config_static_selectorELNS0_4arch9wavefront6targetE0EEEvT1_.num_vgpr, 0
	.set _ZN7rocprim17ROCPRIM_400000_NS6detail17trampoline_kernelINS0_14default_configENS1_20scan_config_selectorIiEEZZNS1_9scan_implILNS1_25lookback_scan_determinismE0ELb0ELb0ES3_N6thrust23THRUST_200600_302600_NS6detail15normal_iteratorINS9_10device_ptrIiEEEESE_iNS9_4plusIvEEiEEDaPvRmT3_T4_T5_mT6_P12ihipStream_tbENKUlT_T0_E_clISt17integral_constantIbLb1EESU_EEDaSP_SQ_EUlSP_E0_NS1_11comp_targetILNS1_3genE9ELNS1_11target_archE1100ELNS1_3gpuE3ELNS1_3repE0EEENS1_30default_config_static_selectorELNS0_4arch9wavefront6targetE0EEEvT1_.num_agpr, 0
	.set _ZN7rocprim17ROCPRIM_400000_NS6detail17trampoline_kernelINS0_14default_configENS1_20scan_config_selectorIiEEZZNS1_9scan_implILNS1_25lookback_scan_determinismE0ELb0ELb0ES3_N6thrust23THRUST_200600_302600_NS6detail15normal_iteratorINS9_10device_ptrIiEEEESE_iNS9_4plusIvEEiEEDaPvRmT3_T4_T5_mT6_P12ihipStream_tbENKUlT_T0_E_clISt17integral_constantIbLb1EESU_EEDaSP_SQ_EUlSP_E0_NS1_11comp_targetILNS1_3genE9ELNS1_11target_archE1100ELNS1_3gpuE3ELNS1_3repE0EEENS1_30default_config_static_selectorELNS0_4arch9wavefront6targetE0EEEvT1_.numbered_sgpr, 0
	.set _ZN7rocprim17ROCPRIM_400000_NS6detail17trampoline_kernelINS0_14default_configENS1_20scan_config_selectorIiEEZZNS1_9scan_implILNS1_25lookback_scan_determinismE0ELb0ELb0ES3_N6thrust23THRUST_200600_302600_NS6detail15normal_iteratorINS9_10device_ptrIiEEEESE_iNS9_4plusIvEEiEEDaPvRmT3_T4_T5_mT6_P12ihipStream_tbENKUlT_T0_E_clISt17integral_constantIbLb1EESU_EEDaSP_SQ_EUlSP_E0_NS1_11comp_targetILNS1_3genE9ELNS1_11target_archE1100ELNS1_3gpuE3ELNS1_3repE0EEENS1_30default_config_static_selectorELNS0_4arch9wavefront6targetE0EEEvT1_.num_named_barrier, 0
	.set _ZN7rocprim17ROCPRIM_400000_NS6detail17trampoline_kernelINS0_14default_configENS1_20scan_config_selectorIiEEZZNS1_9scan_implILNS1_25lookback_scan_determinismE0ELb0ELb0ES3_N6thrust23THRUST_200600_302600_NS6detail15normal_iteratorINS9_10device_ptrIiEEEESE_iNS9_4plusIvEEiEEDaPvRmT3_T4_T5_mT6_P12ihipStream_tbENKUlT_T0_E_clISt17integral_constantIbLb1EESU_EEDaSP_SQ_EUlSP_E0_NS1_11comp_targetILNS1_3genE9ELNS1_11target_archE1100ELNS1_3gpuE3ELNS1_3repE0EEENS1_30default_config_static_selectorELNS0_4arch9wavefront6targetE0EEEvT1_.private_seg_size, 0
	.set _ZN7rocprim17ROCPRIM_400000_NS6detail17trampoline_kernelINS0_14default_configENS1_20scan_config_selectorIiEEZZNS1_9scan_implILNS1_25lookback_scan_determinismE0ELb0ELb0ES3_N6thrust23THRUST_200600_302600_NS6detail15normal_iteratorINS9_10device_ptrIiEEEESE_iNS9_4plusIvEEiEEDaPvRmT3_T4_T5_mT6_P12ihipStream_tbENKUlT_T0_E_clISt17integral_constantIbLb1EESU_EEDaSP_SQ_EUlSP_E0_NS1_11comp_targetILNS1_3genE9ELNS1_11target_archE1100ELNS1_3gpuE3ELNS1_3repE0EEENS1_30default_config_static_selectorELNS0_4arch9wavefront6targetE0EEEvT1_.uses_vcc, 0
	.set _ZN7rocprim17ROCPRIM_400000_NS6detail17trampoline_kernelINS0_14default_configENS1_20scan_config_selectorIiEEZZNS1_9scan_implILNS1_25lookback_scan_determinismE0ELb0ELb0ES3_N6thrust23THRUST_200600_302600_NS6detail15normal_iteratorINS9_10device_ptrIiEEEESE_iNS9_4plusIvEEiEEDaPvRmT3_T4_T5_mT6_P12ihipStream_tbENKUlT_T0_E_clISt17integral_constantIbLb1EESU_EEDaSP_SQ_EUlSP_E0_NS1_11comp_targetILNS1_3genE9ELNS1_11target_archE1100ELNS1_3gpuE3ELNS1_3repE0EEENS1_30default_config_static_selectorELNS0_4arch9wavefront6targetE0EEEvT1_.uses_flat_scratch, 0
	.set _ZN7rocprim17ROCPRIM_400000_NS6detail17trampoline_kernelINS0_14default_configENS1_20scan_config_selectorIiEEZZNS1_9scan_implILNS1_25lookback_scan_determinismE0ELb0ELb0ES3_N6thrust23THRUST_200600_302600_NS6detail15normal_iteratorINS9_10device_ptrIiEEEESE_iNS9_4plusIvEEiEEDaPvRmT3_T4_T5_mT6_P12ihipStream_tbENKUlT_T0_E_clISt17integral_constantIbLb1EESU_EEDaSP_SQ_EUlSP_E0_NS1_11comp_targetILNS1_3genE9ELNS1_11target_archE1100ELNS1_3gpuE3ELNS1_3repE0EEENS1_30default_config_static_selectorELNS0_4arch9wavefront6targetE0EEEvT1_.has_dyn_sized_stack, 0
	.set _ZN7rocprim17ROCPRIM_400000_NS6detail17trampoline_kernelINS0_14default_configENS1_20scan_config_selectorIiEEZZNS1_9scan_implILNS1_25lookback_scan_determinismE0ELb0ELb0ES3_N6thrust23THRUST_200600_302600_NS6detail15normal_iteratorINS9_10device_ptrIiEEEESE_iNS9_4plusIvEEiEEDaPvRmT3_T4_T5_mT6_P12ihipStream_tbENKUlT_T0_E_clISt17integral_constantIbLb1EESU_EEDaSP_SQ_EUlSP_E0_NS1_11comp_targetILNS1_3genE9ELNS1_11target_archE1100ELNS1_3gpuE3ELNS1_3repE0EEENS1_30default_config_static_selectorELNS0_4arch9wavefront6targetE0EEEvT1_.has_recursion, 0
	.set _ZN7rocprim17ROCPRIM_400000_NS6detail17trampoline_kernelINS0_14default_configENS1_20scan_config_selectorIiEEZZNS1_9scan_implILNS1_25lookback_scan_determinismE0ELb0ELb0ES3_N6thrust23THRUST_200600_302600_NS6detail15normal_iteratorINS9_10device_ptrIiEEEESE_iNS9_4plusIvEEiEEDaPvRmT3_T4_T5_mT6_P12ihipStream_tbENKUlT_T0_E_clISt17integral_constantIbLb1EESU_EEDaSP_SQ_EUlSP_E0_NS1_11comp_targetILNS1_3genE9ELNS1_11target_archE1100ELNS1_3gpuE3ELNS1_3repE0EEENS1_30default_config_static_selectorELNS0_4arch9wavefront6targetE0EEEvT1_.has_indirect_call, 0
	.section	.AMDGPU.csdata,"",@progbits
; Kernel info:
; codeLenInByte = 0
; TotalNumSgprs: 0
; NumVgprs: 0
; ScratchSize: 0
; MemoryBound: 0
; FloatMode: 240
; IeeeMode: 1
; LDSByteSize: 0 bytes/workgroup (compile time only)
; SGPRBlocks: 0
; VGPRBlocks: 0
; NumSGPRsForWavesPerEU: 1
; NumVGPRsForWavesPerEU: 1
; NamedBarCnt: 0
; Occupancy: 16
; WaveLimiterHint : 0
; COMPUTE_PGM_RSRC2:SCRATCH_EN: 0
; COMPUTE_PGM_RSRC2:USER_SGPR: 2
; COMPUTE_PGM_RSRC2:TRAP_HANDLER: 0
; COMPUTE_PGM_RSRC2:TGID_X_EN: 1
; COMPUTE_PGM_RSRC2:TGID_Y_EN: 0
; COMPUTE_PGM_RSRC2:TGID_Z_EN: 0
; COMPUTE_PGM_RSRC2:TIDIG_COMP_CNT: 0
	.section	.text._ZN7rocprim17ROCPRIM_400000_NS6detail17trampoline_kernelINS0_14default_configENS1_20scan_config_selectorIiEEZZNS1_9scan_implILNS1_25lookback_scan_determinismE0ELb0ELb0ES3_N6thrust23THRUST_200600_302600_NS6detail15normal_iteratorINS9_10device_ptrIiEEEESE_iNS9_4plusIvEEiEEDaPvRmT3_T4_T5_mT6_P12ihipStream_tbENKUlT_T0_E_clISt17integral_constantIbLb1EESU_EEDaSP_SQ_EUlSP_E0_NS1_11comp_targetILNS1_3genE8ELNS1_11target_archE1030ELNS1_3gpuE2ELNS1_3repE0EEENS1_30default_config_static_selectorELNS0_4arch9wavefront6targetE0EEEvT1_,"axG",@progbits,_ZN7rocprim17ROCPRIM_400000_NS6detail17trampoline_kernelINS0_14default_configENS1_20scan_config_selectorIiEEZZNS1_9scan_implILNS1_25lookback_scan_determinismE0ELb0ELb0ES3_N6thrust23THRUST_200600_302600_NS6detail15normal_iteratorINS9_10device_ptrIiEEEESE_iNS9_4plusIvEEiEEDaPvRmT3_T4_T5_mT6_P12ihipStream_tbENKUlT_T0_E_clISt17integral_constantIbLb1EESU_EEDaSP_SQ_EUlSP_E0_NS1_11comp_targetILNS1_3genE8ELNS1_11target_archE1030ELNS1_3gpuE2ELNS1_3repE0EEENS1_30default_config_static_selectorELNS0_4arch9wavefront6targetE0EEEvT1_,comdat
	.protected	_ZN7rocprim17ROCPRIM_400000_NS6detail17trampoline_kernelINS0_14default_configENS1_20scan_config_selectorIiEEZZNS1_9scan_implILNS1_25lookback_scan_determinismE0ELb0ELb0ES3_N6thrust23THRUST_200600_302600_NS6detail15normal_iteratorINS9_10device_ptrIiEEEESE_iNS9_4plusIvEEiEEDaPvRmT3_T4_T5_mT6_P12ihipStream_tbENKUlT_T0_E_clISt17integral_constantIbLb1EESU_EEDaSP_SQ_EUlSP_E0_NS1_11comp_targetILNS1_3genE8ELNS1_11target_archE1030ELNS1_3gpuE2ELNS1_3repE0EEENS1_30default_config_static_selectorELNS0_4arch9wavefront6targetE0EEEvT1_ ; -- Begin function _ZN7rocprim17ROCPRIM_400000_NS6detail17trampoline_kernelINS0_14default_configENS1_20scan_config_selectorIiEEZZNS1_9scan_implILNS1_25lookback_scan_determinismE0ELb0ELb0ES3_N6thrust23THRUST_200600_302600_NS6detail15normal_iteratorINS9_10device_ptrIiEEEESE_iNS9_4plusIvEEiEEDaPvRmT3_T4_T5_mT6_P12ihipStream_tbENKUlT_T0_E_clISt17integral_constantIbLb1EESU_EEDaSP_SQ_EUlSP_E0_NS1_11comp_targetILNS1_3genE8ELNS1_11target_archE1030ELNS1_3gpuE2ELNS1_3repE0EEENS1_30default_config_static_selectorELNS0_4arch9wavefront6targetE0EEEvT1_
	.globl	_ZN7rocprim17ROCPRIM_400000_NS6detail17trampoline_kernelINS0_14default_configENS1_20scan_config_selectorIiEEZZNS1_9scan_implILNS1_25lookback_scan_determinismE0ELb0ELb0ES3_N6thrust23THRUST_200600_302600_NS6detail15normal_iteratorINS9_10device_ptrIiEEEESE_iNS9_4plusIvEEiEEDaPvRmT3_T4_T5_mT6_P12ihipStream_tbENKUlT_T0_E_clISt17integral_constantIbLb1EESU_EEDaSP_SQ_EUlSP_E0_NS1_11comp_targetILNS1_3genE8ELNS1_11target_archE1030ELNS1_3gpuE2ELNS1_3repE0EEENS1_30default_config_static_selectorELNS0_4arch9wavefront6targetE0EEEvT1_
	.p2align	8
	.type	_ZN7rocprim17ROCPRIM_400000_NS6detail17trampoline_kernelINS0_14default_configENS1_20scan_config_selectorIiEEZZNS1_9scan_implILNS1_25lookback_scan_determinismE0ELb0ELb0ES3_N6thrust23THRUST_200600_302600_NS6detail15normal_iteratorINS9_10device_ptrIiEEEESE_iNS9_4plusIvEEiEEDaPvRmT3_T4_T5_mT6_P12ihipStream_tbENKUlT_T0_E_clISt17integral_constantIbLb1EESU_EEDaSP_SQ_EUlSP_E0_NS1_11comp_targetILNS1_3genE8ELNS1_11target_archE1030ELNS1_3gpuE2ELNS1_3repE0EEENS1_30default_config_static_selectorELNS0_4arch9wavefront6targetE0EEEvT1_,@function
_ZN7rocprim17ROCPRIM_400000_NS6detail17trampoline_kernelINS0_14default_configENS1_20scan_config_selectorIiEEZZNS1_9scan_implILNS1_25lookback_scan_determinismE0ELb0ELb0ES3_N6thrust23THRUST_200600_302600_NS6detail15normal_iteratorINS9_10device_ptrIiEEEESE_iNS9_4plusIvEEiEEDaPvRmT3_T4_T5_mT6_P12ihipStream_tbENKUlT_T0_E_clISt17integral_constantIbLb1EESU_EEDaSP_SQ_EUlSP_E0_NS1_11comp_targetILNS1_3genE8ELNS1_11target_archE1030ELNS1_3gpuE2ELNS1_3repE0EEENS1_30default_config_static_selectorELNS0_4arch9wavefront6targetE0EEEvT1_: ; @_ZN7rocprim17ROCPRIM_400000_NS6detail17trampoline_kernelINS0_14default_configENS1_20scan_config_selectorIiEEZZNS1_9scan_implILNS1_25lookback_scan_determinismE0ELb0ELb0ES3_N6thrust23THRUST_200600_302600_NS6detail15normal_iteratorINS9_10device_ptrIiEEEESE_iNS9_4plusIvEEiEEDaPvRmT3_T4_T5_mT6_P12ihipStream_tbENKUlT_T0_E_clISt17integral_constantIbLb1EESU_EEDaSP_SQ_EUlSP_E0_NS1_11comp_targetILNS1_3genE8ELNS1_11target_archE1030ELNS1_3gpuE2ELNS1_3repE0EEENS1_30default_config_static_selectorELNS0_4arch9wavefront6targetE0EEEvT1_
; %bb.0:
	.section	.rodata,"a",@progbits
	.p2align	6, 0x0
	.amdhsa_kernel _ZN7rocprim17ROCPRIM_400000_NS6detail17trampoline_kernelINS0_14default_configENS1_20scan_config_selectorIiEEZZNS1_9scan_implILNS1_25lookback_scan_determinismE0ELb0ELb0ES3_N6thrust23THRUST_200600_302600_NS6detail15normal_iteratorINS9_10device_ptrIiEEEESE_iNS9_4plusIvEEiEEDaPvRmT3_T4_T5_mT6_P12ihipStream_tbENKUlT_T0_E_clISt17integral_constantIbLb1EESU_EEDaSP_SQ_EUlSP_E0_NS1_11comp_targetILNS1_3genE8ELNS1_11target_archE1030ELNS1_3gpuE2ELNS1_3repE0EEENS1_30default_config_static_selectorELNS0_4arch9wavefront6targetE0EEEvT1_
		.amdhsa_group_segment_fixed_size 0
		.amdhsa_private_segment_fixed_size 0
		.amdhsa_kernarg_size 32
		.amdhsa_user_sgpr_count 2
		.amdhsa_user_sgpr_dispatch_ptr 0
		.amdhsa_user_sgpr_queue_ptr 0
		.amdhsa_user_sgpr_kernarg_segment_ptr 1
		.amdhsa_user_sgpr_dispatch_id 0
		.amdhsa_user_sgpr_kernarg_preload_length 0
		.amdhsa_user_sgpr_kernarg_preload_offset 0
		.amdhsa_user_sgpr_private_segment_size 0
		.amdhsa_wavefront_size32 1
		.amdhsa_uses_dynamic_stack 0
		.amdhsa_enable_private_segment 0
		.amdhsa_system_sgpr_workgroup_id_x 1
		.amdhsa_system_sgpr_workgroup_id_y 0
		.amdhsa_system_sgpr_workgroup_id_z 0
		.amdhsa_system_sgpr_workgroup_info 0
		.amdhsa_system_vgpr_workitem_id 0
		.amdhsa_next_free_vgpr 1
		.amdhsa_next_free_sgpr 1
		.amdhsa_named_barrier_count 0
		.amdhsa_reserve_vcc 0
		.amdhsa_float_round_mode_32 0
		.amdhsa_float_round_mode_16_64 0
		.amdhsa_float_denorm_mode_32 3
		.amdhsa_float_denorm_mode_16_64 3
		.amdhsa_fp16_overflow 0
		.amdhsa_memory_ordered 1
		.amdhsa_forward_progress 1
		.amdhsa_inst_pref_size 0
		.amdhsa_round_robin_scheduling 0
		.amdhsa_exception_fp_ieee_invalid_op 0
		.amdhsa_exception_fp_denorm_src 0
		.amdhsa_exception_fp_ieee_div_zero 0
		.amdhsa_exception_fp_ieee_overflow 0
		.amdhsa_exception_fp_ieee_underflow 0
		.amdhsa_exception_fp_ieee_inexact 0
		.amdhsa_exception_int_div_zero 0
	.end_amdhsa_kernel
	.section	.text._ZN7rocprim17ROCPRIM_400000_NS6detail17trampoline_kernelINS0_14default_configENS1_20scan_config_selectorIiEEZZNS1_9scan_implILNS1_25lookback_scan_determinismE0ELb0ELb0ES3_N6thrust23THRUST_200600_302600_NS6detail15normal_iteratorINS9_10device_ptrIiEEEESE_iNS9_4plusIvEEiEEDaPvRmT3_T4_T5_mT6_P12ihipStream_tbENKUlT_T0_E_clISt17integral_constantIbLb1EESU_EEDaSP_SQ_EUlSP_E0_NS1_11comp_targetILNS1_3genE8ELNS1_11target_archE1030ELNS1_3gpuE2ELNS1_3repE0EEENS1_30default_config_static_selectorELNS0_4arch9wavefront6targetE0EEEvT1_,"axG",@progbits,_ZN7rocprim17ROCPRIM_400000_NS6detail17trampoline_kernelINS0_14default_configENS1_20scan_config_selectorIiEEZZNS1_9scan_implILNS1_25lookback_scan_determinismE0ELb0ELb0ES3_N6thrust23THRUST_200600_302600_NS6detail15normal_iteratorINS9_10device_ptrIiEEEESE_iNS9_4plusIvEEiEEDaPvRmT3_T4_T5_mT6_P12ihipStream_tbENKUlT_T0_E_clISt17integral_constantIbLb1EESU_EEDaSP_SQ_EUlSP_E0_NS1_11comp_targetILNS1_3genE8ELNS1_11target_archE1030ELNS1_3gpuE2ELNS1_3repE0EEENS1_30default_config_static_selectorELNS0_4arch9wavefront6targetE0EEEvT1_,comdat
.Lfunc_end45:
	.size	_ZN7rocprim17ROCPRIM_400000_NS6detail17trampoline_kernelINS0_14default_configENS1_20scan_config_selectorIiEEZZNS1_9scan_implILNS1_25lookback_scan_determinismE0ELb0ELb0ES3_N6thrust23THRUST_200600_302600_NS6detail15normal_iteratorINS9_10device_ptrIiEEEESE_iNS9_4plusIvEEiEEDaPvRmT3_T4_T5_mT6_P12ihipStream_tbENKUlT_T0_E_clISt17integral_constantIbLb1EESU_EEDaSP_SQ_EUlSP_E0_NS1_11comp_targetILNS1_3genE8ELNS1_11target_archE1030ELNS1_3gpuE2ELNS1_3repE0EEENS1_30default_config_static_selectorELNS0_4arch9wavefront6targetE0EEEvT1_, .Lfunc_end45-_ZN7rocprim17ROCPRIM_400000_NS6detail17trampoline_kernelINS0_14default_configENS1_20scan_config_selectorIiEEZZNS1_9scan_implILNS1_25lookback_scan_determinismE0ELb0ELb0ES3_N6thrust23THRUST_200600_302600_NS6detail15normal_iteratorINS9_10device_ptrIiEEEESE_iNS9_4plusIvEEiEEDaPvRmT3_T4_T5_mT6_P12ihipStream_tbENKUlT_T0_E_clISt17integral_constantIbLb1EESU_EEDaSP_SQ_EUlSP_E0_NS1_11comp_targetILNS1_3genE8ELNS1_11target_archE1030ELNS1_3gpuE2ELNS1_3repE0EEENS1_30default_config_static_selectorELNS0_4arch9wavefront6targetE0EEEvT1_
                                        ; -- End function
	.set _ZN7rocprim17ROCPRIM_400000_NS6detail17trampoline_kernelINS0_14default_configENS1_20scan_config_selectorIiEEZZNS1_9scan_implILNS1_25lookback_scan_determinismE0ELb0ELb0ES3_N6thrust23THRUST_200600_302600_NS6detail15normal_iteratorINS9_10device_ptrIiEEEESE_iNS9_4plusIvEEiEEDaPvRmT3_T4_T5_mT6_P12ihipStream_tbENKUlT_T0_E_clISt17integral_constantIbLb1EESU_EEDaSP_SQ_EUlSP_E0_NS1_11comp_targetILNS1_3genE8ELNS1_11target_archE1030ELNS1_3gpuE2ELNS1_3repE0EEENS1_30default_config_static_selectorELNS0_4arch9wavefront6targetE0EEEvT1_.num_vgpr, 0
	.set _ZN7rocprim17ROCPRIM_400000_NS6detail17trampoline_kernelINS0_14default_configENS1_20scan_config_selectorIiEEZZNS1_9scan_implILNS1_25lookback_scan_determinismE0ELb0ELb0ES3_N6thrust23THRUST_200600_302600_NS6detail15normal_iteratorINS9_10device_ptrIiEEEESE_iNS9_4plusIvEEiEEDaPvRmT3_T4_T5_mT6_P12ihipStream_tbENKUlT_T0_E_clISt17integral_constantIbLb1EESU_EEDaSP_SQ_EUlSP_E0_NS1_11comp_targetILNS1_3genE8ELNS1_11target_archE1030ELNS1_3gpuE2ELNS1_3repE0EEENS1_30default_config_static_selectorELNS0_4arch9wavefront6targetE0EEEvT1_.num_agpr, 0
	.set _ZN7rocprim17ROCPRIM_400000_NS6detail17trampoline_kernelINS0_14default_configENS1_20scan_config_selectorIiEEZZNS1_9scan_implILNS1_25lookback_scan_determinismE0ELb0ELb0ES3_N6thrust23THRUST_200600_302600_NS6detail15normal_iteratorINS9_10device_ptrIiEEEESE_iNS9_4plusIvEEiEEDaPvRmT3_T4_T5_mT6_P12ihipStream_tbENKUlT_T0_E_clISt17integral_constantIbLb1EESU_EEDaSP_SQ_EUlSP_E0_NS1_11comp_targetILNS1_3genE8ELNS1_11target_archE1030ELNS1_3gpuE2ELNS1_3repE0EEENS1_30default_config_static_selectorELNS0_4arch9wavefront6targetE0EEEvT1_.numbered_sgpr, 0
	.set _ZN7rocprim17ROCPRIM_400000_NS6detail17trampoline_kernelINS0_14default_configENS1_20scan_config_selectorIiEEZZNS1_9scan_implILNS1_25lookback_scan_determinismE0ELb0ELb0ES3_N6thrust23THRUST_200600_302600_NS6detail15normal_iteratorINS9_10device_ptrIiEEEESE_iNS9_4plusIvEEiEEDaPvRmT3_T4_T5_mT6_P12ihipStream_tbENKUlT_T0_E_clISt17integral_constantIbLb1EESU_EEDaSP_SQ_EUlSP_E0_NS1_11comp_targetILNS1_3genE8ELNS1_11target_archE1030ELNS1_3gpuE2ELNS1_3repE0EEENS1_30default_config_static_selectorELNS0_4arch9wavefront6targetE0EEEvT1_.num_named_barrier, 0
	.set _ZN7rocprim17ROCPRIM_400000_NS6detail17trampoline_kernelINS0_14default_configENS1_20scan_config_selectorIiEEZZNS1_9scan_implILNS1_25lookback_scan_determinismE0ELb0ELb0ES3_N6thrust23THRUST_200600_302600_NS6detail15normal_iteratorINS9_10device_ptrIiEEEESE_iNS9_4plusIvEEiEEDaPvRmT3_T4_T5_mT6_P12ihipStream_tbENKUlT_T0_E_clISt17integral_constantIbLb1EESU_EEDaSP_SQ_EUlSP_E0_NS1_11comp_targetILNS1_3genE8ELNS1_11target_archE1030ELNS1_3gpuE2ELNS1_3repE0EEENS1_30default_config_static_selectorELNS0_4arch9wavefront6targetE0EEEvT1_.private_seg_size, 0
	.set _ZN7rocprim17ROCPRIM_400000_NS6detail17trampoline_kernelINS0_14default_configENS1_20scan_config_selectorIiEEZZNS1_9scan_implILNS1_25lookback_scan_determinismE0ELb0ELb0ES3_N6thrust23THRUST_200600_302600_NS6detail15normal_iteratorINS9_10device_ptrIiEEEESE_iNS9_4plusIvEEiEEDaPvRmT3_T4_T5_mT6_P12ihipStream_tbENKUlT_T0_E_clISt17integral_constantIbLb1EESU_EEDaSP_SQ_EUlSP_E0_NS1_11comp_targetILNS1_3genE8ELNS1_11target_archE1030ELNS1_3gpuE2ELNS1_3repE0EEENS1_30default_config_static_selectorELNS0_4arch9wavefront6targetE0EEEvT1_.uses_vcc, 0
	.set _ZN7rocprim17ROCPRIM_400000_NS6detail17trampoline_kernelINS0_14default_configENS1_20scan_config_selectorIiEEZZNS1_9scan_implILNS1_25lookback_scan_determinismE0ELb0ELb0ES3_N6thrust23THRUST_200600_302600_NS6detail15normal_iteratorINS9_10device_ptrIiEEEESE_iNS9_4plusIvEEiEEDaPvRmT3_T4_T5_mT6_P12ihipStream_tbENKUlT_T0_E_clISt17integral_constantIbLb1EESU_EEDaSP_SQ_EUlSP_E0_NS1_11comp_targetILNS1_3genE8ELNS1_11target_archE1030ELNS1_3gpuE2ELNS1_3repE0EEENS1_30default_config_static_selectorELNS0_4arch9wavefront6targetE0EEEvT1_.uses_flat_scratch, 0
	.set _ZN7rocprim17ROCPRIM_400000_NS6detail17trampoline_kernelINS0_14default_configENS1_20scan_config_selectorIiEEZZNS1_9scan_implILNS1_25lookback_scan_determinismE0ELb0ELb0ES3_N6thrust23THRUST_200600_302600_NS6detail15normal_iteratorINS9_10device_ptrIiEEEESE_iNS9_4plusIvEEiEEDaPvRmT3_T4_T5_mT6_P12ihipStream_tbENKUlT_T0_E_clISt17integral_constantIbLb1EESU_EEDaSP_SQ_EUlSP_E0_NS1_11comp_targetILNS1_3genE8ELNS1_11target_archE1030ELNS1_3gpuE2ELNS1_3repE0EEENS1_30default_config_static_selectorELNS0_4arch9wavefront6targetE0EEEvT1_.has_dyn_sized_stack, 0
	.set _ZN7rocprim17ROCPRIM_400000_NS6detail17trampoline_kernelINS0_14default_configENS1_20scan_config_selectorIiEEZZNS1_9scan_implILNS1_25lookback_scan_determinismE0ELb0ELb0ES3_N6thrust23THRUST_200600_302600_NS6detail15normal_iteratorINS9_10device_ptrIiEEEESE_iNS9_4plusIvEEiEEDaPvRmT3_T4_T5_mT6_P12ihipStream_tbENKUlT_T0_E_clISt17integral_constantIbLb1EESU_EEDaSP_SQ_EUlSP_E0_NS1_11comp_targetILNS1_3genE8ELNS1_11target_archE1030ELNS1_3gpuE2ELNS1_3repE0EEENS1_30default_config_static_selectorELNS0_4arch9wavefront6targetE0EEEvT1_.has_recursion, 0
	.set _ZN7rocprim17ROCPRIM_400000_NS6detail17trampoline_kernelINS0_14default_configENS1_20scan_config_selectorIiEEZZNS1_9scan_implILNS1_25lookback_scan_determinismE0ELb0ELb0ES3_N6thrust23THRUST_200600_302600_NS6detail15normal_iteratorINS9_10device_ptrIiEEEESE_iNS9_4plusIvEEiEEDaPvRmT3_T4_T5_mT6_P12ihipStream_tbENKUlT_T0_E_clISt17integral_constantIbLb1EESU_EEDaSP_SQ_EUlSP_E0_NS1_11comp_targetILNS1_3genE8ELNS1_11target_archE1030ELNS1_3gpuE2ELNS1_3repE0EEENS1_30default_config_static_selectorELNS0_4arch9wavefront6targetE0EEEvT1_.has_indirect_call, 0
	.section	.AMDGPU.csdata,"",@progbits
; Kernel info:
; codeLenInByte = 0
; TotalNumSgprs: 0
; NumVgprs: 0
; ScratchSize: 0
; MemoryBound: 0
; FloatMode: 240
; IeeeMode: 1
; LDSByteSize: 0 bytes/workgroup (compile time only)
; SGPRBlocks: 0
; VGPRBlocks: 0
; NumSGPRsForWavesPerEU: 1
; NumVGPRsForWavesPerEU: 1
; NamedBarCnt: 0
; Occupancy: 16
; WaveLimiterHint : 0
; COMPUTE_PGM_RSRC2:SCRATCH_EN: 0
; COMPUTE_PGM_RSRC2:USER_SGPR: 2
; COMPUTE_PGM_RSRC2:TRAP_HANDLER: 0
; COMPUTE_PGM_RSRC2:TGID_X_EN: 1
; COMPUTE_PGM_RSRC2:TGID_Y_EN: 0
; COMPUTE_PGM_RSRC2:TGID_Z_EN: 0
; COMPUTE_PGM_RSRC2:TIDIG_COMP_CNT: 0
	.section	.text._ZN7rocprim17ROCPRIM_400000_NS6detail31init_lookback_scan_state_kernelINS1_19lookback_scan_stateIiLb1ELb1EEENS1_16block_id_wrapperIjLb0EEEEEvT_jT0_jPNS7_10value_typeE,"axG",@progbits,_ZN7rocprim17ROCPRIM_400000_NS6detail31init_lookback_scan_state_kernelINS1_19lookback_scan_stateIiLb1ELb1EEENS1_16block_id_wrapperIjLb0EEEEEvT_jT0_jPNS7_10value_typeE,comdat
	.protected	_ZN7rocprim17ROCPRIM_400000_NS6detail31init_lookback_scan_state_kernelINS1_19lookback_scan_stateIiLb1ELb1EEENS1_16block_id_wrapperIjLb0EEEEEvT_jT0_jPNS7_10value_typeE ; -- Begin function _ZN7rocprim17ROCPRIM_400000_NS6detail31init_lookback_scan_state_kernelINS1_19lookback_scan_stateIiLb1ELb1EEENS1_16block_id_wrapperIjLb0EEEEEvT_jT0_jPNS7_10value_typeE
	.globl	_ZN7rocprim17ROCPRIM_400000_NS6detail31init_lookback_scan_state_kernelINS1_19lookback_scan_stateIiLb1ELb1EEENS1_16block_id_wrapperIjLb0EEEEEvT_jT0_jPNS7_10value_typeE
	.p2align	8
	.type	_ZN7rocprim17ROCPRIM_400000_NS6detail31init_lookback_scan_state_kernelINS1_19lookback_scan_stateIiLb1ELb1EEENS1_16block_id_wrapperIjLb0EEEEEvT_jT0_jPNS7_10value_typeE,@function
_ZN7rocprim17ROCPRIM_400000_NS6detail31init_lookback_scan_state_kernelINS1_19lookback_scan_stateIiLb1ELb1EEENS1_16block_id_wrapperIjLb0EEEEEvT_jT0_jPNS7_10value_typeE: ; @_ZN7rocprim17ROCPRIM_400000_NS6detail31init_lookback_scan_state_kernelINS1_19lookback_scan_stateIiLb1ELb1EEENS1_16block_id_wrapperIjLb0EEEEEvT_jT0_jPNS7_10value_typeE
; %bb.0:
	s_clause 0x2
	s_load_b32 s7, s[0:1], 0x2c
	s_load_b96 s[4:6], s[0:1], 0x0
	s_load_b64 s[2:3], s[0:1], 0x18
	s_bfe_u32 s8, ttmp6, 0x4000c
	s_and_b32 s9, ttmp6, 15
	s_add_co_i32 s8, s8, 1
	s_getreg_b32 s10, hwreg(HW_REG_IB_STS2, 6, 4)
	s_mul_i32 s8, ttmp9, s8
	s_delay_alu instid0(SALU_CYCLE_1)
	s_add_co_i32 s9, s9, s8
	s_wait_kmcnt 0x0
	s_and_b32 s7, s7, 0xffff
	s_cmp_eq_u32 s10, 0
	s_cselect_b32 s8, ttmp9, s9
	s_cmp_eq_u64 s[2:3], 0
	v_mad_u32 v4, s8, s7, v0
	s_cbranch_scc1 .LBB46_9
; %bb.1:
	s_load_b32 s0, s[0:1], 0x10
	s_mov_b32 s7, exec_lo
	s_wait_kmcnt 0x0
	s_cmp_lt_u32 s0, s6
	s_cselect_b32 s1, s0, 0
	s_delay_alu instid0(VALU_DEP_1) | instid1(SALU_CYCLE_1)
	v_cmpx_eq_u32_e64 s1, v4
	s_cbranch_execz .LBB46_8
; %bb.2:
	s_add_co_i32 s0, s0, 32
	s_delay_alu instid0(SALU_CYCLE_1)
	v_mov_b32_e32 v0, s0
	global_load_b64 v[2:3], v0, s[4:5] scale_offset scope:SCOPE_DEV
	s_wait_xcnt 0x0
	v_mov_b32_e32 v0, 0
	s_wait_loadcnt 0x0
	v_and_b32_e32 v1, 0xff, v3
	s_delay_alu instid0(VALU_DEP_1)
	v_cmp_ne_u64_e32 vcc_lo, 0, v[0:1]
	s_cbranch_vccnz .LBB46_7
; %bb.3:
	s_mov_b32 s1, 0
	s_mov_b32 s8, 1
	s_lshl_b64 s[0:1], s[0:1], 3
	s_delay_alu instid0(SALU_CYCLE_1)
	s_add_nc_u64 s[0:1], s[4:5], s[0:1]
.LBB46_4:                               ; =>This Loop Header: Depth=1
                                        ;     Child Loop BB46_5 Depth 2
	s_mov_b32 s9, s8
.LBB46_5:                               ;   Parent Loop BB46_4 Depth=1
                                        ; =>  This Inner Loop Header: Depth=2
	s_delay_alu instid0(SALU_CYCLE_1)
	s_add_co_i32 s9, s9, -1
	s_sleep 1
	s_cmp_eq_u32 s9, 0
	s_cbranch_scc0 .LBB46_5
; %bb.6:                                ;   in Loop: Header=BB46_4 Depth=1
	global_load_b64 v[2:3], v0, s[0:1] scope:SCOPE_DEV
	s_cmp_lt_u32 s8, 32
	s_cselect_b32 s9, -1, 0
	s_delay_alu instid0(SALU_CYCLE_1) | instskip(SKIP_3) | instid1(VALU_DEP_1)
	s_cmp_lg_u32 s9, 0
	s_add_co_ci_u32 s8, s8, 0
	s_wait_loadcnt 0x0
	v_and_b32_e32 v1, 0xff, v3
	v_cmp_ne_u64_e32 vcc_lo, 0, v[0:1]
	s_cbranch_vccz .LBB46_4
.LBB46_7:
	v_mov_b32_e32 v0, 0
	global_store_b32 v0, v2, s[2:3]
.LBB46_8:
	s_wait_xcnt 0x0
	s_or_b32 exec_lo, exec_lo, s7
.LBB46_9:
	s_delay_alu instid0(SALU_CYCLE_1) | instskip(NEXT) | instid1(VALU_DEP_1)
	s_mov_b32 s0, exec_lo
	v_cmpx_gt_u32_e64 s6, v4
	s_cbranch_execz .LBB46_11
; %bb.10:
	v_mov_b64_e32 v[0:1], 0
	v_add_nc_u32_e32 v2, 32, v4
	global_store_b64 v2, v[0:1], s[4:5] scale_offset
.LBB46_11:
	s_wait_xcnt 0x0
	s_or_b32 exec_lo, exec_lo, s0
	s_delay_alu instid0(SALU_CYCLE_1)
	s_mov_b32 s0, exec_lo
	v_cmpx_gt_u32_e32 32, v4
	s_cbranch_execz .LBB46_13
; %bb.12:
	v_mov_b64_e32 v[0:1], 0xff00000000
	global_store_b64 v4, v[0:1], s[4:5] scale_offset
.LBB46_13:
	s_endpgm
	.section	.rodata,"a",@progbits
	.p2align	6, 0x0
	.amdhsa_kernel _ZN7rocprim17ROCPRIM_400000_NS6detail31init_lookback_scan_state_kernelINS1_19lookback_scan_stateIiLb1ELb1EEENS1_16block_id_wrapperIjLb0EEEEEvT_jT0_jPNS7_10value_typeE
		.amdhsa_group_segment_fixed_size 0
		.amdhsa_private_segment_fixed_size 0
		.amdhsa_kernarg_size 288
		.amdhsa_user_sgpr_count 2
		.amdhsa_user_sgpr_dispatch_ptr 0
		.amdhsa_user_sgpr_queue_ptr 0
		.amdhsa_user_sgpr_kernarg_segment_ptr 1
		.amdhsa_user_sgpr_dispatch_id 0
		.amdhsa_user_sgpr_kernarg_preload_length 0
		.amdhsa_user_sgpr_kernarg_preload_offset 0
		.amdhsa_user_sgpr_private_segment_size 0
		.amdhsa_wavefront_size32 1
		.amdhsa_uses_dynamic_stack 0
		.amdhsa_enable_private_segment 0
		.amdhsa_system_sgpr_workgroup_id_x 1
		.amdhsa_system_sgpr_workgroup_id_y 0
		.amdhsa_system_sgpr_workgroup_id_z 0
		.amdhsa_system_sgpr_workgroup_info 0
		.amdhsa_system_vgpr_workitem_id 0
		.amdhsa_next_free_vgpr 5
		.amdhsa_next_free_sgpr 11
		.amdhsa_named_barrier_count 0
		.amdhsa_reserve_vcc 1
		.amdhsa_float_round_mode_32 0
		.amdhsa_float_round_mode_16_64 0
		.amdhsa_float_denorm_mode_32 3
		.amdhsa_float_denorm_mode_16_64 3
		.amdhsa_fp16_overflow 0
		.amdhsa_memory_ordered 1
		.amdhsa_forward_progress 1
		.amdhsa_inst_pref_size 4
		.amdhsa_round_robin_scheduling 0
		.amdhsa_exception_fp_ieee_invalid_op 0
		.amdhsa_exception_fp_denorm_src 0
		.amdhsa_exception_fp_ieee_div_zero 0
		.amdhsa_exception_fp_ieee_overflow 0
		.amdhsa_exception_fp_ieee_underflow 0
		.amdhsa_exception_fp_ieee_inexact 0
		.amdhsa_exception_int_div_zero 0
	.end_amdhsa_kernel
	.section	.text._ZN7rocprim17ROCPRIM_400000_NS6detail31init_lookback_scan_state_kernelINS1_19lookback_scan_stateIiLb1ELb1EEENS1_16block_id_wrapperIjLb0EEEEEvT_jT0_jPNS7_10value_typeE,"axG",@progbits,_ZN7rocprim17ROCPRIM_400000_NS6detail31init_lookback_scan_state_kernelINS1_19lookback_scan_stateIiLb1ELb1EEENS1_16block_id_wrapperIjLb0EEEEEvT_jT0_jPNS7_10value_typeE,comdat
.Lfunc_end46:
	.size	_ZN7rocprim17ROCPRIM_400000_NS6detail31init_lookback_scan_state_kernelINS1_19lookback_scan_stateIiLb1ELb1EEENS1_16block_id_wrapperIjLb0EEEEEvT_jT0_jPNS7_10value_typeE, .Lfunc_end46-_ZN7rocprim17ROCPRIM_400000_NS6detail31init_lookback_scan_state_kernelINS1_19lookback_scan_stateIiLb1ELb1EEENS1_16block_id_wrapperIjLb0EEEEEvT_jT0_jPNS7_10value_typeE
                                        ; -- End function
	.set _ZN7rocprim17ROCPRIM_400000_NS6detail31init_lookback_scan_state_kernelINS1_19lookback_scan_stateIiLb1ELb1EEENS1_16block_id_wrapperIjLb0EEEEEvT_jT0_jPNS7_10value_typeE.num_vgpr, 5
	.set _ZN7rocprim17ROCPRIM_400000_NS6detail31init_lookback_scan_state_kernelINS1_19lookback_scan_stateIiLb1ELb1EEENS1_16block_id_wrapperIjLb0EEEEEvT_jT0_jPNS7_10value_typeE.num_agpr, 0
	.set _ZN7rocprim17ROCPRIM_400000_NS6detail31init_lookback_scan_state_kernelINS1_19lookback_scan_stateIiLb1ELb1EEENS1_16block_id_wrapperIjLb0EEEEEvT_jT0_jPNS7_10value_typeE.numbered_sgpr, 11
	.set _ZN7rocprim17ROCPRIM_400000_NS6detail31init_lookback_scan_state_kernelINS1_19lookback_scan_stateIiLb1ELb1EEENS1_16block_id_wrapperIjLb0EEEEEvT_jT0_jPNS7_10value_typeE.num_named_barrier, 0
	.set _ZN7rocprim17ROCPRIM_400000_NS6detail31init_lookback_scan_state_kernelINS1_19lookback_scan_stateIiLb1ELb1EEENS1_16block_id_wrapperIjLb0EEEEEvT_jT0_jPNS7_10value_typeE.private_seg_size, 0
	.set _ZN7rocprim17ROCPRIM_400000_NS6detail31init_lookback_scan_state_kernelINS1_19lookback_scan_stateIiLb1ELb1EEENS1_16block_id_wrapperIjLb0EEEEEvT_jT0_jPNS7_10value_typeE.uses_vcc, 1
	.set _ZN7rocprim17ROCPRIM_400000_NS6detail31init_lookback_scan_state_kernelINS1_19lookback_scan_stateIiLb1ELb1EEENS1_16block_id_wrapperIjLb0EEEEEvT_jT0_jPNS7_10value_typeE.uses_flat_scratch, 0
	.set _ZN7rocprim17ROCPRIM_400000_NS6detail31init_lookback_scan_state_kernelINS1_19lookback_scan_stateIiLb1ELb1EEENS1_16block_id_wrapperIjLb0EEEEEvT_jT0_jPNS7_10value_typeE.has_dyn_sized_stack, 0
	.set _ZN7rocprim17ROCPRIM_400000_NS6detail31init_lookback_scan_state_kernelINS1_19lookback_scan_stateIiLb1ELb1EEENS1_16block_id_wrapperIjLb0EEEEEvT_jT0_jPNS7_10value_typeE.has_recursion, 0
	.set _ZN7rocprim17ROCPRIM_400000_NS6detail31init_lookback_scan_state_kernelINS1_19lookback_scan_stateIiLb1ELb1EEENS1_16block_id_wrapperIjLb0EEEEEvT_jT0_jPNS7_10value_typeE.has_indirect_call, 0
	.section	.AMDGPU.csdata,"",@progbits
; Kernel info:
; codeLenInByte = 404
; TotalNumSgprs: 13
; NumVgprs: 5
; ScratchSize: 0
; MemoryBound: 0
; FloatMode: 240
; IeeeMode: 1
; LDSByteSize: 0 bytes/workgroup (compile time only)
; SGPRBlocks: 0
; VGPRBlocks: 0
; NumSGPRsForWavesPerEU: 13
; NumVGPRsForWavesPerEU: 5
; NamedBarCnt: 0
; Occupancy: 16
; WaveLimiterHint : 0
; COMPUTE_PGM_RSRC2:SCRATCH_EN: 0
; COMPUTE_PGM_RSRC2:USER_SGPR: 2
; COMPUTE_PGM_RSRC2:TRAP_HANDLER: 0
; COMPUTE_PGM_RSRC2:TGID_X_EN: 1
; COMPUTE_PGM_RSRC2:TGID_Y_EN: 0
; COMPUTE_PGM_RSRC2:TGID_Z_EN: 0
; COMPUTE_PGM_RSRC2:TIDIG_COMP_CNT: 0
	.section	.text._ZN7rocprim17ROCPRIM_400000_NS6detail17trampoline_kernelINS0_14default_configENS1_20scan_config_selectorIiEEZZNS1_9scan_implILNS1_25lookback_scan_determinismE0ELb0ELb0ES3_N6thrust23THRUST_200600_302600_NS6detail15normal_iteratorINS9_10device_ptrIiEEEESE_iNS9_4plusIvEEiEEDaPvRmT3_T4_T5_mT6_P12ihipStream_tbENKUlT_T0_E_clISt17integral_constantIbLb1EEST_IbLb0EEEEDaSP_SQ_EUlSP_E_NS1_11comp_targetILNS1_3genE0ELNS1_11target_archE4294967295ELNS1_3gpuE0ELNS1_3repE0EEENS1_30default_config_static_selectorELNS0_4arch9wavefront6targetE0EEEvT1_,"axG",@progbits,_ZN7rocprim17ROCPRIM_400000_NS6detail17trampoline_kernelINS0_14default_configENS1_20scan_config_selectorIiEEZZNS1_9scan_implILNS1_25lookback_scan_determinismE0ELb0ELb0ES3_N6thrust23THRUST_200600_302600_NS6detail15normal_iteratorINS9_10device_ptrIiEEEESE_iNS9_4plusIvEEiEEDaPvRmT3_T4_T5_mT6_P12ihipStream_tbENKUlT_T0_E_clISt17integral_constantIbLb1EEST_IbLb0EEEEDaSP_SQ_EUlSP_E_NS1_11comp_targetILNS1_3genE0ELNS1_11target_archE4294967295ELNS1_3gpuE0ELNS1_3repE0EEENS1_30default_config_static_selectorELNS0_4arch9wavefront6targetE0EEEvT1_,comdat
	.protected	_ZN7rocprim17ROCPRIM_400000_NS6detail17trampoline_kernelINS0_14default_configENS1_20scan_config_selectorIiEEZZNS1_9scan_implILNS1_25lookback_scan_determinismE0ELb0ELb0ES3_N6thrust23THRUST_200600_302600_NS6detail15normal_iteratorINS9_10device_ptrIiEEEESE_iNS9_4plusIvEEiEEDaPvRmT3_T4_T5_mT6_P12ihipStream_tbENKUlT_T0_E_clISt17integral_constantIbLb1EEST_IbLb0EEEEDaSP_SQ_EUlSP_E_NS1_11comp_targetILNS1_3genE0ELNS1_11target_archE4294967295ELNS1_3gpuE0ELNS1_3repE0EEENS1_30default_config_static_selectorELNS0_4arch9wavefront6targetE0EEEvT1_ ; -- Begin function _ZN7rocprim17ROCPRIM_400000_NS6detail17trampoline_kernelINS0_14default_configENS1_20scan_config_selectorIiEEZZNS1_9scan_implILNS1_25lookback_scan_determinismE0ELb0ELb0ES3_N6thrust23THRUST_200600_302600_NS6detail15normal_iteratorINS9_10device_ptrIiEEEESE_iNS9_4plusIvEEiEEDaPvRmT3_T4_T5_mT6_P12ihipStream_tbENKUlT_T0_E_clISt17integral_constantIbLb1EEST_IbLb0EEEEDaSP_SQ_EUlSP_E_NS1_11comp_targetILNS1_3genE0ELNS1_11target_archE4294967295ELNS1_3gpuE0ELNS1_3repE0EEENS1_30default_config_static_selectorELNS0_4arch9wavefront6targetE0EEEvT1_
	.globl	_ZN7rocprim17ROCPRIM_400000_NS6detail17trampoline_kernelINS0_14default_configENS1_20scan_config_selectorIiEEZZNS1_9scan_implILNS1_25lookback_scan_determinismE0ELb0ELb0ES3_N6thrust23THRUST_200600_302600_NS6detail15normal_iteratorINS9_10device_ptrIiEEEESE_iNS9_4plusIvEEiEEDaPvRmT3_T4_T5_mT6_P12ihipStream_tbENKUlT_T0_E_clISt17integral_constantIbLb1EEST_IbLb0EEEEDaSP_SQ_EUlSP_E_NS1_11comp_targetILNS1_3genE0ELNS1_11target_archE4294967295ELNS1_3gpuE0ELNS1_3repE0EEENS1_30default_config_static_selectorELNS0_4arch9wavefront6targetE0EEEvT1_
	.p2align	8
	.type	_ZN7rocprim17ROCPRIM_400000_NS6detail17trampoline_kernelINS0_14default_configENS1_20scan_config_selectorIiEEZZNS1_9scan_implILNS1_25lookback_scan_determinismE0ELb0ELb0ES3_N6thrust23THRUST_200600_302600_NS6detail15normal_iteratorINS9_10device_ptrIiEEEESE_iNS9_4plusIvEEiEEDaPvRmT3_T4_T5_mT6_P12ihipStream_tbENKUlT_T0_E_clISt17integral_constantIbLb1EEST_IbLb0EEEEDaSP_SQ_EUlSP_E_NS1_11comp_targetILNS1_3genE0ELNS1_11target_archE4294967295ELNS1_3gpuE0ELNS1_3repE0EEENS1_30default_config_static_selectorELNS0_4arch9wavefront6targetE0EEEvT1_,@function
_ZN7rocprim17ROCPRIM_400000_NS6detail17trampoline_kernelINS0_14default_configENS1_20scan_config_selectorIiEEZZNS1_9scan_implILNS1_25lookback_scan_determinismE0ELb0ELb0ES3_N6thrust23THRUST_200600_302600_NS6detail15normal_iteratorINS9_10device_ptrIiEEEESE_iNS9_4plusIvEEiEEDaPvRmT3_T4_T5_mT6_P12ihipStream_tbENKUlT_T0_E_clISt17integral_constantIbLb1EEST_IbLb0EEEEDaSP_SQ_EUlSP_E_NS1_11comp_targetILNS1_3genE0ELNS1_11target_archE4294967295ELNS1_3gpuE0ELNS1_3repE0EEENS1_30default_config_static_selectorELNS0_4arch9wavefront6targetE0EEEvT1_: ; @_ZN7rocprim17ROCPRIM_400000_NS6detail17trampoline_kernelINS0_14default_configENS1_20scan_config_selectorIiEEZZNS1_9scan_implILNS1_25lookback_scan_determinismE0ELb0ELb0ES3_N6thrust23THRUST_200600_302600_NS6detail15normal_iteratorINS9_10device_ptrIiEEEESE_iNS9_4plusIvEEiEEDaPvRmT3_T4_T5_mT6_P12ihipStream_tbENKUlT_T0_E_clISt17integral_constantIbLb1EEST_IbLb0EEEEDaSP_SQ_EUlSP_E_NS1_11comp_targetILNS1_3genE0ELNS1_11target_archE4294967295ELNS1_3gpuE0ELNS1_3repE0EEENS1_30default_config_static_selectorELNS0_4arch9wavefront6targetE0EEEvT1_
; %bb.0:
	s_endpgm
	.section	.rodata,"a",@progbits
	.p2align	6, 0x0
	.amdhsa_kernel _ZN7rocprim17ROCPRIM_400000_NS6detail17trampoline_kernelINS0_14default_configENS1_20scan_config_selectorIiEEZZNS1_9scan_implILNS1_25lookback_scan_determinismE0ELb0ELb0ES3_N6thrust23THRUST_200600_302600_NS6detail15normal_iteratorINS9_10device_ptrIiEEEESE_iNS9_4plusIvEEiEEDaPvRmT3_T4_T5_mT6_P12ihipStream_tbENKUlT_T0_E_clISt17integral_constantIbLb1EEST_IbLb0EEEEDaSP_SQ_EUlSP_E_NS1_11comp_targetILNS1_3genE0ELNS1_11target_archE4294967295ELNS1_3gpuE0ELNS1_3repE0EEENS1_30default_config_static_selectorELNS0_4arch9wavefront6targetE0EEEvT1_
		.amdhsa_group_segment_fixed_size 0
		.amdhsa_private_segment_fixed_size 0
		.amdhsa_kernarg_size 96
		.amdhsa_user_sgpr_count 2
		.amdhsa_user_sgpr_dispatch_ptr 0
		.amdhsa_user_sgpr_queue_ptr 0
		.amdhsa_user_sgpr_kernarg_segment_ptr 1
		.amdhsa_user_sgpr_dispatch_id 0
		.amdhsa_user_sgpr_kernarg_preload_length 0
		.amdhsa_user_sgpr_kernarg_preload_offset 0
		.amdhsa_user_sgpr_private_segment_size 0
		.amdhsa_wavefront_size32 1
		.amdhsa_uses_dynamic_stack 0
		.amdhsa_enable_private_segment 0
		.amdhsa_system_sgpr_workgroup_id_x 1
		.amdhsa_system_sgpr_workgroup_id_y 0
		.amdhsa_system_sgpr_workgroup_id_z 0
		.amdhsa_system_sgpr_workgroup_info 0
		.amdhsa_system_vgpr_workitem_id 0
		.amdhsa_next_free_vgpr 1
		.amdhsa_next_free_sgpr 1
		.amdhsa_named_barrier_count 0
		.amdhsa_reserve_vcc 0
		.amdhsa_float_round_mode_32 0
		.amdhsa_float_round_mode_16_64 0
		.amdhsa_float_denorm_mode_32 3
		.amdhsa_float_denorm_mode_16_64 3
		.amdhsa_fp16_overflow 0
		.amdhsa_memory_ordered 1
		.amdhsa_forward_progress 1
		.amdhsa_inst_pref_size 1
		.amdhsa_round_robin_scheduling 0
		.amdhsa_exception_fp_ieee_invalid_op 0
		.amdhsa_exception_fp_denorm_src 0
		.amdhsa_exception_fp_ieee_div_zero 0
		.amdhsa_exception_fp_ieee_overflow 0
		.amdhsa_exception_fp_ieee_underflow 0
		.amdhsa_exception_fp_ieee_inexact 0
		.amdhsa_exception_int_div_zero 0
	.end_amdhsa_kernel
	.section	.text._ZN7rocprim17ROCPRIM_400000_NS6detail17trampoline_kernelINS0_14default_configENS1_20scan_config_selectorIiEEZZNS1_9scan_implILNS1_25lookback_scan_determinismE0ELb0ELb0ES3_N6thrust23THRUST_200600_302600_NS6detail15normal_iteratorINS9_10device_ptrIiEEEESE_iNS9_4plusIvEEiEEDaPvRmT3_T4_T5_mT6_P12ihipStream_tbENKUlT_T0_E_clISt17integral_constantIbLb1EEST_IbLb0EEEEDaSP_SQ_EUlSP_E_NS1_11comp_targetILNS1_3genE0ELNS1_11target_archE4294967295ELNS1_3gpuE0ELNS1_3repE0EEENS1_30default_config_static_selectorELNS0_4arch9wavefront6targetE0EEEvT1_,"axG",@progbits,_ZN7rocprim17ROCPRIM_400000_NS6detail17trampoline_kernelINS0_14default_configENS1_20scan_config_selectorIiEEZZNS1_9scan_implILNS1_25lookback_scan_determinismE0ELb0ELb0ES3_N6thrust23THRUST_200600_302600_NS6detail15normal_iteratorINS9_10device_ptrIiEEEESE_iNS9_4plusIvEEiEEDaPvRmT3_T4_T5_mT6_P12ihipStream_tbENKUlT_T0_E_clISt17integral_constantIbLb1EEST_IbLb0EEEEDaSP_SQ_EUlSP_E_NS1_11comp_targetILNS1_3genE0ELNS1_11target_archE4294967295ELNS1_3gpuE0ELNS1_3repE0EEENS1_30default_config_static_selectorELNS0_4arch9wavefront6targetE0EEEvT1_,comdat
.Lfunc_end47:
	.size	_ZN7rocprim17ROCPRIM_400000_NS6detail17trampoline_kernelINS0_14default_configENS1_20scan_config_selectorIiEEZZNS1_9scan_implILNS1_25lookback_scan_determinismE0ELb0ELb0ES3_N6thrust23THRUST_200600_302600_NS6detail15normal_iteratorINS9_10device_ptrIiEEEESE_iNS9_4plusIvEEiEEDaPvRmT3_T4_T5_mT6_P12ihipStream_tbENKUlT_T0_E_clISt17integral_constantIbLb1EEST_IbLb0EEEEDaSP_SQ_EUlSP_E_NS1_11comp_targetILNS1_3genE0ELNS1_11target_archE4294967295ELNS1_3gpuE0ELNS1_3repE0EEENS1_30default_config_static_selectorELNS0_4arch9wavefront6targetE0EEEvT1_, .Lfunc_end47-_ZN7rocprim17ROCPRIM_400000_NS6detail17trampoline_kernelINS0_14default_configENS1_20scan_config_selectorIiEEZZNS1_9scan_implILNS1_25lookback_scan_determinismE0ELb0ELb0ES3_N6thrust23THRUST_200600_302600_NS6detail15normal_iteratorINS9_10device_ptrIiEEEESE_iNS9_4plusIvEEiEEDaPvRmT3_T4_T5_mT6_P12ihipStream_tbENKUlT_T0_E_clISt17integral_constantIbLb1EEST_IbLb0EEEEDaSP_SQ_EUlSP_E_NS1_11comp_targetILNS1_3genE0ELNS1_11target_archE4294967295ELNS1_3gpuE0ELNS1_3repE0EEENS1_30default_config_static_selectorELNS0_4arch9wavefront6targetE0EEEvT1_
                                        ; -- End function
	.set _ZN7rocprim17ROCPRIM_400000_NS6detail17trampoline_kernelINS0_14default_configENS1_20scan_config_selectorIiEEZZNS1_9scan_implILNS1_25lookback_scan_determinismE0ELb0ELb0ES3_N6thrust23THRUST_200600_302600_NS6detail15normal_iteratorINS9_10device_ptrIiEEEESE_iNS9_4plusIvEEiEEDaPvRmT3_T4_T5_mT6_P12ihipStream_tbENKUlT_T0_E_clISt17integral_constantIbLb1EEST_IbLb0EEEEDaSP_SQ_EUlSP_E_NS1_11comp_targetILNS1_3genE0ELNS1_11target_archE4294967295ELNS1_3gpuE0ELNS1_3repE0EEENS1_30default_config_static_selectorELNS0_4arch9wavefront6targetE0EEEvT1_.num_vgpr, 0
	.set _ZN7rocprim17ROCPRIM_400000_NS6detail17trampoline_kernelINS0_14default_configENS1_20scan_config_selectorIiEEZZNS1_9scan_implILNS1_25lookback_scan_determinismE0ELb0ELb0ES3_N6thrust23THRUST_200600_302600_NS6detail15normal_iteratorINS9_10device_ptrIiEEEESE_iNS9_4plusIvEEiEEDaPvRmT3_T4_T5_mT6_P12ihipStream_tbENKUlT_T0_E_clISt17integral_constantIbLb1EEST_IbLb0EEEEDaSP_SQ_EUlSP_E_NS1_11comp_targetILNS1_3genE0ELNS1_11target_archE4294967295ELNS1_3gpuE0ELNS1_3repE0EEENS1_30default_config_static_selectorELNS0_4arch9wavefront6targetE0EEEvT1_.num_agpr, 0
	.set _ZN7rocprim17ROCPRIM_400000_NS6detail17trampoline_kernelINS0_14default_configENS1_20scan_config_selectorIiEEZZNS1_9scan_implILNS1_25lookback_scan_determinismE0ELb0ELb0ES3_N6thrust23THRUST_200600_302600_NS6detail15normal_iteratorINS9_10device_ptrIiEEEESE_iNS9_4plusIvEEiEEDaPvRmT3_T4_T5_mT6_P12ihipStream_tbENKUlT_T0_E_clISt17integral_constantIbLb1EEST_IbLb0EEEEDaSP_SQ_EUlSP_E_NS1_11comp_targetILNS1_3genE0ELNS1_11target_archE4294967295ELNS1_3gpuE0ELNS1_3repE0EEENS1_30default_config_static_selectorELNS0_4arch9wavefront6targetE0EEEvT1_.numbered_sgpr, 0
	.set _ZN7rocprim17ROCPRIM_400000_NS6detail17trampoline_kernelINS0_14default_configENS1_20scan_config_selectorIiEEZZNS1_9scan_implILNS1_25lookback_scan_determinismE0ELb0ELb0ES3_N6thrust23THRUST_200600_302600_NS6detail15normal_iteratorINS9_10device_ptrIiEEEESE_iNS9_4plusIvEEiEEDaPvRmT3_T4_T5_mT6_P12ihipStream_tbENKUlT_T0_E_clISt17integral_constantIbLb1EEST_IbLb0EEEEDaSP_SQ_EUlSP_E_NS1_11comp_targetILNS1_3genE0ELNS1_11target_archE4294967295ELNS1_3gpuE0ELNS1_3repE0EEENS1_30default_config_static_selectorELNS0_4arch9wavefront6targetE0EEEvT1_.num_named_barrier, 0
	.set _ZN7rocprim17ROCPRIM_400000_NS6detail17trampoline_kernelINS0_14default_configENS1_20scan_config_selectorIiEEZZNS1_9scan_implILNS1_25lookback_scan_determinismE0ELb0ELb0ES3_N6thrust23THRUST_200600_302600_NS6detail15normal_iteratorINS9_10device_ptrIiEEEESE_iNS9_4plusIvEEiEEDaPvRmT3_T4_T5_mT6_P12ihipStream_tbENKUlT_T0_E_clISt17integral_constantIbLb1EEST_IbLb0EEEEDaSP_SQ_EUlSP_E_NS1_11comp_targetILNS1_3genE0ELNS1_11target_archE4294967295ELNS1_3gpuE0ELNS1_3repE0EEENS1_30default_config_static_selectorELNS0_4arch9wavefront6targetE0EEEvT1_.private_seg_size, 0
	.set _ZN7rocprim17ROCPRIM_400000_NS6detail17trampoline_kernelINS0_14default_configENS1_20scan_config_selectorIiEEZZNS1_9scan_implILNS1_25lookback_scan_determinismE0ELb0ELb0ES3_N6thrust23THRUST_200600_302600_NS6detail15normal_iteratorINS9_10device_ptrIiEEEESE_iNS9_4plusIvEEiEEDaPvRmT3_T4_T5_mT6_P12ihipStream_tbENKUlT_T0_E_clISt17integral_constantIbLb1EEST_IbLb0EEEEDaSP_SQ_EUlSP_E_NS1_11comp_targetILNS1_3genE0ELNS1_11target_archE4294967295ELNS1_3gpuE0ELNS1_3repE0EEENS1_30default_config_static_selectorELNS0_4arch9wavefront6targetE0EEEvT1_.uses_vcc, 0
	.set _ZN7rocprim17ROCPRIM_400000_NS6detail17trampoline_kernelINS0_14default_configENS1_20scan_config_selectorIiEEZZNS1_9scan_implILNS1_25lookback_scan_determinismE0ELb0ELb0ES3_N6thrust23THRUST_200600_302600_NS6detail15normal_iteratorINS9_10device_ptrIiEEEESE_iNS9_4plusIvEEiEEDaPvRmT3_T4_T5_mT6_P12ihipStream_tbENKUlT_T0_E_clISt17integral_constantIbLb1EEST_IbLb0EEEEDaSP_SQ_EUlSP_E_NS1_11comp_targetILNS1_3genE0ELNS1_11target_archE4294967295ELNS1_3gpuE0ELNS1_3repE0EEENS1_30default_config_static_selectorELNS0_4arch9wavefront6targetE0EEEvT1_.uses_flat_scratch, 0
	.set _ZN7rocprim17ROCPRIM_400000_NS6detail17trampoline_kernelINS0_14default_configENS1_20scan_config_selectorIiEEZZNS1_9scan_implILNS1_25lookback_scan_determinismE0ELb0ELb0ES3_N6thrust23THRUST_200600_302600_NS6detail15normal_iteratorINS9_10device_ptrIiEEEESE_iNS9_4plusIvEEiEEDaPvRmT3_T4_T5_mT6_P12ihipStream_tbENKUlT_T0_E_clISt17integral_constantIbLb1EEST_IbLb0EEEEDaSP_SQ_EUlSP_E_NS1_11comp_targetILNS1_3genE0ELNS1_11target_archE4294967295ELNS1_3gpuE0ELNS1_3repE0EEENS1_30default_config_static_selectorELNS0_4arch9wavefront6targetE0EEEvT1_.has_dyn_sized_stack, 0
	.set _ZN7rocprim17ROCPRIM_400000_NS6detail17trampoline_kernelINS0_14default_configENS1_20scan_config_selectorIiEEZZNS1_9scan_implILNS1_25lookback_scan_determinismE0ELb0ELb0ES3_N6thrust23THRUST_200600_302600_NS6detail15normal_iteratorINS9_10device_ptrIiEEEESE_iNS9_4plusIvEEiEEDaPvRmT3_T4_T5_mT6_P12ihipStream_tbENKUlT_T0_E_clISt17integral_constantIbLb1EEST_IbLb0EEEEDaSP_SQ_EUlSP_E_NS1_11comp_targetILNS1_3genE0ELNS1_11target_archE4294967295ELNS1_3gpuE0ELNS1_3repE0EEENS1_30default_config_static_selectorELNS0_4arch9wavefront6targetE0EEEvT1_.has_recursion, 0
	.set _ZN7rocprim17ROCPRIM_400000_NS6detail17trampoline_kernelINS0_14default_configENS1_20scan_config_selectorIiEEZZNS1_9scan_implILNS1_25lookback_scan_determinismE0ELb0ELb0ES3_N6thrust23THRUST_200600_302600_NS6detail15normal_iteratorINS9_10device_ptrIiEEEESE_iNS9_4plusIvEEiEEDaPvRmT3_T4_T5_mT6_P12ihipStream_tbENKUlT_T0_E_clISt17integral_constantIbLb1EEST_IbLb0EEEEDaSP_SQ_EUlSP_E_NS1_11comp_targetILNS1_3genE0ELNS1_11target_archE4294967295ELNS1_3gpuE0ELNS1_3repE0EEENS1_30default_config_static_selectorELNS0_4arch9wavefront6targetE0EEEvT1_.has_indirect_call, 0
	.section	.AMDGPU.csdata,"",@progbits
; Kernel info:
; codeLenInByte = 4
; TotalNumSgprs: 0
; NumVgprs: 0
; ScratchSize: 0
; MemoryBound: 0
; FloatMode: 240
; IeeeMode: 1
; LDSByteSize: 0 bytes/workgroup (compile time only)
; SGPRBlocks: 0
; VGPRBlocks: 0
; NumSGPRsForWavesPerEU: 1
; NumVGPRsForWavesPerEU: 1
; NamedBarCnt: 0
; Occupancy: 16
; WaveLimiterHint : 0
; COMPUTE_PGM_RSRC2:SCRATCH_EN: 0
; COMPUTE_PGM_RSRC2:USER_SGPR: 2
; COMPUTE_PGM_RSRC2:TRAP_HANDLER: 0
; COMPUTE_PGM_RSRC2:TGID_X_EN: 1
; COMPUTE_PGM_RSRC2:TGID_Y_EN: 0
; COMPUTE_PGM_RSRC2:TGID_Z_EN: 0
; COMPUTE_PGM_RSRC2:TIDIG_COMP_CNT: 0
	.section	.text._ZN7rocprim17ROCPRIM_400000_NS6detail17trampoline_kernelINS0_14default_configENS1_20scan_config_selectorIiEEZZNS1_9scan_implILNS1_25lookback_scan_determinismE0ELb0ELb0ES3_N6thrust23THRUST_200600_302600_NS6detail15normal_iteratorINS9_10device_ptrIiEEEESE_iNS9_4plusIvEEiEEDaPvRmT3_T4_T5_mT6_P12ihipStream_tbENKUlT_T0_E_clISt17integral_constantIbLb1EEST_IbLb0EEEEDaSP_SQ_EUlSP_E_NS1_11comp_targetILNS1_3genE5ELNS1_11target_archE942ELNS1_3gpuE9ELNS1_3repE0EEENS1_30default_config_static_selectorELNS0_4arch9wavefront6targetE0EEEvT1_,"axG",@progbits,_ZN7rocprim17ROCPRIM_400000_NS6detail17trampoline_kernelINS0_14default_configENS1_20scan_config_selectorIiEEZZNS1_9scan_implILNS1_25lookback_scan_determinismE0ELb0ELb0ES3_N6thrust23THRUST_200600_302600_NS6detail15normal_iteratorINS9_10device_ptrIiEEEESE_iNS9_4plusIvEEiEEDaPvRmT3_T4_T5_mT6_P12ihipStream_tbENKUlT_T0_E_clISt17integral_constantIbLb1EEST_IbLb0EEEEDaSP_SQ_EUlSP_E_NS1_11comp_targetILNS1_3genE5ELNS1_11target_archE942ELNS1_3gpuE9ELNS1_3repE0EEENS1_30default_config_static_selectorELNS0_4arch9wavefront6targetE0EEEvT1_,comdat
	.protected	_ZN7rocprim17ROCPRIM_400000_NS6detail17trampoline_kernelINS0_14default_configENS1_20scan_config_selectorIiEEZZNS1_9scan_implILNS1_25lookback_scan_determinismE0ELb0ELb0ES3_N6thrust23THRUST_200600_302600_NS6detail15normal_iteratorINS9_10device_ptrIiEEEESE_iNS9_4plusIvEEiEEDaPvRmT3_T4_T5_mT6_P12ihipStream_tbENKUlT_T0_E_clISt17integral_constantIbLb1EEST_IbLb0EEEEDaSP_SQ_EUlSP_E_NS1_11comp_targetILNS1_3genE5ELNS1_11target_archE942ELNS1_3gpuE9ELNS1_3repE0EEENS1_30default_config_static_selectorELNS0_4arch9wavefront6targetE0EEEvT1_ ; -- Begin function _ZN7rocprim17ROCPRIM_400000_NS6detail17trampoline_kernelINS0_14default_configENS1_20scan_config_selectorIiEEZZNS1_9scan_implILNS1_25lookback_scan_determinismE0ELb0ELb0ES3_N6thrust23THRUST_200600_302600_NS6detail15normal_iteratorINS9_10device_ptrIiEEEESE_iNS9_4plusIvEEiEEDaPvRmT3_T4_T5_mT6_P12ihipStream_tbENKUlT_T0_E_clISt17integral_constantIbLb1EEST_IbLb0EEEEDaSP_SQ_EUlSP_E_NS1_11comp_targetILNS1_3genE5ELNS1_11target_archE942ELNS1_3gpuE9ELNS1_3repE0EEENS1_30default_config_static_selectorELNS0_4arch9wavefront6targetE0EEEvT1_
	.globl	_ZN7rocprim17ROCPRIM_400000_NS6detail17trampoline_kernelINS0_14default_configENS1_20scan_config_selectorIiEEZZNS1_9scan_implILNS1_25lookback_scan_determinismE0ELb0ELb0ES3_N6thrust23THRUST_200600_302600_NS6detail15normal_iteratorINS9_10device_ptrIiEEEESE_iNS9_4plusIvEEiEEDaPvRmT3_T4_T5_mT6_P12ihipStream_tbENKUlT_T0_E_clISt17integral_constantIbLb1EEST_IbLb0EEEEDaSP_SQ_EUlSP_E_NS1_11comp_targetILNS1_3genE5ELNS1_11target_archE942ELNS1_3gpuE9ELNS1_3repE0EEENS1_30default_config_static_selectorELNS0_4arch9wavefront6targetE0EEEvT1_
	.p2align	8
	.type	_ZN7rocprim17ROCPRIM_400000_NS6detail17trampoline_kernelINS0_14default_configENS1_20scan_config_selectorIiEEZZNS1_9scan_implILNS1_25lookback_scan_determinismE0ELb0ELb0ES3_N6thrust23THRUST_200600_302600_NS6detail15normal_iteratorINS9_10device_ptrIiEEEESE_iNS9_4plusIvEEiEEDaPvRmT3_T4_T5_mT6_P12ihipStream_tbENKUlT_T0_E_clISt17integral_constantIbLb1EEST_IbLb0EEEEDaSP_SQ_EUlSP_E_NS1_11comp_targetILNS1_3genE5ELNS1_11target_archE942ELNS1_3gpuE9ELNS1_3repE0EEENS1_30default_config_static_selectorELNS0_4arch9wavefront6targetE0EEEvT1_,@function
_ZN7rocprim17ROCPRIM_400000_NS6detail17trampoline_kernelINS0_14default_configENS1_20scan_config_selectorIiEEZZNS1_9scan_implILNS1_25lookback_scan_determinismE0ELb0ELb0ES3_N6thrust23THRUST_200600_302600_NS6detail15normal_iteratorINS9_10device_ptrIiEEEESE_iNS9_4plusIvEEiEEDaPvRmT3_T4_T5_mT6_P12ihipStream_tbENKUlT_T0_E_clISt17integral_constantIbLb1EEST_IbLb0EEEEDaSP_SQ_EUlSP_E_NS1_11comp_targetILNS1_3genE5ELNS1_11target_archE942ELNS1_3gpuE9ELNS1_3repE0EEENS1_30default_config_static_selectorELNS0_4arch9wavefront6targetE0EEEvT1_: ; @_ZN7rocprim17ROCPRIM_400000_NS6detail17trampoline_kernelINS0_14default_configENS1_20scan_config_selectorIiEEZZNS1_9scan_implILNS1_25lookback_scan_determinismE0ELb0ELb0ES3_N6thrust23THRUST_200600_302600_NS6detail15normal_iteratorINS9_10device_ptrIiEEEESE_iNS9_4plusIvEEiEEDaPvRmT3_T4_T5_mT6_P12ihipStream_tbENKUlT_T0_E_clISt17integral_constantIbLb1EEST_IbLb0EEEEDaSP_SQ_EUlSP_E_NS1_11comp_targetILNS1_3genE5ELNS1_11target_archE942ELNS1_3gpuE9ELNS1_3repE0EEENS1_30default_config_static_selectorELNS0_4arch9wavefront6targetE0EEEvT1_
; %bb.0:
	.section	.rodata,"a",@progbits
	.p2align	6, 0x0
	.amdhsa_kernel _ZN7rocprim17ROCPRIM_400000_NS6detail17trampoline_kernelINS0_14default_configENS1_20scan_config_selectorIiEEZZNS1_9scan_implILNS1_25lookback_scan_determinismE0ELb0ELb0ES3_N6thrust23THRUST_200600_302600_NS6detail15normal_iteratorINS9_10device_ptrIiEEEESE_iNS9_4plusIvEEiEEDaPvRmT3_T4_T5_mT6_P12ihipStream_tbENKUlT_T0_E_clISt17integral_constantIbLb1EEST_IbLb0EEEEDaSP_SQ_EUlSP_E_NS1_11comp_targetILNS1_3genE5ELNS1_11target_archE942ELNS1_3gpuE9ELNS1_3repE0EEENS1_30default_config_static_selectorELNS0_4arch9wavefront6targetE0EEEvT1_
		.amdhsa_group_segment_fixed_size 0
		.amdhsa_private_segment_fixed_size 0
		.amdhsa_kernarg_size 96
		.amdhsa_user_sgpr_count 2
		.amdhsa_user_sgpr_dispatch_ptr 0
		.amdhsa_user_sgpr_queue_ptr 0
		.amdhsa_user_sgpr_kernarg_segment_ptr 1
		.amdhsa_user_sgpr_dispatch_id 0
		.amdhsa_user_sgpr_kernarg_preload_length 0
		.amdhsa_user_sgpr_kernarg_preload_offset 0
		.amdhsa_user_sgpr_private_segment_size 0
		.amdhsa_wavefront_size32 1
		.amdhsa_uses_dynamic_stack 0
		.amdhsa_enable_private_segment 0
		.amdhsa_system_sgpr_workgroup_id_x 1
		.amdhsa_system_sgpr_workgroup_id_y 0
		.amdhsa_system_sgpr_workgroup_id_z 0
		.amdhsa_system_sgpr_workgroup_info 0
		.amdhsa_system_vgpr_workitem_id 0
		.amdhsa_next_free_vgpr 1
		.amdhsa_next_free_sgpr 1
		.amdhsa_named_barrier_count 0
		.amdhsa_reserve_vcc 0
		.amdhsa_float_round_mode_32 0
		.amdhsa_float_round_mode_16_64 0
		.amdhsa_float_denorm_mode_32 3
		.amdhsa_float_denorm_mode_16_64 3
		.amdhsa_fp16_overflow 0
		.amdhsa_memory_ordered 1
		.amdhsa_forward_progress 1
		.amdhsa_inst_pref_size 0
		.amdhsa_round_robin_scheduling 0
		.amdhsa_exception_fp_ieee_invalid_op 0
		.amdhsa_exception_fp_denorm_src 0
		.amdhsa_exception_fp_ieee_div_zero 0
		.amdhsa_exception_fp_ieee_overflow 0
		.amdhsa_exception_fp_ieee_underflow 0
		.amdhsa_exception_fp_ieee_inexact 0
		.amdhsa_exception_int_div_zero 0
	.end_amdhsa_kernel
	.section	.text._ZN7rocprim17ROCPRIM_400000_NS6detail17trampoline_kernelINS0_14default_configENS1_20scan_config_selectorIiEEZZNS1_9scan_implILNS1_25lookback_scan_determinismE0ELb0ELb0ES3_N6thrust23THRUST_200600_302600_NS6detail15normal_iteratorINS9_10device_ptrIiEEEESE_iNS9_4plusIvEEiEEDaPvRmT3_T4_T5_mT6_P12ihipStream_tbENKUlT_T0_E_clISt17integral_constantIbLb1EEST_IbLb0EEEEDaSP_SQ_EUlSP_E_NS1_11comp_targetILNS1_3genE5ELNS1_11target_archE942ELNS1_3gpuE9ELNS1_3repE0EEENS1_30default_config_static_selectorELNS0_4arch9wavefront6targetE0EEEvT1_,"axG",@progbits,_ZN7rocprim17ROCPRIM_400000_NS6detail17trampoline_kernelINS0_14default_configENS1_20scan_config_selectorIiEEZZNS1_9scan_implILNS1_25lookback_scan_determinismE0ELb0ELb0ES3_N6thrust23THRUST_200600_302600_NS6detail15normal_iteratorINS9_10device_ptrIiEEEESE_iNS9_4plusIvEEiEEDaPvRmT3_T4_T5_mT6_P12ihipStream_tbENKUlT_T0_E_clISt17integral_constantIbLb1EEST_IbLb0EEEEDaSP_SQ_EUlSP_E_NS1_11comp_targetILNS1_3genE5ELNS1_11target_archE942ELNS1_3gpuE9ELNS1_3repE0EEENS1_30default_config_static_selectorELNS0_4arch9wavefront6targetE0EEEvT1_,comdat
.Lfunc_end48:
	.size	_ZN7rocprim17ROCPRIM_400000_NS6detail17trampoline_kernelINS0_14default_configENS1_20scan_config_selectorIiEEZZNS1_9scan_implILNS1_25lookback_scan_determinismE0ELb0ELb0ES3_N6thrust23THRUST_200600_302600_NS6detail15normal_iteratorINS9_10device_ptrIiEEEESE_iNS9_4plusIvEEiEEDaPvRmT3_T4_T5_mT6_P12ihipStream_tbENKUlT_T0_E_clISt17integral_constantIbLb1EEST_IbLb0EEEEDaSP_SQ_EUlSP_E_NS1_11comp_targetILNS1_3genE5ELNS1_11target_archE942ELNS1_3gpuE9ELNS1_3repE0EEENS1_30default_config_static_selectorELNS0_4arch9wavefront6targetE0EEEvT1_, .Lfunc_end48-_ZN7rocprim17ROCPRIM_400000_NS6detail17trampoline_kernelINS0_14default_configENS1_20scan_config_selectorIiEEZZNS1_9scan_implILNS1_25lookback_scan_determinismE0ELb0ELb0ES3_N6thrust23THRUST_200600_302600_NS6detail15normal_iteratorINS9_10device_ptrIiEEEESE_iNS9_4plusIvEEiEEDaPvRmT3_T4_T5_mT6_P12ihipStream_tbENKUlT_T0_E_clISt17integral_constantIbLb1EEST_IbLb0EEEEDaSP_SQ_EUlSP_E_NS1_11comp_targetILNS1_3genE5ELNS1_11target_archE942ELNS1_3gpuE9ELNS1_3repE0EEENS1_30default_config_static_selectorELNS0_4arch9wavefront6targetE0EEEvT1_
                                        ; -- End function
	.set _ZN7rocprim17ROCPRIM_400000_NS6detail17trampoline_kernelINS0_14default_configENS1_20scan_config_selectorIiEEZZNS1_9scan_implILNS1_25lookback_scan_determinismE0ELb0ELb0ES3_N6thrust23THRUST_200600_302600_NS6detail15normal_iteratorINS9_10device_ptrIiEEEESE_iNS9_4plusIvEEiEEDaPvRmT3_T4_T5_mT6_P12ihipStream_tbENKUlT_T0_E_clISt17integral_constantIbLb1EEST_IbLb0EEEEDaSP_SQ_EUlSP_E_NS1_11comp_targetILNS1_3genE5ELNS1_11target_archE942ELNS1_3gpuE9ELNS1_3repE0EEENS1_30default_config_static_selectorELNS0_4arch9wavefront6targetE0EEEvT1_.num_vgpr, 0
	.set _ZN7rocprim17ROCPRIM_400000_NS6detail17trampoline_kernelINS0_14default_configENS1_20scan_config_selectorIiEEZZNS1_9scan_implILNS1_25lookback_scan_determinismE0ELb0ELb0ES3_N6thrust23THRUST_200600_302600_NS6detail15normal_iteratorINS9_10device_ptrIiEEEESE_iNS9_4plusIvEEiEEDaPvRmT3_T4_T5_mT6_P12ihipStream_tbENKUlT_T0_E_clISt17integral_constantIbLb1EEST_IbLb0EEEEDaSP_SQ_EUlSP_E_NS1_11comp_targetILNS1_3genE5ELNS1_11target_archE942ELNS1_3gpuE9ELNS1_3repE0EEENS1_30default_config_static_selectorELNS0_4arch9wavefront6targetE0EEEvT1_.num_agpr, 0
	.set _ZN7rocprim17ROCPRIM_400000_NS6detail17trampoline_kernelINS0_14default_configENS1_20scan_config_selectorIiEEZZNS1_9scan_implILNS1_25lookback_scan_determinismE0ELb0ELb0ES3_N6thrust23THRUST_200600_302600_NS6detail15normal_iteratorINS9_10device_ptrIiEEEESE_iNS9_4plusIvEEiEEDaPvRmT3_T4_T5_mT6_P12ihipStream_tbENKUlT_T0_E_clISt17integral_constantIbLb1EEST_IbLb0EEEEDaSP_SQ_EUlSP_E_NS1_11comp_targetILNS1_3genE5ELNS1_11target_archE942ELNS1_3gpuE9ELNS1_3repE0EEENS1_30default_config_static_selectorELNS0_4arch9wavefront6targetE0EEEvT1_.numbered_sgpr, 0
	.set _ZN7rocprim17ROCPRIM_400000_NS6detail17trampoline_kernelINS0_14default_configENS1_20scan_config_selectorIiEEZZNS1_9scan_implILNS1_25lookback_scan_determinismE0ELb0ELb0ES3_N6thrust23THRUST_200600_302600_NS6detail15normal_iteratorINS9_10device_ptrIiEEEESE_iNS9_4plusIvEEiEEDaPvRmT3_T4_T5_mT6_P12ihipStream_tbENKUlT_T0_E_clISt17integral_constantIbLb1EEST_IbLb0EEEEDaSP_SQ_EUlSP_E_NS1_11comp_targetILNS1_3genE5ELNS1_11target_archE942ELNS1_3gpuE9ELNS1_3repE0EEENS1_30default_config_static_selectorELNS0_4arch9wavefront6targetE0EEEvT1_.num_named_barrier, 0
	.set _ZN7rocprim17ROCPRIM_400000_NS6detail17trampoline_kernelINS0_14default_configENS1_20scan_config_selectorIiEEZZNS1_9scan_implILNS1_25lookback_scan_determinismE0ELb0ELb0ES3_N6thrust23THRUST_200600_302600_NS6detail15normal_iteratorINS9_10device_ptrIiEEEESE_iNS9_4plusIvEEiEEDaPvRmT3_T4_T5_mT6_P12ihipStream_tbENKUlT_T0_E_clISt17integral_constantIbLb1EEST_IbLb0EEEEDaSP_SQ_EUlSP_E_NS1_11comp_targetILNS1_3genE5ELNS1_11target_archE942ELNS1_3gpuE9ELNS1_3repE0EEENS1_30default_config_static_selectorELNS0_4arch9wavefront6targetE0EEEvT1_.private_seg_size, 0
	.set _ZN7rocprim17ROCPRIM_400000_NS6detail17trampoline_kernelINS0_14default_configENS1_20scan_config_selectorIiEEZZNS1_9scan_implILNS1_25lookback_scan_determinismE0ELb0ELb0ES3_N6thrust23THRUST_200600_302600_NS6detail15normal_iteratorINS9_10device_ptrIiEEEESE_iNS9_4plusIvEEiEEDaPvRmT3_T4_T5_mT6_P12ihipStream_tbENKUlT_T0_E_clISt17integral_constantIbLb1EEST_IbLb0EEEEDaSP_SQ_EUlSP_E_NS1_11comp_targetILNS1_3genE5ELNS1_11target_archE942ELNS1_3gpuE9ELNS1_3repE0EEENS1_30default_config_static_selectorELNS0_4arch9wavefront6targetE0EEEvT1_.uses_vcc, 0
	.set _ZN7rocprim17ROCPRIM_400000_NS6detail17trampoline_kernelINS0_14default_configENS1_20scan_config_selectorIiEEZZNS1_9scan_implILNS1_25lookback_scan_determinismE0ELb0ELb0ES3_N6thrust23THRUST_200600_302600_NS6detail15normal_iteratorINS9_10device_ptrIiEEEESE_iNS9_4plusIvEEiEEDaPvRmT3_T4_T5_mT6_P12ihipStream_tbENKUlT_T0_E_clISt17integral_constantIbLb1EEST_IbLb0EEEEDaSP_SQ_EUlSP_E_NS1_11comp_targetILNS1_3genE5ELNS1_11target_archE942ELNS1_3gpuE9ELNS1_3repE0EEENS1_30default_config_static_selectorELNS0_4arch9wavefront6targetE0EEEvT1_.uses_flat_scratch, 0
	.set _ZN7rocprim17ROCPRIM_400000_NS6detail17trampoline_kernelINS0_14default_configENS1_20scan_config_selectorIiEEZZNS1_9scan_implILNS1_25lookback_scan_determinismE0ELb0ELb0ES3_N6thrust23THRUST_200600_302600_NS6detail15normal_iteratorINS9_10device_ptrIiEEEESE_iNS9_4plusIvEEiEEDaPvRmT3_T4_T5_mT6_P12ihipStream_tbENKUlT_T0_E_clISt17integral_constantIbLb1EEST_IbLb0EEEEDaSP_SQ_EUlSP_E_NS1_11comp_targetILNS1_3genE5ELNS1_11target_archE942ELNS1_3gpuE9ELNS1_3repE0EEENS1_30default_config_static_selectorELNS0_4arch9wavefront6targetE0EEEvT1_.has_dyn_sized_stack, 0
	.set _ZN7rocprim17ROCPRIM_400000_NS6detail17trampoline_kernelINS0_14default_configENS1_20scan_config_selectorIiEEZZNS1_9scan_implILNS1_25lookback_scan_determinismE0ELb0ELb0ES3_N6thrust23THRUST_200600_302600_NS6detail15normal_iteratorINS9_10device_ptrIiEEEESE_iNS9_4plusIvEEiEEDaPvRmT3_T4_T5_mT6_P12ihipStream_tbENKUlT_T0_E_clISt17integral_constantIbLb1EEST_IbLb0EEEEDaSP_SQ_EUlSP_E_NS1_11comp_targetILNS1_3genE5ELNS1_11target_archE942ELNS1_3gpuE9ELNS1_3repE0EEENS1_30default_config_static_selectorELNS0_4arch9wavefront6targetE0EEEvT1_.has_recursion, 0
	.set _ZN7rocprim17ROCPRIM_400000_NS6detail17trampoline_kernelINS0_14default_configENS1_20scan_config_selectorIiEEZZNS1_9scan_implILNS1_25lookback_scan_determinismE0ELb0ELb0ES3_N6thrust23THRUST_200600_302600_NS6detail15normal_iteratorINS9_10device_ptrIiEEEESE_iNS9_4plusIvEEiEEDaPvRmT3_T4_T5_mT6_P12ihipStream_tbENKUlT_T0_E_clISt17integral_constantIbLb1EEST_IbLb0EEEEDaSP_SQ_EUlSP_E_NS1_11comp_targetILNS1_3genE5ELNS1_11target_archE942ELNS1_3gpuE9ELNS1_3repE0EEENS1_30default_config_static_selectorELNS0_4arch9wavefront6targetE0EEEvT1_.has_indirect_call, 0
	.section	.AMDGPU.csdata,"",@progbits
; Kernel info:
; codeLenInByte = 0
; TotalNumSgprs: 0
; NumVgprs: 0
; ScratchSize: 0
; MemoryBound: 0
; FloatMode: 240
; IeeeMode: 1
; LDSByteSize: 0 bytes/workgroup (compile time only)
; SGPRBlocks: 0
; VGPRBlocks: 0
; NumSGPRsForWavesPerEU: 1
; NumVGPRsForWavesPerEU: 1
; NamedBarCnt: 0
; Occupancy: 16
; WaveLimiterHint : 0
; COMPUTE_PGM_RSRC2:SCRATCH_EN: 0
; COMPUTE_PGM_RSRC2:USER_SGPR: 2
; COMPUTE_PGM_RSRC2:TRAP_HANDLER: 0
; COMPUTE_PGM_RSRC2:TGID_X_EN: 1
; COMPUTE_PGM_RSRC2:TGID_Y_EN: 0
; COMPUTE_PGM_RSRC2:TGID_Z_EN: 0
; COMPUTE_PGM_RSRC2:TIDIG_COMP_CNT: 0
	.section	.text._ZN7rocprim17ROCPRIM_400000_NS6detail17trampoline_kernelINS0_14default_configENS1_20scan_config_selectorIiEEZZNS1_9scan_implILNS1_25lookback_scan_determinismE0ELb0ELb0ES3_N6thrust23THRUST_200600_302600_NS6detail15normal_iteratorINS9_10device_ptrIiEEEESE_iNS9_4plusIvEEiEEDaPvRmT3_T4_T5_mT6_P12ihipStream_tbENKUlT_T0_E_clISt17integral_constantIbLb1EEST_IbLb0EEEEDaSP_SQ_EUlSP_E_NS1_11comp_targetILNS1_3genE4ELNS1_11target_archE910ELNS1_3gpuE8ELNS1_3repE0EEENS1_30default_config_static_selectorELNS0_4arch9wavefront6targetE0EEEvT1_,"axG",@progbits,_ZN7rocprim17ROCPRIM_400000_NS6detail17trampoline_kernelINS0_14default_configENS1_20scan_config_selectorIiEEZZNS1_9scan_implILNS1_25lookback_scan_determinismE0ELb0ELb0ES3_N6thrust23THRUST_200600_302600_NS6detail15normal_iteratorINS9_10device_ptrIiEEEESE_iNS9_4plusIvEEiEEDaPvRmT3_T4_T5_mT6_P12ihipStream_tbENKUlT_T0_E_clISt17integral_constantIbLb1EEST_IbLb0EEEEDaSP_SQ_EUlSP_E_NS1_11comp_targetILNS1_3genE4ELNS1_11target_archE910ELNS1_3gpuE8ELNS1_3repE0EEENS1_30default_config_static_selectorELNS0_4arch9wavefront6targetE0EEEvT1_,comdat
	.protected	_ZN7rocprim17ROCPRIM_400000_NS6detail17trampoline_kernelINS0_14default_configENS1_20scan_config_selectorIiEEZZNS1_9scan_implILNS1_25lookback_scan_determinismE0ELb0ELb0ES3_N6thrust23THRUST_200600_302600_NS6detail15normal_iteratorINS9_10device_ptrIiEEEESE_iNS9_4plusIvEEiEEDaPvRmT3_T4_T5_mT6_P12ihipStream_tbENKUlT_T0_E_clISt17integral_constantIbLb1EEST_IbLb0EEEEDaSP_SQ_EUlSP_E_NS1_11comp_targetILNS1_3genE4ELNS1_11target_archE910ELNS1_3gpuE8ELNS1_3repE0EEENS1_30default_config_static_selectorELNS0_4arch9wavefront6targetE0EEEvT1_ ; -- Begin function _ZN7rocprim17ROCPRIM_400000_NS6detail17trampoline_kernelINS0_14default_configENS1_20scan_config_selectorIiEEZZNS1_9scan_implILNS1_25lookback_scan_determinismE0ELb0ELb0ES3_N6thrust23THRUST_200600_302600_NS6detail15normal_iteratorINS9_10device_ptrIiEEEESE_iNS9_4plusIvEEiEEDaPvRmT3_T4_T5_mT6_P12ihipStream_tbENKUlT_T0_E_clISt17integral_constantIbLb1EEST_IbLb0EEEEDaSP_SQ_EUlSP_E_NS1_11comp_targetILNS1_3genE4ELNS1_11target_archE910ELNS1_3gpuE8ELNS1_3repE0EEENS1_30default_config_static_selectorELNS0_4arch9wavefront6targetE0EEEvT1_
	.globl	_ZN7rocprim17ROCPRIM_400000_NS6detail17trampoline_kernelINS0_14default_configENS1_20scan_config_selectorIiEEZZNS1_9scan_implILNS1_25lookback_scan_determinismE0ELb0ELb0ES3_N6thrust23THRUST_200600_302600_NS6detail15normal_iteratorINS9_10device_ptrIiEEEESE_iNS9_4plusIvEEiEEDaPvRmT3_T4_T5_mT6_P12ihipStream_tbENKUlT_T0_E_clISt17integral_constantIbLb1EEST_IbLb0EEEEDaSP_SQ_EUlSP_E_NS1_11comp_targetILNS1_3genE4ELNS1_11target_archE910ELNS1_3gpuE8ELNS1_3repE0EEENS1_30default_config_static_selectorELNS0_4arch9wavefront6targetE0EEEvT1_
	.p2align	8
	.type	_ZN7rocprim17ROCPRIM_400000_NS6detail17trampoline_kernelINS0_14default_configENS1_20scan_config_selectorIiEEZZNS1_9scan_implILNS1_25lookback_scan_determinismE0ELb0ELb0ES3_N6thrust23THRUST_200600_302600_NS6detail15normal_iteratorINS9_10device_ptrIiEEEESE_iNS9_4plusIvEEiEEDaPvRmT3_T4_T5_mT6_P12ihipStream_tbENKUlT_T0_E_clISt17integral_constantIbLb1EEST_IbLb0EEEEDaSP_SQ_EUlSP_E_NS1_11comp_targetILNS1_3genE4ELNS1_11target_archE910ELNS1_3gpuE8ELNS1_3repE0EEENS1_30default_config_static_selectorELNS0_4arch9wavefront6targetE0EEEvT1_,@function
_ZN7rocprim17ROCPRIM_400000_NS6detail17trampoline_kernelINS0_14default_configENS1_20scan_config_selectorIiEEZZNS1_9scan_implILNS1_25lookback_scan_determinismE0ELb0ELb0ES3_N6thrust23THRUST_200600_302600_NS6detail15normal_iteratorINS9_10device_ptrIiEEEESE_iNS9_4plusIvEEiEEDaPvRmT3_T4_T5_mT6_P12ihipStream_tbENKUlT_T0_E_clISt17integral_constantIbLb1EEST_IbLb0EEEEDaSP_SQ_EUlSP_E_NS1_11comp_targetILNS1_3genE4ELNS1_11target_archE910ELNS1_3gpuE8ELNS1_3repE0EEENS1_30default_config_static_selectorELNS0_4arch9wavefront6targetE0EEEvT1_: ; @_ZN7rocprim17ROCPRIM_400000_NS6detail17trampoline_kernelINS0_14default_configENS1_20scan_config_selectorIiEEZZNS1_9scan_implILNS1_25lookback_scan_determinismE0ELb0ELb0ES3_N6thrust23THRUST_200600_302600_NS6detail15normal_iteratorINS9_10device_ptrIiEEEESE_iNS9_4plusIvEEiEEDaPvRmT3_T4_T5_mT6_P12ihipStream_tbENKUlT_T0_E_clISt17integral_constantIbLb1EEST_IbLb0EEEEDaSP_SQ_EUlSP_E_NS1_11comp_targetILNS1_3genE4ELNS1_11target_archE910ELNS1_3gpuE8ELNS1_3repE0EEENS1_30default_config_static_selectorELNS0_4arch9wavefront6targetE0EEEvT1_
; %bb.0:
	.section	.rodata,"a",@progbits
	.p2align	6, 0x0
	.amdhsa_kernel _ZN7rocprim17ROCPRIM_400000_NS6detail17trampoline_kernelINS0_14default_configENS1_20scan_config_selectorIiEEZZNS1_9scan_implILNS1_25lookback_scan_determinismE0ELb0ELb0ES3_N6thrust23THRUST_200600_302600_NS6detail15normal_iteratorINS9_10device_ptrIiEEEESE_iNS9_4plusIvEEiEEDaPvRmT3_T4_T5_mT6_P12ihipStream_tbENKUlT_T0_E_clISt17integral_constantIbLb1EEST_IbLb0EEEEDaSP_SQ_EUlSP_E_NS1_11comp_targetILNS1_3genE4ELNS1_11target_archE910ELNS1_3gpuE8ELNS1_3repE0EEENS1_30default_config_static_selectorELNS0_4arch9wavefront6targetE0EEEvT1_
		.amdhsa_group_segment_fixed_size 0
		.amdhsa_private_segment_fixed_size 0
		.amdhsa_kernarg_size 96
		.amdhsa_user_sgpr_count 2
		.amdhsa_user_sgpr_dispatch_ptr 0
		.amdhsa_user_sgpr_queue_ptr 0
		.amdhsa_user_sgpr_kernarg_segment_ptr 1
		.amdhsa_user_sgpr_dispatch_id 0
		.amdhsa_user_sgpr_kernarg_preload_length 0
		.amdhsa_user_sgpr_kernarg_preload_offset 0
		.amdhsa_user_sgpr_private_segment_size 0
		.amdhsa_wavefront_size32 1
		.amdhsa_uses_dynamic_stack 0
		.amdhsa_enable_private_segment 0
		.amdhsa_system_sgpr_workgroup_id_x 1
		.amdhsa_system_sgpr_workgroup_id_y 0
		.amdhsa_system_sgpr_workgroup_id_z 0
		.amdhsa_system_sgpr_workgroup_info 0
		.amdhsa_system_vgpr_workitem_id 0
		.amdhsa_next_free_vgpr 1
		.amdhsa_next_free_sgpr 1
		.amdhsa_named_barrier_count 0
		.amdhsa_reserve_vcc 0
		.amdhsa_float_round_mode_32 0
		.amdhsa_float_round_mode_16_64 0
		.amdhsa_float_denorm_mode_32 3
		.amdhsa_float_denorm_mode_16_64 3
		.amdhsa_fp16_overflow 0
		.amdhsa_memory_ordered 1
		.amdhsa_forward_progress 1
		.amdhsa_inst_pref_size 0
		.amdhsa_round_robin_scheduling 0
		.amdhsa_exception_fp_ieee_invalid_op 0
		.amdhsa_exception_fp_denorm_src 0
		.amdhsa_exception_fp_ieee_div_zero 0
		.amdhsa_exception_fp_ieee_overflow 0
		.amdhsa_exception_fp_ieee_underflow 0
		.amdhsa_exception_fp_ieee_inexact 0
		.amdhsa_exception_int_div_zero 0
	.end_amdhsa_kernel
	.section	.text._ZN7rocprim17ROCPRIM_400000_NS6detail17trampoline_kernelINS0_14default_configENS1_20scan_config_selectorIiEEZZNS1_9scan_implILNS1_25lookback_scan_determinismE0ELb0ELb0ES3_N6thrust23THRUST_200600_302600_NS6detail15normal_iteratorINS9_10device_ptrIiEEEESE_iNS9_4plusIvEEiEEDaPvRmT3_T4_T5_mT6_P12ihipStream_tbENKUlT_T0_E_clISt17integral_constantIbLb1EEST_IbLb0EEEEDaSP_SQ_EUlSP_E_NS1_11comp_targetILNS1_3genE4ELNS1_11target_archE910ELNS1_3gpuE8ELNS1_3repE0EEENS1_30default_config_static_selectorELNS0_4arch9wavefront6targetE0EEEvT1_,"axG",@progbits,_ZN7rocprim17ROCPRIM_400000_NS6detail17trampoline_kernelINS0_14default_configENS1_20scan_config_selectorIiEEZZNS1_9scan_implILNS1_25lookback_scan_determinismE0ELb0ELb0ES3_N6thrust23THRUST_200600_302600_NS6detail15normal_iteratorINS9_10device_ptrIiEEEESE_iNS9_4plusIvEEiEEDaPvRmT3_T4_T5_mT6_P12ihipStream_tbENKUlT_T0_E_clISt17integral_constantIbLb1EEST_IbLb0EEEEDaSP_SQ_EUlSP_E_NS1_11comp_targetILNS1_3genE4ELNS1_11target_archE910ELNS1_3gpuE8ELNS1_3repE0EEENS1_30default_config_static_selectorELNS0_4arch9wavefront6targetE0EEEvT1_,comdat
.Lfunc_end49:
	.size	_ZN7rocprim17ROCPRIM_400000_NS6detail17trampoline_kernelINS0_14default_configENS1_20scan_config_selectorIiEEZZNS1_9scan_implILNS1_25lookback_scan_determinismE0ELb0ELb0ES3_N6thrust23THRUST_200600_302600_NS6detail15normal_iteratorINS9_10device_ptrIiEEEESE_iNS9_4plusIvEEiEEDaPvRmT3_T4_T5_mT6_P12ihipStream_tbENKUlT_T0_E_clISt17integral_constantIbLb1EEST_IbLb0EEEEDaSP_SQ_EUlSP_E_NS1_11comp_targetILNS1_3genE4ELNS1_11target_archE910ELNS1_3gpuE8ELNS1_3repE0EEENS1_30default_config_static_selectorELNS0_4arch9wavefront6targetE0EEEvT1_, .Lfunc_end49-_ZN7rocprim17ROCPRIM_400000_NS6detail17trampoline_kernelINS0_14default_configENS1_20scan_config_selectorIiEEZZNS1_9scan_implILNS1_25lookback_scan_determinismE0ELb0ELb0ES3_N6thrust23THRUST_200600_302600_NS6detail15normal_iteratorINS9_10device_ptrIiEEEESE_iNS9_4plusIvEEiEEDaPvRmT3_T4_T5_mT6_P12ihipStream_tbENKUlT_T0_E_clISt17integral_constantIbLb1EEST_IbLb0EEEEDaSP_SQ_EUlSP_E_NS1_11comp_targetILNS1_3genE4ELNS1_11target_archE910ELNS1_3gpuE8ELNS1_3repE0EEENS1_30default_config_static_selectorELNS0_4arch9wavefront6targetE0EEEvT1_
                                        ; -- End function
	.set _ZN7rocprim17ROCPRIM_400000_NS6detail17trampoline_kernelINS0_14default_configENS1_20scan_config_selectorIiEEZZNS1_9scan_implILNS1_25lookback_scan_determinismE0ELb0ELb0ES3_N6thrust23THRUST_200600_302600_NS6detail15normal_iteratorINS9_10device_ptrIiEEEESE_iNS9_4plusIvEEiEEDaPvRmT3_T4_T5_mT6_P12ihipStream_tbENKUlT_T0_E_clISt17integral_constantIbLb1EEST_IbLb0EEEEDaSP_SQ_EUlSP_E_NS1_11comp_targetILNS1_3genE4ELNS1_11target_archE910ELNS1_3gpuE8ELNS1_3repE0EEENS1_30default_config_static_selectorELNS0_4arch9wavefront6targetE0EEEvT1_.num_vgpr, 0
	.set _ZN7rocprim17ROCPRIM_400000_NS6detail17trampoline_kernelINS0_14default_configENS1_20scan_config_selectorIiEEZZNS1_9scan_implILNS1_25lookback_scan_determinismE0ELb0ELb0ES3_N6thrust23THRUST_200600_302600_NS6detail15normal_iteratorINS9_10device_ptrIiEEEESE_iNS9_4plusIvEEiEEDaPvRmT3_T4_T5_mT6_P12ihipStream_tbENKUlT_T0_E_clISt17integral_constantIbLb1EEST_IbLb0EEEEDaSP_SQ_EUlSP_E_NS1_11comp_targetILNS1_3genE4ELNS1_11target_archE910ELNS1_3gpuE8ELNS1_3repE0EEENS1_30default_config_static_selectorELNS0_4arch9wavefront6targetE0EEEvT1_.num_agpr, 0
	.set _ZN7rocprim17ROCPRIM_400000_NS6detail17trampoline_kernelINS0_14default_configENS1_20scan_config_selectorIiEEZZNS1_9scan_implILNS1_25lookback_scan_determinismE0ELb0ELb0ES3_N6thrust23THRUST_200600_302600_NS6detail15normal_iteratorINS9_10device_ptrIiEEEESE_iNS9_4plusIvEEiEEDaPvRmT3_T4_T5_mT6_P12ihipStream_tbENKUlT_T0_E_clISt17integral_constantIbLb1EEST_IbLb0EEEEDaSP_SQ_EUlSP_E_NS1_11comp_targetILNS1_3genE4ELNS1_11target_archE910ELNS1_3gpuE8ELNS1_3repE0EEENS1_30default_config_static_selectorELNS0_4arch9wavefront6targetE0EEEvT1_.numbered_sgpr, 0
	.set _ZN7rocprim17ROCPRIM_400000_NS6detail17trampoline_kernelINS0_14default_configENS1_20scan_config_selectorIiEEZZNS1_9scan_implILNS1_25lookback_scan_determinismE0ELb0ELb0ES3_N6thrust23THRUST_200600_302600_NS6detail15normal_iteratorINS9_10device_ptrIiEEEESE_iNS9_4plusIvEEiEEDaPvRmT3_T4_T5_mT6_P12ihipStream_tbENKUlT_T0_E_clISt17integral_constantIbLb1EEST_IbLb0EEEEDaSP_SQ_EUlSP_E_NS1_11comp_targetILNS1_3genE4ELNS1_11target_archE910ELNS1_3gpuE8ELNS1_3repE0EEENS1_30default_config_static_selectorELNS0_4arch9wavefront6targetE0EEEvT1_.num_named_barrier, 0
	.set _ZN7rocprim17ROCPRIM_400000_NS6detail17trampoline_kernelINS0_14default_configENS1_20scan_config_selectorIiEEZZNS1_9scan_implILNS1_25lookback_scan_determinismE0ELb0ELb0ES3_N6thrust23THRUST_200600_302600_NS6detail15normal_iteratorINS9_10device_ptrIiEEEESE_iNS9_4plusIvEEiEEDaPvRmT3_T4_T5_mT6_P12ihipStream_tbENKUlT_T0_E_clISt17integral_constantIbLb1EEST_IbLb0EEEEDaSP_SQ_EUlSP_E_NS1_11comp_targetILNS1_3genE4ELNS1_11target_archE910ELNS1_3gpuE8ELNS1_3repE0EEENS1_30default_config_static_selectorELNS0_4arch9wavefront6targetE0EEEvT1_.private_seg_size, 0
	.set _ZN7rocprim17ROCPRIM_400000_NS6detail17trampoline_kernelINS0_14default_configENS1_20scan_config_selectorIiEEZZNS1_9scan_implILNS1_25lookback_scan_determinismE0ELb0ELb0ES3_N6thrust23THRUST_200600_302600_NS6detail15normal_iteratorINS9_10device_ptrIiEEEESE_iNS9_4plusIvEEiEEDaPvRmT3_T4_T5_mT6_P12ihipStream_tbENKUlT_T0_E_clISt17integral_constantIbLb1EEST_IbLb0EEEEDaSP_SQ_EUlSP_E_NS1_11comp_targetILNS1_3genE4ELNS1_11target_archE910ELNS1_3gpuE8ELNS1_3repE0EEENS1_30default_config_static_selectorELNS0_4arch9wavefront6targetE0EEEvT1_.uses_vcc, 0
	.set _ZN7rocprim17ROCPRIM_400000_NS6detail17trampoline_kernelINS0_14default_configENS1_20scan_config_selectorIiEEZZNS1_9scan_implILNS1_25lookback_scan_determinismE0ELb0ELb0ES3_N6thrust23THRUST_200600_302600_NS6detail15normal_iteratorINS9_10device_ptrIiEEEESE_iNS9_4plusIvEEiEEDaPvRmT3_T4_T5_mT6_P12ihipStream_tbENKUlT_T0_E_clISt17integral_constantIbLb1EEST_IbLb0EEEEDaSP_SQ_EUlSP_E_NS1_11comp_targetILNS1_3genE4ELNS1_11target_archE910ELNS1_3gpuE8ELNS1_3repE0EEENS1_30default_config_static_selectorELNS0_4arch9wavefront6targetE0EEEvT1_.uses_flat_scratch, 0
	.set _ZN7rocprim17ROCPRIM_400000_NS6detail17trampoline_kernelINS0_14default_configENS1_20scan_config_selectorIiEEZZNS1_9scan_implILNS1_25lookback_scan_determinismE0ELb0ELb0ES3_N6thrust23THRUST_200600_302600_NS6detail15normal_iteratorINS9_10device_ptrIiEEEESE_iNS9_4plusIvEEiEEDaPvRmT3_T4_T5_mT6_P12ihipStream_tbENKUlT_T0_E_clISt17integral_constantIbLb1EEST_IbLb0EEEEDaSP_SQ_EUlSP_E_NS1_11comp_targetILNS1_3genE4ELNS1_11target_archE910ELNS1_3gpuE8ELNS1_3repE0EEENS1_30default_config_static_selectorELNS0_4arch9wavefront6targetE0EEEvT1_.has_dyn_sized_stack, 0
	.set _ZN7rocprim17ROCPRIM_400000_NS6detail17trampoline_kernelINS0_14default_configENS1_20scan_config_selectorIiEEZZNS1_9scan_implILNS1_25lookback_scan_determinismE0ELb0ELb0ES3_N6thrust23THRUST_200600_302600_NS6detail15normal_iteratorINS9_10device_ptrIiEEEESE_iNS9_4plusIvEEiEEDaPvRmT3_T4_T5_mT6_P12ihipStream_tbENKUlT_T0_E_clISt17integral_constantIbLb1EEST_IbLb0EEEEDaSP_SQ_EUlSP_E_NS1_11comp_targetILNS1_3genE4ELNS1_11target_archE910ELNS1_3gpuE8ELNS1_3repE0EEENS1_30default_config_static_selectorELNS0_4arch9wavefront6targetE0EEEvT1_.has_recursion, 0
	.set _ZN7rocprim17ROCPRIM_400000_NS6detail17trampoline_kernelINS0_14default_configENS1_20scan_config_selectorIiEEZZNS1_9scan_implILNS1_25lookback_scan_determinismE0ELb0ELb0ES3_N6thrust23THRUST_200600_302600_NS6detail15normal_iteratorINS9_10device_ptrIiEEEESE_iNS9_4plusIvEEiEEDaPvRmT3_T4_T5_mT6_P12ihipStream_tbENKUlT_T0_E_clISt17integral_constantIbLb1EEST_IbLb0EEEEDaSP_SQ_EUlSP_E_NS1_11comp_targetILNS1_3genE4ELNS1_11target_archE910ELNS1_3gpuE8ELNS1_3repE0EEENS1_30default_config_static_selectorELNS0_4arch9wavefront6targetE0EEEvT1_.has_indirect_call, 0
	.section	.AMDGPU.csdata,"",@progbits
; Kernel info:
; codeLenInByte = 0
; TotalNumSgprs: 0
; NumVgprs: 0
; ScratchSize: 0
; MemoryBound: 0
; FloatMode: 240
; IeeeMode: 1
; LDSByteSize: 0 bytes/workgroup (compile time only)
; SGPRBlocks: 0
; VGPRBlocks: 0
; NumSGPRsForWavesPerEU: 1
; NumVGPRsForWavesPerEU: 1
; NamedBarCnt: 0
; Occupancy: 16
; WaveLimiterHint : 0
; COMPUTE_PGM_RSRC2:SCRATCH_EN: 0
; COMPUTE_PGM_RSRC2:USER_SGPR: 2
; COMPUTE_PGM_RSRC2:TRAP_HANDLER: 0
; COMPUTE_PGM_RSRC2:TGID_X_EN: 1
; COMPUTE_PGM_RSRC2:TGID_Y_EN: 0
; COMPUTE_PGM_RSRC2:TGID_Z_EN: 0
; COMPUTE_PGM_RSRC2:TIDIG_COMP_CNT: 0
	.section	.text._ZN7rocprim17ROCPRIM_400000_NS6detail17trampoline_kernelINS0_14default_configENS1_20scan_config_selectorIiEEZZNS1_9scan_implILNS1_25lookback_scan_determinismE0ELb0ELb0ES3_N6thrust23THRUST_200600_302600_NS6detail15normal_iteratorINS9_10device_ptrIiEEEESE_iNS9_4plusIvEEiEEDaPvRmT3_T4_T5_mT6_P12ihipStream_tbENKUlT_T0_E_clISt17integral_constantIbLb1EEST_IbLb0EEEEDaSP_SQ_EUlSP_E_NS1_11comp_targetILNS1_3genE3ELNS1_11target_archE908ELNS1_3gpuE7ELNS1_3repE0EEENS1_30default_config_static_selectorELNS0_4arch9wavefront6targetE0EEEvT1_,"axG",@progbits,_ZN7rocprim17ROCPRIM_400000_NS6detail17trampoline_kernelINS0_14default_configENS1_20scan_config_selectorIiEEZZNS1_9scan_implILNS1_25lookback_scan_determinismE0ELb0ELb0ES3_N6thrust23THRUST_200600_302600_NS6detail15normal_iteratorINS9_10device_ptrIiEEEESE_iNS9_4plusIvEEiEEDaPvRmT3_T4_T5_mT6_P12ihipStream_tbENKUlT_T0_E_clISt17integral_constantIbLb1EEST_IbLb0EEEEDaSP_SQ_EUlSP_E_NS1_11comp_targetILNS1_3genE3ELNS1_11target_archE908ELNS1_3gpuE7ELNS1_3repE0EEENS1_30default_config_static_selectorELNS0_4arch9wavefront6targetE0EEEvT1_,comdat
	.protected	_ZN7rocprim17ROCPRIM_400000_NS6detail17trampoline_kernelINS0_14default_configENS1_20scan_config_selectorIiEEZZNS1_9scan_implILNS1_25lookback_scan_determinismE0ELb0ELb0ES3_N6thrust23THRUST_200600_302600_NS6detail15normal_iteratorINS9_10device_ptrIiEEEESE_iNS9_4plusIvEEiEEDaPvRmT3_T4_T5_mT6_P12ihipStream_tbENKUlT_T0_E_clISt17integral_constantIbLb1EEST_IbLb0EEEEDaSP_SQ_EUlSP_E_NS1_11comp_targetILNS1_3genE3ELNS1_11target_archE908ELNS1_3gpuE7ELNS1_3repE0EEENS1_30default_config_static_selectorELNS0_4arch9wavefront6targetE0EEEvT1_ ; -- Begin function _ZN7rocprim17ROCPRIM_400000_NS6detail17trampoline_kernelINS0_14default_configENS1_20scan_config_selectorIiEEZZNS1_9scan_implILNS1_25lookback_scan_determinismE0ELb0ELb0ES3_N6thrust23THRUST_200600_302600_NS6detail15normal_iteratorINS9_10device_ptrIiEEEESE_iNS9_4plusIvEEiEEDaPvRmT3_T4_T5_mT6_P12ihipStream_tbENKUlT_T0_E_clISt17integral_constantIbLb1EEST_IbLb0EEEEDaSP_SQ_EUlSP_E_NS1_11comp_targetILNS1_3genE3ELNS1_11target_archE908ELNS1_3gpuE7ELNS1_3repE0EEENS1_30default_config_static_selectorELNS0_4arch9wavefront6targetE0EEEvT1_
	.globl	_ZN7rocprim17ROCPRIM_400000_NS6detail17trampoline_kernelINS0_14default_configENS1_20scan_config_selectorIiEEZZNS1_9scan_implILNS1_25lookback_scan_determinismE0ELb0ELb0ES3_N6thrust23THRUST_200600_302600_NS6detail15normal_iteratorINS9_10device_ptrIiEEEESE_iNS9_4plusIvEEiEEDaPvRmT3_T4_T5_mT6_P12ihipStream_tbENKUlT_T0_E_clISt17integral_constantIbLb1EEST_IbLb0EEEEDaSP_SQ_EUlSP_E_NS1_11comp_targetILNS1_3genE3ELNS1_11target_archE908ELNS1_3gpuE7ELNS1_3repE0EEENS1_30default_config_static_selectorELNS0_4arch9wavefront6targetE0EEEvT1_
	.p2align	8
	.type	_ZN7rocprim17ROCPRIM_400000_NS6detail17trampoline_kernelINS0_14default_configENS1_20scan_config_selectorIiEEZZNS1_9scan_implILNS1_25lookback_scan_determinismE0ELb0ELb0ES3_N6thrust23THRUST_200600_302600_NS6detail15normal_iteratorINS9_10device_ptrIiEEEESE_iNS9_4plusIvEEiEEDaPvRmT3_T4_T5_mT6_P12ihipStream_tbENKUlT_T0_E_clISt17integral_constantIbLb1EEST_IbLb0EEEEDaSP_SQ_EUlSP_E_NS1_11comp_targetILNS1_3genE3ELNS1_11target_archE908ELNS1_3gpuE7ELNS1_3repE0EEENS1_30default_config_static_selectorELNS0_4arch9wavefront6targetE0EEEvT1_,@function
_ZN7rocprim17ROCPRIM_400000_NS6detail17trampoline_kernelINS0_14default_configENS1_20scan_config_selectorIiEEZZNS1_9scan_implILNS1_25lookback_scan_determinismE0ELb0ELb0ES3_N6thrust23THRUST_200600_302600_NS6detail15normal_iteratorINS9_10device_ptrIiEEEESE_iNS9_4plusIvEEiEEDaPvRmT3_T4_T5_mT6_P12ihipStream_tbENKUlT_T0_E_clISt17integral_constantIbLb1EEST_IbLb0EEEEDaSP_SQ_EUlSP_E_NS1_11comp_targetILNS1_3genE3ELNS1_11target_archE908ELNS1_3gpuE7ELNS1_3repE0EEENS1_30default_config_static_selectorELNS0_4arch9wavefront6targetE0EEEvT1_: ; @_ZN7rocprim17ROCPRIM_400000_NS6detail17trampoline_kernelINS0_14default_configENS1_20scan_config_selectorIiEEZZNS1_9scan_implILNS1_25lookback_scan_determinismE0ELb0ELb0ES3_N6thrust23THRUST_200600_302600_NS6detail15normal_iteratorINS9_10device_ptrIiEEEESE_iNS9_4plusIvEEiEEDaPvRmT3_T4_T5_mT6_P12ihipStream_tbENKUlT_T0_E_clISt17integral_constantIbLb1EEST_IbLb0EEEEDaSP_SQ_EUlSP_E_NS1_11comp_targetILNS1_3genE3ELNS1_11target_archE908ELNS1_3gpuE7ELNS1_3repE0EEENS1_30default_config_static_selectorELNS0_4arch9wavefront6targetE0EEEvT1_
; %bb.0:
	.section	.rodata,"a",@progbits
	.p2align	6, 0x0
	.amdhsa_kernel _ZN7rocprim17ROCPRIM_400000_NS6detail17trampoline_kernelINS0_14default_configENS1_20scan_config_selectorIiEEZZNS1_9scan_implILNS1_25lookback_scan_determinismE0ELb0ELb0ES3_N6thrust23THRUST_200600_302600_NS6detail15normal_iteratorINS9_10device_ptrIiEEEESE_iNS9_4plusIvEEiEEDaPvRmT3_T4_T5_mT6_P12ihipStream_tbENKUlT_T0_E_clISt17integral_constantIbLb1EEST_IbLb0EEEEDaSP_SQ_EUlSP_E_NS1_11comp_targetILNS1_3genE3ELNS1_11target_archE908ELNS1_3gpuE7ELNS1_3repE0EEENS1_30default_config_static_selectorELNS0_4arch9wavefront6targetE0EEEvT1_
		.amdhsa_group_segment_fixed_size 0
		.amdhsa_private_segment_fixed_size 0
		.amdhsa_kernarg_size 96
		.amdhsa_user_sgpr_count 2
		.amdhsa_user_sgpr_dispatch_ptr 0
		.amdhsa_user_sgpr_queue_ptr 0
		.amdhsa_user_sgpr_kernarg_segment_ptr 1
		.amdhsa_user_sgpr_dispatch_id 0
		.amdhsa_user_sgpr_kernarg_preload_length 0
		.amdhsa_user_sgpr_kernarg_preload_offset 0
		.amdhsa_user_sgpr_private_segment_size 0
		.amdhsa_wavefront_size32 1
		.amdhsa_uses_dynamic_stack 0
		.amdhsa_enable_private_segment 0
		.amdhsa_system_sgpr_workgroup_id_x 1
		.amdhsa_system_sgpr_workgroup_id_y 0
		.amdhsa_system_sgpr_workgroup_id_z 0
		.amdhsa_system_sgpr_workgroup_info 0
		.amdhsa_system_vgpr_workitem_id 0
		.amdhsa_next_free_vgpr 1
		.amdhsa_next_free_sgpr 1
		.amdhsa_named_barrier_count 0
		.amdhsa_reserve_vcc 0
		.amdhsa_float_round_mode_32 0
		.amdhsa_float_round_mode_16_64 0
		.amdhsa_float_denorm_mode_32 3
		.amdhsa_float_denorm_mode_16_64 3
		.amdhsa_fp16_overflow 0
		.amdhsa_memory_ordered 1
		.amdhsa_forward_progress 1
		.amdhsa_inst_pref_size 0
		.amdhsa_round_robin_scheduling 0
		.amdhsa_exception_fp_ieee_invalid_op 0
		.amdhsa_exception_fp_denorm_src 0
		.amdhsa_exception_fp_ieee_div_zero 0
		.amdhsa_exception_fp_ieee_overflow 0
		.amdhsa_exception_fp_ieee_underflow 0
		.amdhsa_exception_fp_ieee_inexact 0
		.amdhsa_exception_int_div_zero 0
	.end_amdhsa_kernel
	.section	.text._ZN7rocprim17ROCPRIM_400000_NS6detail17trampoline_kernelINS0_14default_configENS1_20scan_config_selectorIiEEZZNS1_9scan_implILNS1_25lookback_scan_determinismE0ELb0ELb0ES3_N6thrust23THRUST_200600_302600_NS6detail15normal_iteratorINS9_10device_ptrIiEEEESE_iNS9_4plusIvEEiEEDaPvRmT3_T4_T5_mT6_P12ihipStream_tbENKUlT_T0_E_clISt17integral_constantIbLb1EEST_IbLb0EEEEDaSP_SQ_EUlSP_E_NS1_11comp_targetILNS1_3genE3ELNS1_11target_archE908ELNS1_3gpuE7ELNS1_3repE0EEENS1_30default_config_static_selectorELNS0_4arch9wavefront6targetE0EEEvT1_,"axG",@progbits,_ZN7rocprim17ROCPRIM_400000_NS6detail17trampoline_kernelINS0_14default_configENS1_20scan_config_selectorIiEEZZNS1_9scan_implILNS1_25lookback_scan_determinismE0ELb0ELb0ES3_N6thrust23THRUST_200600_302600_NS6detail15normal_iteratorINS9_10device_ptrIiEEEESE_iNS9_4plusIvEEiEEDaPvRmT3_T4_T5_mT6_P12ihipStream_tbENKUlT_T0_E_clISt17integral_constantIbLb1EEST_IbLb0EEEEDaSP_SQ_EUlSP_E_NS1_11comp_targetILNS1_3genE3ELNS1_11target_archE908ELNS1_3gpuE7ELNS1_3repE0EEENS1_30default_config_static_selectorELNS0_4arch9wavefront6targetE0EEEvT1_,comdat
.Lfunc_end50:
	.size	_ZN7rocprim17ROCPRIM_400000_NS6detail17trampoline_kernelINS0_14default_configENS1_20scan_config_selectorIiEEZZNS1_9scan_implILNS1_25lookback_scan_determinismE0ELb0ELb0ES3_N6thrust23THRUST_200600_302600_NS6detail15normal_iteratorINS9_10device_ptrIiEEEESE_iNS9_4plusIvEEiEEDaPvRmT3_T4_T5_mT6_P12ihipStream_tbENKUlT_T0_E_clISt17integral_constantIbLb1EEST_IbLb0EEEEDaSP_SQ_EUlSP_E_NS1_11comp_targetILNS1_3genE3ELNS1_11target_archE908ELNS1_3gpuE7ELNS1_3repE0EEENS1_30default_config_static_selectorELNS0_4arch9wavefront6targetE0EEEvT1_, .Lfunc_end50-_ZN7rocprim17ROCPRIM_400000_NS6detail17trampoline_kernelINS0_14default_configENS1_20scan_config_selectorIiEEZZNS1_9scan_implILNS1_25lookback_scan_determinismE0ELb0ELb0ES3_N6thrust23THRUST_200600_302600_NS6detail15normal_iteratorINS9_10device_ptrIiEEEESE_iNS9_4plusIvEEiEEDaPvRmT3_T4_T5_mT6_P12ihipStream_tbENKUlT_T0_E_clISt17integral_constantIbLb1EEST_IbLb0EEEEDaSP_SQ_EUlSP_E_NS1_11comp_targetILNS1_3genE3ELNS1_11target_archE908ELNS1_3gpuE7ELNS1_3repE0EEENS1_30default_config_static_selectorELNS0_4arch9wavefront6targetE0EEEvT1_
                                        ; -- End function
	.set _ZN7rocprim17ROCPRIM_400000_NS6detail17trampoline_kernelINS0_14default_configENS1_20scan_config_selectorIiEEZZNS1_9scan_implILNS1_25lookback_scan_determinismE0ELb0ELb0ES3_N6thrust23THRUST_200600_302600_NS6detail15normal_iteratorINS9_10device_ptrIiEEEESE_iNS9_4plusIvEEiEEDaPvRmT3_T4_T5_mT6_P12ihipStream_tbENKUlT_T0_E_clISt17integral_constantIbLb1EEST_IbLb0EEEEDaSP_SQ_EUlSP_E_NS1_11comp_targetILNS1_3genE3ELNS1_11target_archE908ELNS1_3gpuE7ELNS1_3repE0EEENS1_30default_config_static_selectorELNS0_4arch9wavefront6targetE0EEEvT1_.num_vgpr, 0
	.set _ZN7rocprim17ROCPRIM_400000_NS6detail17trampoline_kernelINS0_14default_configENS1_20scan_config_selectorIiEEZZNS1_9scan_implILNS1_25lookback_scan_determinismE0ELb0ELb0ES3_N6thrust23THRUST_200600_302600_NS6detail15normal_iteratorINS9_10device_ptrIiEEEESE_iNS9_4plusIvEEiEEDaPvRmT3_T4_T5_mT6_P12ihipStream_tbENKUlT_T0_E_clISt17integral_constantIbLb1EEST_IbLb0EEEEDaSP_SQ_EUlSP_E_NS1_11comp_targetILNS1_3genE3ELNS1_11target_archE908ELNS1_3gpuE7ELNS1_3repE0EEENS1_30default_config_static_selectorELNS0_4arch9wavefront6targetE0EEEvT1_.num_agpr, 0
	.set _ZN7rocprim17ROCPRIM_400000_NS6detail17trampoline_kernelINS0_14default_configENS1_20scan_config_selectorIiEEZZNS1_9scan_implILNS1_25lookback_scan_determinismE0ELb0ELb0ES3_N6thrust23THRUST_200600_302600_NS6detail15normal_iteratorINS9_10device_ptrIiEEEESE_iNS9_4plusIvEEiEEDaPvRmT3_T4_T5_mT6_P12ihipStream_tbENKUlT_T0_E_clISt17integral_constantIbLb1EEST_IbLb0EEEEDaSP_SQ_EUlSP_E_NS1_11comp_targetILNS1_3genE3ELNS1_11target_archE908ELNS1_3gpuE7ELNS1_3repE0EEENS1_30default_config_static_selectorELNS0_4arch9wavefront6targetE0EEEvT1_.numbered_sgpr, 0
	.set _ZN7rocprim17ROCPRIM_400000_NS6detail17trampoline_kernelINS0_14default_configENS1_20scan_config_selectorIiEEZZNS1_9scan_implILNS1_25lookback_scan_determinismE0ELb0ELb0ES3_N6thrust23THRUST_200600_302600_NS6detail15normal_iteratorINS9_10device_ptrIiEEEESE_iNS9_4plusIvEEiEEDaPvRmT3_T4_T5_mT6_P12ihipStream_tbENKUlT_T0_E_clISt17integral_constantIbLb1EEST_IbLb0EEEEDaSP_SQ_EUlSP_E_NS1_11comp_targetILNS1_3genE3ELNS1_11target_archE908ELNS1_3gpuE7ELNS1_3repE0EEENS1_30default_config_static_selectorELNS0_4arch9wavefront6targetE0EEEvT1_.num_named_barrier, 0
	.set _ZN7rocprim17ROCPRIM_400000_NS6detail17trampoline_kernelINS0_14default_configENS1_20scan_config_selectorIiEEZZNS1_9scan_implILNS1_25lookback_scan_determinismE0ELb0ELb0ES3_N6thrust23THRUST_200600_302600_NS6detail15normal_iteratorINS9_10device_ptrIiEEEESE_iNS9_4plusIvEEiEEDaPvRmT3_T4_T5_mT6_P12ihipStream_tbENKUlT_T0_E_clISt17integral_constantIbLb1EEST_IbLb0EEEEDaSP_SQ_EUlSP_E_NS1_11comp_targetILNS1_3genE3ELNS1_11target_archE908ELNS1_3gpuE7ELNS1_3repE0EEENS1_30default_config_static_selectorELNS0_4arch9wavefront6targetE0EEEvT1_.private_seg_size, 0
	.set _ZN7rocprim17ROCPRIM_400000_NS6detail17trampoline_kernelINS0_14default_configENS1_20scan_config_selectorIiEEZZNS1_9scan_implILNS1_25lookback_scan_determinismE0ELb0ELb0ES3_N6thrust23THRUST_200600_302600_NS6detail15normal_iteratorINS9_10device_ptrIiEEEESE_iNS9_4plusIvEEiEEDaPvRmT3_T4_T5_mT6_P12ihipStream_tbENKUlT_T0_E_clISt17integral_constantIbLb1EEST_IbLb0EEEEDaSP_SQ_EUlSP_E_NS1_11comp_targetILNS1_3genE3ELNS1_11target_archE908ELNS1_3gpuE7ELNS1_3repE0EEENS1_30default_config_static_selectorELNS0_4arch9wavefront6targetE0EEEvT1_.uses_vcc, 0
	.set _ZN7rocprim17ROCPRIM_400000_NS6detail17trampoline_kernelINS0_14default_configENS1_20scan_config_selectorIiEEZZNS1_9scan_implILNS1_25lookback_scan_determinismE0ELb0ELb0ES3_N6thrust23THRUST_200600_302600_NS6detail15normal_iteratorINS9_10device_ptrIiEEEESE_iNS9_4plusIvEEiEEDaPvRmT3_T4_T5_mT6_P12ihipStream_tbENKUlT_T0_E_clISt17integral_constantIbLb1EEST_IbLb0EEEEDaSP_SQ_EUlSP_E_NS1_11comp_targetILNS1_3genE3ELNS1_11target_archE908ELNS1_3gpuE7ELNS1_3repE0EEENS1_30default_config_static_selectorELNS0_4arch9wavefront6targetE0EEEvT1_.uses_flat_scratch, 0
	.set _ZN7rocprim17ROCPRIM_400000_NS6detail17trampoline_kernelINS0_14default_configENS1_20scan_config_selectorIiEEZZNS1_9scan_implILNS1_25lookback_scan_determinismE0ELb0ELb0ES3_N6thrust23THRUST_200600_302600_NS6detail15normal_iteratorINS9_10device_ptrIiEEEESE_iNS9_4plusIvEEiEEDaPvRmT3_T4_T5_mT6_P12ihipStream_tbENKUlT_T0_E_clISt17integral_constantIbLb1EEST_IbLb0EEEEDaSP_SQ_EUlSP_E_NS1_11comp_targetILNS1_3genE3ELNS1_11target_archE908ELNS1_3gpuE7ELNS1_3repE0EEENS1_30default_config_static_selectorELNS0_4arch9wavefront6targetE0EEEvT1_.has_dyn_sized_stack, 0
	.set _ZN7rocprim17ROCPRIM_400000_NS6detail17trampoline_kernelINS0_14default_configENS1_20scan_config_selectorIiEEZZNS1_9scan_implILNS1_25lookback_scan_determinismE0ELb0ELb0ES3_N6thrust23THRUST_200600_302600_NS6detail15normal_iteratorINS9_10device_ptrIiEEEESE_iNS9_4plusIvEEiEEDaPvRmT3_T4_T5_mT6_P12ihipStream_tbENKUlT_T0_E_clISt17integral_constantIbLb1EEST_IbLb0EEEEDaSP_SQ_EUlSP_E_NS1_11comp_targetILNS1_3genE3ELNS1_11target_archE908ELNS1_3gpuE7ELNS1_3repE0EEENS1_30default_config_static_selectorELNS0_4arch9wavefront6targetE0EEEvT1_.has_recursion, 0
	.set _ZN7rocprim17ROCPRIM_400000_NS6detail17trampoline_kernelINS0_14default_configENS1_20scan_config_selectorIiEEZZNS1_9scan_implILNS1_25lookback_scan_determinismE0ELb0ELb0ES3_N6thrust23THRUST_200600_302600_NS6detail15normal_iteratorINS9_10device_ptrIiEEEESE_iNS9_4plusIvEEiEEDaPvRmT3_T4_T5_mT6_P12ihipStream_tbENKUlT_T0_E_clISt17integral_constantIbLb1EEST_IbLb0EEEEDaSP_SQ_EUlSP_E_NS1_11comp_targetILNS1_3genE3ELNS1_11target_archE908ELNS1_3gpuE7ELNS1_3repE0EEENS1_30default_config_static_selectorELNS0_4arch9wavefront6targetE0EEEvT1_.has_indirect_call, 0
	.section	.AMDGPU.csdata,"",@progbits
; Kernel info:
; codeLenInByte = 0
; TotalNumSgprs: 0
; NumVgprs: 0
; ScratchSize: 0
; MemoryBound: 0
; FloatMode: 240
; IeeeMode: 1
; LDSByteSize: 0 bytes/workgroup (compile time only)
; SGPRBlocks: 0
; VGPRBlocks: 0
; NumSGPRsForWavesPerEU: 1
; NumVGPRsForWavesPerEU: 1
; NamedBarCnt: 0
; Occupancy: 16
; WaveLimiterHint : 0
; COMPUTE_PGM_RSRC2:SCRATCH_EN: 0
; COMPUTE_PGM_RSRC2:USER_SGPR: 2
; COMPUTE_PGM_RSRC2:TRAP_HANDLER: 0
; COMPUTE_PGM_RSRC2:TGID_X_EN: 1
; COMPUTE_PGM_RSRC2:TGID_Y_EN: 0
; COMPUTE_PGM_RSRC2:TGID_Z_EN: 0
; COMPUTE_PGM_RSRC2:TIDIG_COMP_CNT: 0
	.section	.text._ZN7rocprim17ROCPRIM_400000_NS6detail17trampoline_kernelINS0_14default_configENS1_20scan_config_selectorIiEEZZNS1_9scan_implILNS1_25lookback_scan_determinismE0ELb0ELb0ES3_N6thrust23THRUST_200600_302600_NS6detail15normal_iteratorINS9_10device_ptrIiEEEESE_iNS9_4plusIvEEiEEDaPvRmT3_T4_T5_mT6_P12ihipStream_tbENKUlT_T0_E_clISt17integral_constantIbLb1EEST_IbLb0EEEEDaSP_SQ_EUlSP_E_NS1_11comp_targetILNS1_3genE2ELNS1_11target_archE906ELNS1_3gpuE6ELNS1_3repE0EEENS1_30default_config_static_selectorELNS0_4arch9wavefront6targetE0EEEvT1_,"axG",@progbits,_ZN7rocprim17ROCPRIM_400000_NS6detail17trampoline_kernelINS0_14default_configENS1_20scan_config_selectorIiEEZZNS1_9scan_implILNS1_25lookback_scan_determinismE0ELb0ELb0ES3_N6thrust23THRUST_200600_302600_NS6detail15normal_iteratorINS9_10device_ptrIiEEEESE_iNS9_4plusIvEEiEEDaPvRmT3_T4_T5_mT6_P12ihipStream_tbENKUlT_T0_E_clISt17integral_constantIbLb1EEST_IbLb0EEEEDaSP_SQ_EUlSP_E_NS1_11comp_targetILNS1_3genE2ELNS1_11target_archE906ELNS1_3gpuE6ELNS1_3repE0EEENS1_30default_config_static_selectorELNS0_4arch9wavefront6targetE0EEEvT1_,comdat
	.protected	_ZN7rocprim17ROCPRIM_400000_NS6detail17trampoline_kernelINS0_14default_configENS1_20scan_config_selectorIiEEZZNS1_9scan_implILNS1_25lookback_scan_determinismE0ELb0ELb0ES3_N6thrust23THRUST_200600_302600_NS6detail15normal_iteratorINS9_10device_ptrIiEEEESE_iNS9_4plusIvEEiEEDaPvRmT3_T4_T5_mT6_P12ihipStream_tbENKUlT_T0_E_clISt17integral_constantIbLb1EEST_IbLb0EEEEDaSP_SQ_EUlSP_E_NS1_11comp_targetILNS1_3genE2ELNS1_11target_archE906ELNS1_3gpuE6ELNS1_3repE0EEENS1_30default_config_static_selectorELNS0_4arch9wavefront6targetE0EEEvT1_ ; -- Begin function _ZN7rocprim17ROCPRIM_400000_NS6detail17trampoline_kernelINS0_14default_configENS1_20scan_config_selectorIiEEZZNS1_9scan_implILNS1_25lookback_scan_determinismE0ELb0ELb0ES3_N6thrust23THRUST_200600_302600_NS6detail15normal_iteratorINS9_10device_ptrIiEEEESE_iNS9_4plusIvEEiEEDaPvRmT3_T4_T5_mT6_P12ihipStream_tbENKUlT_T0_E_clISt17integral_constantIbLb1EEST_IbLb0EEEEDaSP_SQ_EUlSP_E_NS1_11comp_targetILNS1_3genE2ELNS1_11target_archE906ELNS1_3gpuE6ELNS1_3repE0EEENS1_30default_config_static_selectorELNS0_4arch9wavefront6targetE0EEEvT1_
	.globl	_ZN7rocprim17ROCPRIM_400000_NS6detail17trampoline_kernelINS0_14default_configENS1_20scan_config_selectorIiEEZZNS1_9scan_implILNS1_25lookback_scan_determinismE0ELb0ELb0ES3_N6thrust23THRUST_200600_302600_NS6detail15normal_iteratorINS9_10device_ptrIiEEEESE_iNS9_4plusIvEEiEEDaPvRmT3_T4_T5_mT6_P12ihipStream_tbENKUlT_T0_E_clISt17integral_constantIbLb1EEST_IbLb0EEEEDaSP_SQ_EUlSP_E_NS1_11comp_targetILNS1_3genE2ELNS1_11target_archE906ELNS1_3gpuE6ELNS1_3repE0EEENS1_30default_config_static_selectorELNS0_4arch9wavefront6targetE0EEEvT1_
	.p2align	8
	.type	_ZN7rocprim17ROCPRIM_400000_NS6detail17trampoline_kernelINS0_14default_configENS1_20scan_config_selectorIiEEZZNS1_9scan_implILNS1_25lookback_scan_determinismE0ELb0ELb0ES3_N6thrust23THRUST_200600_302600_NS6detail15normal_iteratorINS9_10device_ptrIiEEEESE_iNS9_4plusIvEEiEEDaPvRmT3_T4_T5_mT6_P12ihipStream_tbENKUlT_T0_E_clISt17integral_constantIbLb1EEST_IbLb0EEEEDaSP_SQ_EUlSP_E_NS1_11comp_targetILNS1_3genE2ELNS1_11target_archE906ELNS1_3gpuE6ELNS1_3repE0EEENS1_30default_config_static_selectorELNS0_4arch9wavefront6targetE0EEEvT1_,@function
_ZN7rocprim17ROCPRIM_400000_NS6detail17trampoline_kernelINS0_14default_configENS1_20scan_config_selectorIiEEZZNS1_9scan_implILNS1_25lookback_scan_determinismE0ELb0ELb0ES3_N6thrust23THRUST_200600_302600_NS6detail15normal_iteratorINS9_10device_ptrIiEEEESE_iNS9_4plusIvEEiEEDaPvRmT3_T4_T5_mT6_P12ihipStream_tbENKUlT_T0_E_clISt17integral_constantIbLb1EEST_IbLb0EEEEDaSP_SQ_EUlSP_E_NS1_11comp_targetILNS1_3genE2ELNS1_11target_archE906ELNS1_3gpuE6ELNS1_3repE0EEENS1_30default_config_static_selectorELNS0_4arch9wavefront6targetE0EEEvT1_: ; @_ZN7rocprim17ROCPRIM_400000_NS6detail17trampoline_kernelINS0_14default_configENS1_20scan_config_selectorIiEEZZNS1_9scan_implILNS1_25lookback_scan_determinismE0ELb0ELb0ES3_N6thrust23THRUST_200600_302600_NS6detail15normal_iteratorINS9_10device_ptrIiEEEESE_iNS9_4plusIvEEiEEDaPvRmT3_T4_T5_mT6_P12ihipStream_tbENKUlT_T0_E_clISt17integral_constantIbLb1EEST_IbLb0EEEEDaSP_SQ_EUlSP_E_NS1_11comp_targetILNS1_3genE2ELNS1_11target_archE906ELNS1_3gpuE6ELNS1_3repE0EEENS1_30default_config_static_selectorELNS0_4arch9wavefront6targetE0EEEvT1_
; %bb.0:
	.section	.rodata,"a",@progbits
	.p2align	6, 0x0
	.amdhsa_kernel _ZN7rocprim17ROCPRIM_400000_NS6detail17trampoline_kernelINS0_14default_configENS1_20scan_config_selectorIiEEZZNS1_9scan_implILNS1_25lookback_scan_determinismE0ELb0ELb0ES3_N6thrust23THRUST_200600_302600_NS6detail15normal_iteratorINS9_10device_ptrIiEEEESE_iNS9_4plusIvEEiEEDaPvRmT3_T4_T5_mT6_P12ihipStream_tbENKUlT_T0_E_clISt17integral_constantIbLb1EEST_IbLb0EEEEDaSP_SQ_EUlSP_E_NS1_11comp_targetILNS1_3genE2ELNS1_11target_archE906ELNS1_3gpuE6ELNS1_3repE0EEENS1_30default_config_static_selectorELNS0_4arch9wavefront6targetE0EEEvT1_
		.amdhsa_group_segment_fixed_size 0
		.amdhsa_private_segment_fixed_size 0
		.amdhsa_kernarg_size 96
		.amdhsa_user_sgpr_count 2
		.amdhsa_user_sgpr_dispatch_ptr 0
		.amdhsa_user_sgpr_queue_ptr 0
		.amdhsa_user_sgpr_kernarg_segment_ptr 1
		.amdhsa_user_sgpr_dispatch_id 0
		.amdhsa_user_sgpr_kernarg_preload_length 0
		.amdhsa_user_sgpr_kernarg_preload_offset 0
		.amdhsa_user_sgpr_private_segment_size 0
		.amdhsa_wavefront_size32 1
		.amdhsa_uses_dynamic_stack 0
		.amdhsa_enable_private_segment 0
		.amdhsa_system_sgpr_workgroup_id_x 1
		.amdhsa_system_sgpr_workgroup_id_y 0
		.amdhsa_system_sgpr_workgroup_id_z 0
		.amdhsa_system_sgpr_workgroup_info 0
		.amdhsa_system_vgpr_workitem_id 0
		.amdhsa_next_free_vgpr 1
		.amdhsa_next_free_sgpr 1
		.amdhsa_named_barrier_count 0
		.amdhsa_reserve_vcc 0
		.amdhsa_float_round_mode_32 0
		.amdhsa_float_round_mode_16_64 0
		.amdhsa_float_denorm_mode_32 3
		.amdhsa_float_denorm_mode_16_64 3
		.amdhsa_fp16_overflow 0
		.amdhsa_memory_ordered 1
		.amdhsa_forward_progress 1
		.amdhsa_inst_pref_size 0
		.amdhsa_round_robin_scheduling 0
		.amdhsa_exception_fp_ieee_invalid_op 0
		.amdhsa_exception_fp_denorm_src 0
		.amdhsa_exception_fp_ieee_div_zero 0
		.amdhsa_exception_fp_ieee_overflow 0
		.amdhsa_exception_fp_ieee_underflow 0
		.amdhsa_exception_fp_ieee_inexact 0
		.amdhsa_exception_int_div_zero 0
	.end_amdhsa_kernel
	.section	.text._ZN7rocprim17ROCPRIM_400000_NS6detail17trampoline_kernelINS0_14default_configENS1_20scan_config_selectorIiEEZZNS1_9scan_implILNS1_25lookback_scan_determinismE0ELb0ELb0ES3_N6thrust23THRUST_200600_302600_NS6detail15normal_iteratorINS9_10device_ptrIiEEEESE_iNS9_4plusIvEEiEEDaPvRmT3_T4_T5_mT6_P12ihipStream_tbENKUlT_T0_E_clISt17integral_constantIbLb1EEST_IbLb0EEEEDaSP_SQ_EUlSP_E_NS1_11comp_targetILNS1_3genE2ELNS1_11target_archE906ELNS1_3gpuE6ELNS1_3repE0EEENS1_30default_config_static_selectorELNS0_4arch9wavefront6targetE0EEEvT1_,"axG",@progbits,_ZN7rocprim17ROCPRIM_400000_NS6detail17trampoline_kernelINS0_14default_configENS1_20scan_config_selectorIiEEZZNS1_9scan_implILNS1_25lookback_scan_determinismE0ELb0ELb0ES3_N6thrust23THRUST_200600_302600_NS6detail15normal_iteratorINS9_10device_ptrIiEEEESE_iNS9_4plusIvEEiEEDaPvRmT3_T4_T5_mT6_P12ihipStream_tbENKUlT_T0_E_clISt17integral_constantIbLb1EEST_IbLb0EEEEDaSP_SQ_EUlSP_E_NS1_11comp_targetILNS1_3genE2ELNS1_11target_archE906ELNS1_3gpuE6ELNS1_3repE0EEENS1_30default_config_static_selectorELNS0_4arch9wavefront6targetE0EEEvT1_,comdat
.Lfunc_end51:
	.size	_ZN7rocprim17ROCPRIM_400000_NS6detail17trampoline_kernelINS0_14default_configENS1_20scan_config_selectorIiEEZZNS1_9scan_implILNS1_25lookback_scan_determinismE0ELb0ELb0ES3_N6thrust23THRUST_200600_302600_NS6detail15normal_iteratorINS9_10device_ptrIiEEEESE_iNS9_4plusIvEEiEEDaPvRmT3_T4_T5_mT6_P12ihipStream_tbENKUlT_T0_E_clISt17integral_constantIbLb1EEST_IbLb0EEEEDaSP_SQ_EUlSP_E_NS1_11comp_targetILNS1_3genE2ELNS1_11target_archE906ELNS1_3gpuE6ELNS1_3repE0EEENS1_30default_config_static_selectorELNS0_4arch9wavefront6targetE0EEEvT1_, .Lfunc_end51-_ZN7rocprim17ROCPRIM_400000_NS6detail17trampoline_kernelINS0_14default_configENS1_20scan_config_selectorIiEEZZNS1_9scan_implILNS1_25lookback_scan_determinismE0ELb0ELb0ES3_N6thrust23THRUST_200600_302600_NS6detail15normal_iteratorINS9_10device_ptrIiEEEESE_iNS9_4plusIvEEiEEDaPvRmT3_T4_T5_mT6_P12ihipStream_tbENKUlT_T0_E_clISt17integral_constantIbLb1EEST_IbLb0EEEEDaSP_SQ_EUlSP_E_NS1_11comp_targetILNS1_3genE2ELNS1_11target_archE906ELNS1_3gpuE6ELNS1_3repE0EEENS1_30default_config_static_selectorELNS0_4arch9wavefront6targetE0EEEvT1_
                                        ; -- End function
	.set _ZN7rocprim17ROCPRIM_400000_NS6detail17trampoline_kernelINS0_14default_configENS1_20scan_config_selectorIiEEZZNS1_9scan_implILNS1_25lookback_scan_determinismE0ELb0ELb0ES3_N6thrust23THRUST_200600_302600_NS6detail15normal_iteratorINS9_10device_ptrIiEEEESE_iNS9_4plusIvEEiEEDaPvRmT3_T4_T5_mT6_P12ihipStream_tbENKUlT_T0_E_clISt17integral_constantIbLb1EEST_IbLb0EEEEDaSP_SQ_EUlSP_E_NS1_11comp_targetILNS1_3genE2ELNS1_11target_archE906ELNS1_3gpuE6ELNS1_3repE0EEENS1_30default_config_static_selectorELNS0_4arch9wavefront6targetE0EEEvT1_.num_vgpr, 0
	.set _ZN7rocprim17ROCPRIM_400000_NS6detail17trampoline_kernelINS0_14default_configENS1_20scan_config_selectorIiEEZZNS1_9scan_implILNS1_25lookback_scan_determinismE0ELb0ELb0ES3_N6thrust23THRUST_200600_302600_NS6detail15normal_iteratorINS9_10device_ptrIiEEEESE_iNS9_4plusIvEEiEEDaPvRmT3_T4_T5_mT6_P12ihipStream_tbENKUlT_T0_E_clISt17integral_constantIbLb1EEST_IbLb0EEEEDaSP_SQ_EUlSP_E_NS1_11comp_targetILNS1_3genE2ELNS1_11target_archE906ELNS1_3gpuE6ELNS1_3repE0EEENS1_30default_config_static_selectorELNS0_4arch9wavefront6targetE0EEEvT1_.num_agpr, 0
	.set _ZN7rocprim17ROCPRIM_400000_NS6detail17trampoline_kernelINS0_14default_configENS1_20scan_config_selectorIiEEZZNS1_9scan_implILNS1_25lookback_scan_determinismE0ELb0ELb0ES3_N6thrust23THRUST_200600_302600_NS6detail15normal_iteratorINS9_10device_ptrIiEEEESE_iNS9_4plusIvEEiEEDaPvRmT3_T4_T5_mT6_P12ihipStream_tbENKUlT_T0_E_clISt17integral_constantIbLb1EEST_IbLb0EEEEDaSP_SQ_EUlSP_E_NS1_11comp_targetILNS1_3genE2ELNS1_11target_archE906ELNS1_3gpuE6ELNS1_3repE0EEENS1_30default_config_static_selectorELNS0_4arch9wavefront6targetE0EEEvT1_.numbered_sgpr, 0
	.set _ZN7rocprim17ROCPRIM_400000_NS6detail17trampoline_kernelINS0_14default_configENS1_20scan_config_selectorIiEEZZNS1_9scan_implILNS1_25lookback_scan_determinismE0ELb0ELb0ES3_N6thrust23THRUST_200600_302600_NS6detail15normal_iteratorINS9_10device_ptrIiEEEESE_iNS9_4plusIvEEiEEDaPvRmT3_T4_T5_mT6_P12ihipStream_tbENKUlT_T0_E_clISt17integral_constantIbLb1EEST_IbLb0EEEEDaSP_SQ_EUlSP_E_NS1_11comp_targetILNS1_3genE2ELNS1_11target_archE906ELNS1_3gpuE6ELNS1_3repE0EEENS1_30default_config_static_selectorELNS0_4arch9wavefront6targetE0EEEvT1_.num_named_barrier, 0
	.set _ZN7rocprim17ROCPRIM_400000_NS6detail17trampoline_kernelINS0_14default_configENS1_20scan_config_selectorIiEEZZNS1_9scan_implILNS1_25lookback_scan_determinismE0ELb0ELb0ES3_N6thrust23THRUST_200600_302600_NS6detail15normal_iteratorINS9_10device_ptrIiEEEESE_iNS9_4plusIvEEiEEDaPvRmT3_T4_T5_mT6_P12ihipStream_tbENKUlT_T0_E_clISt17integral_constantIbLb1EEST_IbLb0EEEEDaSP_SQ_EUlSP_E_NS1_11comp_targetILNS1_3genE2ELNS1_11target_archE906ELNS1_3gpuE6ELNS1_3repE0EEENS1_30default_config_static_selectorELNS0_4arch9wavefront6targetE0EEEvT1_.private_seg_size, 0
	.set _ZN7rocprim17ROCPRIM_400000_NS6detail17trampoline_kernelINS0_14default_configENS1_20scan_config_selectorIiEEZZNS1_9scan_implILNS1_25lookback_scan_determinismE0ELb0ELb0ES3_N6thrust23THRUST_200600_302600_NS6detail15normal_iteratorINS9_10device_ptrIiEEEESE_iNS9_4plusIvEEiEEDaPvRmT3_T4_T5_mT6_P12ihipStream_tbENKUlT_T0_E_clISt17integral_constantIbLb1EEST_IbLb0EEEEDaSP_SQ_EUlSP_E_NS1_11comp_targetILNS1_3genE2ELNS1_11target_archE906ELNS1_3gpuE6ELNS1_3repE0EEENS1_30default_config_static_selectorELNS0_4arch9wavefront6targetE0EEEvT1_.uses_vcc, 0
	.set _ZN7rocprim17ROCPRIM_400000_NS6detail17trampoline_kernelINS0_14default_configENS1_20scan_config_selectorIiEEZZNS1_9scan_implILNS1_25lookback_scan_determinismE0ELb0ELb0ES3_N6thrust23THRUST_200600_302600_NS6detail15normal_iteratorINS9_10device_ptrIiEEEESE_iNS9_4plusIvEEiEEDaPvRmT3_T4_T5_mT6_P12ihipStream_tbENKUlT_T0_E_clISt17integral_constantIbLb1EEST_IbLb0EEEEDaSP_SQ_EUlSP_E_NS1_11comp_targetILNS1_3genE2ELNS1_11target_archE906ELNS1_3gpuE6ELNS1_3repE0EEENS1_30default_config_static_selectorELNS0_4arch9wavefront6targetE0EEEvT1_.uses_flat_scratch, 0
	.set _ZN7rocprim17ROCPRIM_400000_NS6detail17trampoline_kernelINS0_14default_configENS1_20scan_config_selectorIiEEZZNS1_9scan_implILNS1_25lookback_scan_determinismE0ELb0ELb0ES3_N6thrust23THRUST_200600_302600_NS6detail15normal_iteratorINS9_10device_ptrIiEEEESE_iNS9_4plusIvEEiEEDaPvRmT3_T4_T5_mT6_P12ihipStream_tbENKUlT_T0_E_clISt17integral_constantIbLb1EEST_IbLb0EEEEDaSP_SQ_EUlSP_E_NS1_11comp_targetILNS1_3genE2ELNS1_11target_archE906ELNS1_3gpuE6ELNS1_3repE0EEENS1_30default_config_static_selectorELNS0_4arch9wavefront6targetE0EEEvT1_.has_dyn_sized_stack, 0
	.set _ZN7rocprim17ROCPRIM_400000_NS6detail17trampoline_kernelINS0_14default_configENS1_20scan_config_selectorIiEEZZNS1_9scan_implILNS1_25lookback_scan_determinismE0ELb0ELb0ES3_N6thrust23THRUST_200600_302600_NS6detail15normal_iteratorINS9_10device_ptrIiEEEESE_iNS9_4plusIvEEiEEDaPvRmT3_T4_T5_mT6_P12ihipStream_tbENKUlT_T0_E_clISt17integral_constantIbLb1EEST_IbLb0EEEEDaSP_SQ_EUlSP_E_NS1_11comp_targetILNS1_3genE2ELNS1_11target_archE906ELNS1_3gpuE6ELNS1_3repE0EEENS1_30default_config_static_selectorELNS0_4arch9wavefront6targetE0EEEvT1_.has_recursion, 0
	.set _ZN7rocprim17ROCPRIM_400000_NS6detail17trampoline_kernelINS0_14default_configENS1_20scan_config_selectorIiEEZZNS1_9scan_implILNS1_25lookback_scan_determinismE0ELb0ELb0ES3_N6thrust23THRUST_200600_302600_NS6detail15normal_iteratorINS9_10device_ptrIiEEEESE_iNS9_4plusIvEEiEEDaPvRmT3_T4_T5_mT6_P12ihipStream_tbENKUlT_T0_E_clISt17integral_constantIbLb1EEST_IbLb0EEEEDaSP_SQ_EUlSP_E_NS1_11comp_targetILNS1_3genE2ELNS1_11target_archE906ELNS1_3gpuE6ELNS1_3repE0EEENS1_30default_config_static_selectorELNS0_4arch9wavefront6targetE0EEEvT1_.has_indirect_call, 0
	.section	.AMDGPU.csdata,"",@progbits
; Kernel info:
; codeLenInByte = 0
; TotalNumSgprs: 0
; NumVgprs: 0
; ScratchSize: 0
; MemoryBound: 0
; FloatMode: 240
; IeeeMode: 1
; LDSByteSize: 0 bytes/workgroup (compile time only)
; SGPRBlocks: 0
; VGPRBlocks: 0
; NumSGPRsForWavesPerEU: 1
; NumVGPRsForWavesPerEU: 1
; NamedBarCnt: 0
; Occupancy: 16
; WaveLimiterHint : 0
; COMPUTE_PGM_RSRC2:SCRATCH_EN: 0
; COMPUTE_PGM_RSRC2:USER_SGPR: 2
; COMPUTE_PGM_RSRC2:TRAP_HANDLER: 0
; COMPUTE_PGM_RSRC2:TGID_X_EN: 1
; COMPUTE_PGM_RSRC2:TGID_Y_EN: 0
; COMPUTE_PGM_RSRC2:TGID_Z_EN: 0
; COMPUTE_PGM_RSRC2:TIDIG_COMP_CNT: 0
	.section	.text._ZN7rocprim17ROCPRIM_400000_NS6detail17trampoline_kernelINS0_14default_configENS1_20scan_config_selectorIiEEZZNS1_9scan_implILNS1_25lookback_scan_determinismE0ELb0ELb0ES3_N6thrust23THRUST_200600_302600_NS6detail15normal_iteratorINS9_10device_ptrIiEEEESE_iNS9_4plusIvEEiEEDaPvRmT3_T4_T5_mT6_P12ihipStream_tbENKUlT_T0_E_clISt17integral_constantIbLb1EEST_IbLb0EEEEDaSP_SQ_EUlSP_E_NS1_11comp_targetILNS1_3genE10ELNS1_11target_archE1201ELNS1_3gpuE5ELNS1_3repE0EEENS1_30default_config_static_selectorELNS0_4arch9wavefront6targetE0EEEvT1_,"axG",@progbits,_ZN7rocprim17ROCPRIM_400000_NS6detail17trampoline_kernelINS0_14default_configENS1_20scan_config_selectorIiEEZZNS1_9scan_implILNS1_25lookback_scan_determinismE0ELb0ELb0ES3_N6thrust23THRUST_200600_302600_NS6detail15normal_iteratorINS9_10device_ptrIiEEEESE_iNS9_4plusIvEEiEEDaPvRmT3_T4_T5_mT6_P12ihipStream_tbENKUlT_T0_E_clISt17integral_constantIbLb1EEST_IbLb0EEEEDaSP_SQ_EUlSP_E_NS1_11comp_targetILNS1_3genE10ELNS1_11target_archE1201ELNS1_3gpuE5ELNS1_3repE0EEENS1_30default_config_static_selectorELNS0_4arch9wavefront6targetE0EEEvT1_,comdat
	.protected	_ZN7rocprim17ROCPRIM_400000_NS6detail17trampoline_kernelINS0_14default_configENS1_20scan_config_selectorIiEEZZNS1_9scan_implILNS1_25lookback_scan_determinismE0ELb0ELb0ES3_N6thrust23THRUST_200600_302600_NS6detail15normal_iteratorINS9_10device_ptrIiEEEESE_iNS9_4plusIvEEiEEDaPvRmT3_T4_T5_mT6_P12ihipStream_tbENKUlT_T0_E_clISt17integral_constantIbLb1EEST_IbLb0EEEEDaSP_SQ_EUlSP_E_NS1_11comp_targetILNS1_3genE10ELNS1_11target_archE1201ELNS1_3gpuE5ELNS1_3repE0EEENS1_30default_config_static_selectorELNS0_4arch9wavefront6targetE0EEEvT1_ ; -- Begin function _ZN7rocprim17ROCPRIM_400000_NS6detail17trampoline_kernelINS0_14default_configENS1_20scan_config_selectorIiEEZZNS1_9scan_implILNS1_25lookback_scan_determinismE0ELb0ELb0ES3_N6thrust23THRUST_200600_302600_NS6detail15normal_iteratorINS9_10device_ptrIiEEEESE_iNS9_4plusIvEEiEEDaPvRmT3_T4_T5_mT6_P12ihipStream_tbENKUlT_T0_E_clISt17integral_constantIbLb1EEST_IbLb0EEEEDaSP_SQ_EUlSP_E_NS1_11comp_targetILNS1_3genE10ELNS1_11target_archE1201ELNS1_3gpuE5ELNS1_3repE0EEENS1_30default_config_static_selectorELNS0_4arch9wavefront6targetE0EEEvT1_
	.globl	_ZN7rocprim17ROCPRIM_400000_NS6detail17trampoline_kernelINS0_14default_configENS1_20scan_config_selectorIiEEZZNS1_9scan_implILNS1_25lookback_scan_determinismE0ELb0ELb0ES3_N6thrust23THRUST_200600_302600_NS6detail15normal_iteratorINS9_10device_ptrIiEEEESE_iNS9_4plusIvEEiEEDaPvRmT3_T4_T5_mT6_P12ihipStream_tbENKUlT_T0_E_clISt17integral_constantIbLb1EEST_IbLb0EEEEDaSP_SQ_EUlSP_E_NS1_11comp_targetILNS1_3genE10ELNS1_11target_archE1201ELNS1_3gpuE5ELNS1_3repE0EEENS1_30default_config_static_selectorELNS0_4arch9wavefront6targetE0EEEvT1_
	.p2align	8
	.type	_ZN7rocprim17ROCPRIM_400000_NS6detail17trampoline_kernelINS0_14default_configENS1_20scan_config_selectorIiEEZZNS1_9scan_implILNS1_25lookback_scan_determinismE0ELb0ELb0ES3_N6thrust23THRUST_200600_302600_NS6detail15normal_iteratorINS9_10device_ptrIiEEEESE_iNS9_4plusIvEEiEEDaPvRmT3_T4_T5_mT6_P12ihipStream_tbENKUlT_T0_E_clISt17integral_constantIbLb1EEST_IbLb0EEEEDaSP_SQ_EUlSP_E_NS1_11comp_targetILNS1_3genE10ELNS1_11target_archE1201ELNS1_3gpuE5ELNS1_3repE0EEENS1_30default_config_static_selectorELNS0_4arch9wavefront6targetE0EEEvT1_,@function
_ZN7rocprim17ROCPRIM_400000_NS6detail17trampoline_kernelINS0_14default_configENS1_20scan_config_selectorIiEEZZNS1_9scan_implILNS1_25lookback_scan_determinismE0ELb0ELb0ES3_N6thrust23THRUST_200600_302600_NS6detail15normal_iteratorINS9_10device_ptrIiEEEESE_iNS9_4plusIvEEiEEDaPvRmT3_T4_T5_mT6_P12ihipStream_tbENKUlT_T0_E_clISt17integral_constantIbLb1EEST_IbLb0EEEEDaSP_SQ_EUlSP_E_NS1_11comp_targetILNS1_3genE10ELNS1_11target_archE1201ELNS1_3gpuE5ELNS1_3repE0EEENS1_30default_config_static_selectorELNS0_4arch9wavefront6targetE0EEEvT1_: ; @_ZN7rocprim17ROCPRIM_400000_NS6detail17trampoline_kernelINS0_14default_configENS1_20scan_config_selectorIiEEZZNS1_9scan_implILNS1_25lookback_scan_determinismE0ELb0ELb0ES3_N6thrust23THRUST_200600_302600_NS6detail15normal_iteratorINS9_10device_ptrIiEEEESE_iNS9_4plusIvEEiEEDaPvRmT3_T4_T5_mT6_P12ihipStream_tbENKUlT_T0_E_clISt17integral_constantIbLb1EEST_IbLb0EEEEDaSP_SQ_EUlSP_E_NS1_11comp_targetILNS1_3genE10ELNS1_11target_archE1201ELNS1_3gpuE5ELNS1_3repE0EEENS1_30default_config_static_selectorELNS0_4arch9wavefront6targetE0EEEvT1_
; %bb.0:
	.section	.rodata,"a",@progbits
	.p2align	6, 0x0
	.amdhsa_kernel _ZN7rocprim17ROCPRIM_400000_NS6detail17trampoline_kernelINS0_14default_configENS1_20scan_config_selectorIiEEZZNS1_9scan_implILNS1_25lookback_scan_determinismE0ELb0ELb0ES3_N6thrust23THRUST_200600_302600_NS6detail15normal_iteratorINS9_10device_ptrIiEEEESE_iNS9_4plusIvEEiEEDaPvRmT3_T4_T5_mT6_P12ihipStream_tbENKUlT_T0_E_clISt17integral_constantIbLb1EEST_IbLb0EEEEDaSP_SQ_EUlSP_E_NS1_11comp_targetILNS1_3genE10ELNS1_11target_archE1201ELNS1_3gpuE5ELNS1_3repE0EEENS1_30default_config_static_selectorELNS0_4arch9wavefront6targetE0EEEvT1_
		.amdhsa_group_segment_fixed_size 0
		.amdhsa_private_segment_fixed_size 0
		.amdhsa_kernarg_size 96
		.amdhsa_user_sgpr_count 2
		.amdhsa_user_sgpr_dispatch_ptr 0
		.amdhsa_user_sgpr_queue_ptr 0
		.amdhsa_user_sgpr_kernarg_segment_ptr 1
		.amdhsa_user_sgpr_dispatch_id 0
		.amdhsa_user_sgpr_kernarg_preload_length 0
		.amdhsa_user_sgpr_kernarg_preload_offset 0
		.amdhsa_user_sgpr_private_segment_size 0
		.amdhsa_wavefront_size32 1
		.amdhsa_uses_dynamic_stack 0
		.amdhsa_enable_private_segment 0
		.amdhsa_system_sgpr_workgroup_id_x 1
		.amdhsa_system_sgpr_workgroup_id_y 0
		.amdhsa_system_sgpr_workgroup_id_z 0
		.amdhsa_system_sgpr_workgroup_info 0
		.amdhsa_system_vgpr_workitem_id 0
		.amdhsa_next_free_vgpr 1
		.amdhsa_next_free_sgpr 1
		.amdhsa_named_barrier_count 0
		.amdhsa_reserve_vcc 0
		.amdhsa_float_round_mode_32 0
		.amdhsa_float_round_mode_16_64 0
		.amdhsa_float_denorm_mode_32 3
		.amdhsa_float_denorm_mode_16_64 3
		.amdhsa_fp16_overflow 0
		.amdhsa_memory_ordered 1
		.amdhsa_forward_progress 1
		.amdhsa_inst_pref_size 0
		.amdhsa_round_robin_scheduling 0
		.amdhsa_exception_fp_ieee_invalid_op 0
		.amdhsa_exception_fp_denorm_src 0
		.amdhsa_exception_fp_ieee_div_zero 0
		.amdhsa_exception_fp_ieee_overflow 0
		.amdhsa_exception_fp_ieee_underflow 0
		.amdhsa_exception_fp_ieee_inexact 0
		.amdhsa_exception_int_div_zero 0
	.end_amdhsa_kernel
	.section	.text._ZN7rocprim17ROCPRIM_400000_NS6detail17trampoline_kernelINS0_14default_configENS1_20scan_config_selectorIiEEZZNS1_9scan_implILNS1_25lookback_scan_determinismE0ELb0ELb0ES3_N6thrust23THRUST_200600_302600_NS6detail15normal_iteratorINS9_10device_ptrIiEEEESE_iNS9_4plusIvEEiEEDaPvRmT3_T4_T5_mT6_P12ihipStream_tbENKUlT_T0_E_clISt17integral_constantIbLb1EEST_IbLb0EEEEDaSP_SQ_EUlSP_E_NS1_11comp_targetILNS1_3genE10ELNS1_11target_archE1201ELNS1_3gpuE5ELNS1_3repE0EEENS1_30default_config_static_selectorELNS0_4arch9wavefront6targetE0EEEvT1_,"axG",@progbits,_ZN7rocprim17ROCPRIM_400000_NS6detail17trampoline_kernelINS0_14default_configENS1_20scan_config_selectorIiEEZZNS1_9scan_implILNS1_25lookback_scan_determinismE0ELb0ELb0ES3_N6thrust23THRUST_200600_302600_NS6detail15normal_iteratorINS9_10device_ptrIiEEEESE_iNS9_4plusIvEEiEEDaPvRmT3_T4_T5_mT6_P12ihipStream_tbENKUlT_T0_E_clISt17integral_constantIbLb1EEST_IbLb0EEEEDaSP_SQ_EUlSP_E_NS1_11comp_targetILNS1_3genE10ELNS1_11target_archE1201ELNS1_3gpuE5ELNS1_3repE0EEENS1_30default_config_static_selectorELNS0_4arch9wavefront6targetE0EEEvT1_,comdat
.Lfunc_end52:
	.size	_ZN7rocprim17ROCPRIM_400000_NS6detail17trampoline_kernelINS0_14default_configENS1_20scan_config_selectorIiEEZZNS1_9scan_implILNS1_25lookback_scan_determinismE0ELb0ELb0ES3_N6thrust23THRUST_200600_302600_NS6detail15normal_iteratorINS9_10device_ptrIiEEEESE_iNS9_4plusIvEEiEEDaPvRmT3_T4_T5_mT6_P12ihipStream_tbENKUlT_T0_E_clISt17integral_constantIbLb1EEST_IbLb0EEEEDaSP_SQ_EUlSP_E_NS1_11comp_targetILNS1_3genE10ELNS1_11target_archE1201ELNS1_3gpuE5ELNS1_3repE0EEENS1_30default_config_static_selectorELNS0_4arch9wavefront6targetE0EEEvT1_, .Lfunc_end52-_ZN7rocprim17ROCPRIM_400000_NS6detail17trampoline_kernelINS0_14default_configENS1_20scan_config_selectorIiEEZZNS1_9scan_implILNS1_25lookback_scan_determinismE0ELb0ELb0ES3_N6thrust23THRUST_200600_302600_NS6detail15normal_iteratorINS9_10device_ptrIiEEEESE_iNS9_4plusIvEEiEEDaPvRmT3_T4_T5_mT6_P12ihipStream_tbENKUlT_T0_E_clISt17integral_constantIbLb1EEST_IbLb0EEEEDaSP_SQ_EUlSP_E_NS1_11comp_targetILNS1_3genE10ELNS1_11target_archE1201ELNS1_3gpuE5ELNS1_3repE0EEENS1_30default_config_static_selectorELNS0_4arch9wavefront6targetE0EEEvT1_
                                        ; -- End function
	.set _ZN7rocprim17ROCPRIM_400000_NS6detail17trampoline_kernelINS0_14default_configENS1_20scan_config_selectorIiEEZZNS1_9scan_implILNS1_25lookback_scan_determinismE0ELb0ELb0ES3_N6thrust23THRUST_200600_302600_NS6detail15normal_iteratorINS9_10device_ptrIiEEEESE_iNS9_4plusIvEEiEEDaPvRmT3_T4_T5_mT6_P12ihipStream_tbENKUlT_T0_E_clISt17integral_constantIbLb1EEST_IbLb0EEEEDaSP_SQ_EUlSP_E_NS1_11comp_targetILNS1_3genE10ELNS1_11target_archE1201ELNS1_3gpuE5ELNS1_3repE0EEENS1_30default_config_static_selectorELNS0_4arch9wavefront6targetE0EEEvT1_.num_vgpr, 0
	.set _ZN7rocprim17ROCPRIM_400000_NS6detail17trampoline_kernelINS0_14default_configENS1_20scan_config_selectorIiEEZZNS1_9scan_implILNS1_25lookback_scan_determinismE0ELb0ELb0ES3_N6thrust23THRUST_200600_302600_NS6detail15normal_iteratorINS9_10device_ptrIiEEEESE_iNS9_4plusIvEEiEEDaPvRmT3_T4_T5_mT6_P12ihipStream_tbENKUlT_T0_E_clISt17integral_constantIbLb1EEST_IbLb0EEEEDaSP_SQ_EUlSP_E_NS1_11comp_targetILNS1_3genE10ELNS1_11target_archE1201ELNS1_3gpuE5ELNS1_3repE0EEENS1_30default_config_static_selectorELNS0_4arch9wavefront6targetE0EEEvT1_.num_agpr, 0
	.set _ZN7rocprim17ROCPRIM_400000_NS6detail17trampoline_kernelINS0_14default_configENS1_20scan_config_selectorIiEEZZNS1_9scan_implILNS1_25lookback_scan_determinismE0ELb0ELb0ES3_N6thrust23THRUST_200600_302600_NS6detail15normal_iteratorINS9_10device_ptrIiEEEESE_iNS9_4plusIvEEiEEDaPvRmT3_T4_T5_mT6_P12ihipStream_tbENKUlT_T0_E_clISt17integral_constantIbLb1EEST_IbLb0EEEEDaSP_SQ_EUlSP_E_NS1_11comp_targetILNS1_3genE10ELNS1_11target_archE1201ELNS1_3gpuE5ELNS1_3repE0EEENS1_30default_config_static_selectorELNS0_4arch9wavefront6targetE0EEEvT1_.numbered_sgpr, 0
	.set _ZN7rocprim17ROCPRIM_400000_NS6detail17trampoline_kernelINS0_14default_configENS1_20scan_config_selectorIiEEZZNS1_9scan_implILNS1_25lookback_scan_determinismE0ELb0ELb0ES3_N6thrust23THRUST_200600_302600_NS6detail15normal_iteratorINS9_10device_ptrIiEEEESE_iNS9_4plusIvEEiEEDaPvRmT3_T4_T5_mT6_P12ihipStream_tbENKUlT_T0_E_clISt17integral_constantIbLb1EEST_IbLb0EEEEDaSP_SQ_EUlSP_E_NS1_11comp_targetILNS1_3genE10ELNS1_11target_archE1201ELNS1_3gpuE5ELNS1_3repE0EEENS1_30default_config_static_selectorELNS0_4arch9wavefront6targetE0EEEvT1_.num_named_barrier, 0
	.set _ZN7rocprim17ROCPRIM_400000_NS6detail17trampoline_kernelINS0_14default_configENS1_20scan_config_selectorIiEEZZNS1_9scan_implILNS1_25lookback_scan_determinismE0ELb0ELb0ES3_N6thrust23THRUST_200600_302600_NS6detail15normal_iteratorINS9_10device_ptrIiEEEESE_iNS9_4plusIvEEiEEDaPvRmT3_T4_T5_mT6_P12ihipStream_tbENKUlT_T0_E_clISt17integral_constantIbLb1EEST_IbLb0EEEEDaSP_SQ_EUlSP_E_NS1_11comp_targetILNS1_3genE10ELNS1_11target_archE1201ELNS1_3gpuE5ELNS1_3repE0EEENS1_30default_config_static_selectorELNS0_4arch9wavefront6targetE0EEEvT1_.private_seg_size, 0
	.set _ZN7rocprim17ROCPRIM_400000_NS6detail17trampoline_kernelINS0_14default_configENS1_20scan_config_selectorIiEEZZNS1_9scan_implILNS1_25lookback_scan_determinismE0ELb0ELb0ES3_N6thrust23THRUST_200600_302600_NS6detail15normal_iteratorINS9_10device_ptrIiEEEESE_iNS9_4plusIvEEiEEDaPvRmT3_T4_T5_mT6_P12ihipStream_tbENKUlT_T0_E_clISt17integral_constantIbLb1EEST_IbLb0EEEEDaSP_SQ_EUlSP_E_NS1_11comp_targetILNS1_3genE10ELNS1_11target_archE1201ELNS1_3gpuE5ELNS1_3repE0EEENS1_30default_config_static_selectorELNS0_4arch9wavefront6targetE0EEEvT1_.uses_vcc, 0
	.set _ZN7rocprim17ROCPRIM_400000_NS6detail17trampoline_kernelINS0_14default_configENS1_20scan_config_selectorIiEEZZNS1_9scan_implILNS1_25lookback_scan_determinismE0ELb0ELb0ES3_N6thrust23THRUST_200600_302600_NS6detail15normal_iteratorINS9_10device_ptrIiEEEESE_iNS9_4plusIvEEiEEDaPvRmT3_T4_T5_mT6_P12ihipStream_tbENKUlT_T0_E_clISt17integral_constantIbLb1EEST_IbLb0EEEEDaSP_SQ_EUlSP_E_NS1_11comp_targetILNS1_3genE10ELNS1_11target_archE1201ELNS1_3gpuE5ELNS1_3repE0EEENS1_30default_config_static_selectorELNS0_4arch9wavefront6targetE0EEEvT1_.uses_flat_scratch, 0
	.set _ZN7rocprim17ROCPRIM_400000_NS6detail17trampoline_kernelINS0_14default_configENS1_20scan_config_selectorIiEEZZNS1_9scan_implILNS1_25lookback_scan_determinismE0ELb0ELb0ES3_N6thrust23THRUST_200600_302600_NS6detail15normal_iteratorINS9_10device_ptrIiEEEESE_iNS9_4plusIvEEiEEDaPvRmT3_T4_T5_mT6_P12ihipStream_tbENKUlT_T0_E_clISt17integral_constantIbLb1EEST_IbLb0EEEEDaSP_SQ_EUlSP_E_NS1_11comp_targetILNS1_3genE10ELNS1_11target_archE1201ELNS1_3gpuE5ELNS1_3repE0EEENS1_30default_config_static_selectorELNS0_4arch9wavefront6targetE0EEEvT1_.has_dyn_sized_stack, 0
	.set _ZN7rocprim17ROCPRIM_400000_NS6detail17trampoline_kernelINS0_14default_configENS1_20scan_config_selectorIiEEZZNS1_9scan_implILNS1_25lookback_scan_determinismE0ELb0ELb0ES3_N6thrust23THRUST_200600_302600_NS6detail15normal_iteratorINS9_10device_ptrIiEEEESE_iNS9_4plusIvEEiEEDaPvRmT3_T4_T5_mT6_P12ihipStream_tbENKUlT_T0_E_clISt17integral_constantIbLb1EEST_IbLb0EEEEDaSP_SQ_EUlSP_E_NS1_11comp_targetILNS1_3genE10ELNS1_11target_archE1201ELNS1_3gpuE5ELNS1_3repE0EEENS1_30default_config_static_selectorELNS0_4arch9wavefront6targetE0EEEvT1_.has_recursion, 0
	.set _ZN7rocprim17ROCPRIM_400000_NS6detail17trampoline_kernelINS0_14default_configENS1_20scan_config_selectorIiEEZZNS1_9scan_implILNS1_25lookback_scan_determinismE0ELb0ELb0ES3_N6thrust23THRUST_200600_302600_NS6detail15normal_iteratorINS9_10device_ptrIiEEEESE_iNS9_4plusIvEEiEEDaPvRmT3_T4_T5_mT6_P12ihipStream_tbENKUlT_T0_E_clISt17integral_constantIbLb1EEST_IbLb0EEEEDaSP_SQ_EUlSP_E_NS1_11comp_targetILNS1_3genE10ELNS1_11target_archE1201ELNS1_3gpuE5ELNS1_3repE0EEENS1_30default_config_static_selectorELNS0_4arch9wavefront6targetE0EEEvT1_.has_indirect_call, 0
	.section	.AMDGPU.csdata,"",@progbits
; Kernel info:
; codeLenInByte = 0
; TotalNumSgprs: 0
; NumVgprs: 0
; ScratchSize: 0
; MemoryBound: 0
; FloatMode: 240
; IeeeMode: 1
; LDSByteSize: 0 bytes/workgroup (compile time only)
; SGPRBlocks: 0
; VGPRBlocks: 0
; NumSGPRsForWavesPerEU: 1
; NumVGPRsForWavesPerEU: 1
; NamedBarCnt: 0
; Occupancy: 16
; WaveLimiterHint : 0
; COMPUTE_PGM_RSRC2:SCRATCH_EN: 0
; COMPUTE_PGM_RSRC2:USER_SGPR: 2
; COMPUTE_PGM_RSRC2:TRAP_HANDLER: 0
; COMPUTE_PGM_RSRC2:TGID_X_EN: 1
; COMPUTE_PGM_RSRC2:TGID_Y_EN: 0
; COMPUTE_PGM_RSRC2:TGID_Z_EN: 0
; COMPUTE_PGM_RSRC2:TIDIG_COMP_CNT: 0
	.section	.text._ZN7rocprim17ROCPRIM_400000_NS6detail17trampoline_kernelINS0_14default_configENS1_20scan_config_selectorIiEEZZNS1_9scan_implILNS1_25lookback_scan_determinismE0ELb0ELb0ES3_N6thrust23THRUST_200600_302600_NS6detail15normal_iteratorINS9_10device_ptrIiEEEESE_iNS9_4plusIvEEiEEDaPvRmT3_T4_T5_mT6_P12ihipStream_tbENKUlT_T0_E_clISt17integral_constantIbLb1EEST_IbLb0EEEEDaSP_SQ_EUlSP_E_NS1_11comp_targetILNS1_3genE10ELNS1_11target_archE1200ELNS1_3gpuE4ELNS1_3repE0EEENS1_30default_config_static_selectorELNS0_4arch9wavefront6targetE0EEEvT1_,"axG",@progbits,_ZN7rocprim17ROCPRIM_400000_NS6detail17trampoline_kernelINS0_14default_configENS1_20scan_config_selectorIiEEZZNS1_9scan_implILNS1_25lookback_scan_determinismE0ELb0ELb0ES3_N6thrust23THRUST_200600_302600_NS6detail15normal_iteratorINS9_10device_ptrIiEEEESE_iNS9_4plusIvEEiEEDaPvRmT3_T4_T5_mT6_P12ihipStream_tbENKUlT_T0_E_clISt17integral_constantIbLb1EEST_IbLb0EEEEDaSP_SQ_EUlSP_E_NS1_11comp_targetILNS1_3genE10ELNS1_11target_archE1200ELNS1_3gpuE4ELNS1_3repE0EEENS1_30default_config_static_selectorELNS0_4arch9wavefront6targetE0EEEvT1_,comdat
	.protected	_ZN7rocprim17ROCPRIM_400000_NS6detail17trampoline_kernelINS0_14default_configENS1_20scan_config_selectorIiEEZZNS1_9scan_implILNS1_25lookback_scan_determinismE0ELb0ELb0ES3_N6thrust23THRUST_200600_302600_NS6detail15normal_iteratorINS9_10device_ptrIiEEEESE_iNS9_4plusIvEEiEEDaPvRmT3_T4_T5_mT6_P12ihipStream_tbENKUlT_T0_E_clISt17integral_constantIbLb1EEST_IbLb0EEEEDaSP_SQ_EUlSP_E_NS1_11comp_targetILNS1_3genE10ELNS1_11target_archE1200ELNS1_3gpuE4ELNS1_3repE0EEENS1_30default_config_static_selectorELNS0_4arch9wavefront6targetE0EEEvT1_ ; -- Begin function _ZN7rocprim17ROCPRIM_400000_NS6detail17trampoline_kernelINS0_14default_configENS1_20scan_config_selectorIiEEZZNS1_9scan_implILNS1_25lookback_scan_determinismE0ELb0ELb0ES3_N6thrust23THRUST_200600_302600_NS6detail15normal_iteratorINS9_10device_ptrIiEEEESE_iNS9_4plusIvEEiEEDaPvRmT3_T4_T5_mT6_P12ihipStream_tbENKUlT_T0_E_clISt17integral_constantIbLb1EEST_IbLb0EEEEDaSP_SQ_EUlSP_E_NS1_11comp_targetILNS1_3genE10ELNS1_11target_archE1200ELNS1_3gpuE4ELNS1_3repE0EEENS1_30default_config_static_selectorELNS0_4arch9wavefront6targetE0EEEvT1_
	.globl	_ZN7rocprim17ROCPRIM_400000_NS6detail17trampoline_kernelINS0_14default_configENS1_20scan_config_selectorIiEEZZNS1_9scan_implILNS1_25lookback_scan_determinismE0ELb0ELb0ES3_N6thrust23THRUST_200600_302600_NS6detail15normal_iteratorINS9_10device_ptrIiEEEESE_iNS9_4plusIvEEiEEDaPvRmT3_T4_T5_mT6_P12ihipStream_tbENKUlT_T0_E_clISt17integral_constantIbLb1EEST_IbLb0EEEEDaSP_SQ_EUlSP_E_NS1_11comp_targetILNS1_3genE10ELNS1_11target_archE1200ELNS1_3gpuE4ELNS1_3repE0EEENS1_30default_config_static_selectorELNS0_4arch9wavefront6targetE0EEEvT1_
	.p2align	8
	.type	_ZN7rocprim17ROCPRIM_400000_NS6detail17trampoline_kernelINS0_14default_configENS1_20scan_config_selectorIiEEZZNS1_9scan_implILNS1_25lookback_scan_determinismE0ELb0ELb0ES3_N6thrust23THRUST_200600_302600_NS6detail15normal_iteratorINS9_10device_ptrIiEEEESE_iNS9_4plusIvEEiEEDaPvRmT3_T4_T5_mT6_P12ihipStream_tbENKUlT_T0_E_clISt17integral_constantIbLb1EEST_IbLb0EEEEDaSP_SQ_EUlSP_E_NS1_11comp_targetILNS1_3genE10ELNS1_11target_archE1200ELNS1_3gpuE4ELNS1_3repE0EEENS1_30default_config_static_selectorELNS0_4arch9wavefront6targetE0EEEvT1_,@function
_ZN7rocprim17ROCPRIM_400000_NS6detail17trampoline_kernelINS0_14default_configENS1_20scan_config_selectorIiEEZZNS1_9scan_implILNS1_25lookback_scan_determinismE0ELb0ELb0ES3_N6thrust23THRUST_200600_302600_NS6detail15normal_iteratorINS9_10device_ptrIiEEEESE_iNS9_4plusIvEEiEEDaPvRmT3_T4_T5_mT6_P12ihipStream_tbENKUlT_T0_E_clISt17integral_constantIbLb1EEST_IbLb0EEEEDaSP_SQ_EUlSP_E_NS1_11comp_targetILNS1_3genE10ELNS1_11target_archE1200ELNS1_3gpuE4ELNS1_3repE0EEENS1_30default_config_static_selectorELNS0_4arch9wavefront6targetE0EEEvT1_: ; @_ZN7rocprim17ROCPRIM_400000_NS6detail17trampoline_kernelINS0_14default_configENS1_20scan_config_selectorIiEEZZNS1_9scan_implILNS1_25lookback_scan_determinismE0ELb0ELb0ES3_N6thrust23THRUST_200600_302600_NS6detail15normal_iteratorINS9_10device_ptrIiEEEESE_iNS9_4plusIvEEiEEDaPvRmT3_T4_T5_mT6_P12ihipStream_tbENKUlT_T0_E_clISt17integral_constantIbLb1EEST_IbLb0EEEEDaSP_SQ_EUlSP_E_NS1_11comp_targetILNS1_3genE10ELNS1_11target_archE1200ELNS1_3gpuE4ELNS1_3repE0EEENS1_30default_config_static_selectorELNS0_4arch9wavefront6targetE0EEEvT1_
; %bb.0:
	.section	.rodata,"a",@progbits
	.p2align	6, 0x0
	.amdhsa_kernel _ZN7rocprim17ROCPRIM_400000_NS6detail17trampoline_kernelINS0_14default_configENS1_20scan_config_selectorIiEEZZNS1_9scan_implILNS1_25lookback_scan_determinismE0ELb0ELb0ES3_N6thrust23THRUST_200600_302600_NS6detail15normal_iteratorINS9_10device_ptrIiEEEESE_iNS9_4plusIvEEiEEDaPvRmT3_T4_T5_mT6_P12ihipStream_tbENKUlT_T0_E_clISt17integral_constantIbLb1EEST_IbLb0EEEEDaSP_SQ_EUlSP_E_NS1_11comp_targetILNS1_3genE10ELNS1_11target_archE1200ELNS1_3gpuE4ELNS1_3repE0EEENS1_30default_config_static_selectorELNS0_4arch9wavefront6targetE0EEEvT1_
		.amdhsa_group_segment_fixed_size 0
		.amdhsa_private_segment_fixed_size 0
		.amdhsa_kernarg_size 96
		.amdhsa_user_sgpr_count 2
		.amdhsa_user_sgpr_dispatch_ptr 0
		.amdhsa_user_sgpr_queue_ptr 0
		.amdhsa_user_sgpr_kernarg_segment_ptr 1
		.amdhsa_user_sgpr_dispatch_id 0
		.amdhsa_user_sgpr_kernarg_preload_length 0
		.amdhsa_user_sgpr_kernarg_preload_offset 0
		.amdhsa_user_sgpr_private_segment_size 0
		.amdhsa_wavefront_size32 1
		.amdhsa_uses_dynamic_stack 0
		.amdhsa_enable_private_segment 0
		.amdhsa_system_sgpr_workgroup_id_x 1
		.amdhsa_system_sgpr_workgroup_id_y 0
		.amdhsa_system_sgpr_workgroup_id_z 0
		.amdhsa_system_sgpr_workgroup_info 0
		.amdhsa_system_vgpr_workitem_id 0
		.amdhsa_next_free_vgpr 1
		.amdhsa_next_free_sgpr 1
		.amdhsa_named_barrier_count 0
		.amdhsa_reserve_vcc 0
		.amdhsa_float_round_mode_32 0
		.amdhsa_float_round_mode_16_64 0
		.amdhsa_float_denorm_mode_32 3
		.amdhsa_float_denorm_mode_16_64 3
		.amdhsa_fp16_overflow 0
		.amdhsa_memory_ordered 1
		.amdhsa_forward_progress 1
		.amdhsa_inst_pref_size 0
		.amdhsa_round_robin_scheduling 0
		.amdhsa_exception_fp_ieee_invalid_op 0
		.amdhsa_exception_fp_denorm_src 0
		.amdhsa_exception_fp_ieee_div_zero 0
		.amdhsa_exception_fp_ieee_overflow 0
		.amdhsa_exception_fp_ieee_underflow 0
		.amdhsa_exception_fp_ieee_inexact 0
		.amdhsa_exception_int_div_zero 0
	.end_amdhsa_kernel
	.section	.text._ZN7rocprim17ROCPRIM_400000_NS6detail17trampoline_kernelINS0_14default_configENS1_20scan_config_selectorIiEEZZNS1_9scan_implILNS1_25lookback_scan_determinismE0ELb0ELb0ES3_N6thrust23THRUST_200600_302600_NS6detail15normal_iteratorINS9_10device_ptrIiEEEESE_iNS9_4plusIvEEiEEDaPvRmT3_T4_T5_mT6_P12ihipStream_tbENKUlT_T0_E_clISt17integral_constantIbLb1EEST_IbLb0EEEEDaSP_SQ_EUlSP_E_NS1_11comp_targetILNS1_3genE10ELNS1_11target_archE1200ELNS1_3gpuE4ELNS1_3repE0EEENS1_30default_config_static_selectorELNS0_4arch9wavefront6targetE0EEEvT1_,"axG",@progbits,_ZN7rocprim17ROCPRIM_400000_NS6detail17trampoline_kernelINS0_14default_configENS1_20scan_config_selectorIiEEZZNS1_9scan_implILNS1_25lookback_scan_determinismE0ELb0ELb0ES3_N6thrust23THRUST_200600_302600_NS6detail15normal_iteratorINS9_10device_ptrIiEEEESE_iNS9_4plusIvEEiEEDaPvRmT3_T4_T5_mT6_P12ihipStream_tbENKUlT_T0_E_clISt17integral_constantIbLb1EEST_IbLb0EEEEDaSP_SQ_EUlSP_E_NS1_11comp_targetILNS1_3genE10ELNS1_11target_archE1200ELNS1_3gpuE4ELNS1_3repE0EEENS1_30default_config_static_selectorELNS0_4arch9wavefront6targetE0EEEvT1_,comdat
.Lfunc_end53:
	.size	_ZN7rocprim17ROCPRIM_400000_NS6detail17trampoline_kernelINS0_14default_configENS1_20scan_config_selectorIiEEZZNS1_9scan_implILNS1_25lookback_scan_determinismE0ELb0ELb0ES3_N6thrust23THRUST_200600_302600_NS6detail15normal_iteratorINS9_10device_ptrIiEEEESE_iNS9_4plusIvEEiEEDaPvRmT3_T4_T5_mT6_P12ihipStream_tbENKUlT_T0_E_clISt17integral_constantIbLb1EEST_IbLb0EEEEDaSP_SQ_EUlSP_E_NS1_11comp_targetILNS1_3genE10ELNS1_11target_archE1200ELNS1_3gpuE4ELNS1_3repE0EEENS1_30default_config_static_selectorELNS0_4arch9wavefront6targetE0EEEvT1_, .Lfunc_end53-_ZN7rocprim17ROCPRIM_400000_NS6detail17trampoline_kernelINS0_14default_configENS1_20scan_config_selectorIiEEZZNS1_9scan_implILNS1_25lookback_scan_determinismE0ELb0ELb0ES3_N6thrust23THRUST_200600_302600_NS6detail15normal_iteratorINS9_10device_ptrIiEEEESE_iNS9_4plusIvEEiEEDaPvRmT3_T4_T5_mT6_P12ihipStream_tbENKUlT_T0_E_clISt17integral_constantIbLb1EEST_IbLb0EEEEDaSP_SQ_EUlSP_E_NS1_11comp_targetILNS1_3genE10ELNS1_11target_archE1200ELNS1_3gpuE4ELNS1_3repE0EEENS1_30default_config_static_selectorELNS0_4arch9wavefront6targetE0EEEvT1_
                                        ; -- End function
	.set _ZN7rocprim17ROCPRIM_400000_NS6detail17trampoline_kernelINS0_14default_configENS1_20scan_config_selectorIiEEZZNS1_9scan_implILNS1_25lookback_scan_determinismE0ELb0ELb0ES3_N6thrust23THRUST_200600_302600_NS6detail15normal_iteratorINS9_10device_ptrIiEEEESE_iNS9_4plusIvEEiEEDaPvRmT3_T4_T5_mT6_P12ihipStream_tbENKUlT_T0_E_clISt17integral_constantIbLb1EEST_IbLb0EEEEDaSP_SQ_EUlSP_E_NS1_11comp_targetILNS1_3genE10ELNS1_11target_archE1200ELNS1_3gpuE4ELNS1_3repE0EEENS1_30default_config_static_selectorELNS0_4arch9wavefront6targetE0EEEvT1_.num_vgpr, 0
	.set _ZN7rocprim17ROCPRIM_400000_NS6detail17trampoline_kernelINS0_14default_configENS1_20scan_config_selectorIiEEZZNS1_9scan_implILNS1_25lookback_scan_determinismE0ELb0ELb0ES3_N6thrust23THRUST_200600_302600_NS6detail15normal_iteratorINS9_10device_ptrIiEEEESE_iNS9_4plusIvEEiEEDaPvRmT3_T4_T5_mT6_P12ihipStream_tbENKUlT_T0_E_clISt17integral_constantIbLb1EEST_IbLb0EEEEDaSP_SQ_EUlSP_E_NS1_11comp_targetILNS1_3genE10ELNS1_11target_archE1200ELNS1_3gpuE4ELNS1_3repE0EEENS1_30default_config_static_selectorELNS0_4arch9wavefront6targetE0EEEvT1_.num_agpr, 0
	.set _ZN7rocprim17ROCPRIM_400000_NS6detail17trampoline_kernelINS0_14default_configENS1_20scan_config_selectorIiEEZZNS1_9scan_implILNS1_25lookback_scan_determinismE0ELb0ELb0ES3_N6thrust23THRUST_200600_302600_NS6detail15normal_iteratorINS9_10device_ptrIiEEEESE_iNS9_4plusIvEEiEEDaPvRmT3_T4_T5_mT6_P12ihipStream_tbENKUlT_T0_E_clISt17integral_constantIbLb1EEST_IbLb0EEEEDaSP_SQ_EUlSP_E_NS1_11comp_targetILNS1_3genE10ELNS1_11target_archE1200ELNS1_3gpuE4ELNS1_3repE0EEENS1_30default_config_static_selectorELNS0_4arch9wavefront6targetE0EEEvT1_.numbered_sgpr, 0
	.set _ZN7rocprim17ROCPRIM_400000_NS6detail17trampoline_kernelINS0_14default_configENS1_20scan_config_selectorIiEEZZNS1_9scan_implILNS1_25lookback_scan_determinismE0ELb0ELb0ES3_N6thrust23THRUST_200600_302600_NS6detail15normal_iteratorINS9_10device_ptrIiEEEESE_iNS9_4plusIvEEiEEDaPvRmT3_T4_T5_mT6_P12ihipStream_tbENKUlT_T0_E_clISt17integral_constantIbLb1EEST_IbLb0EEEEDaSP_SQ_EUlSP_E_NS1_11comp_targetILNS1_3genE10ELNS1_11target_archE1200ELNS1_3gpuE4ELNS1_3repE0EEENS1_30default_config_static_selectorELNS0_4arch9wavefront6targetE0EEEvT1_.num_named_barrier, 0
	.set _ZN7rocprim17ROCPRIM_400000_NS6detail17trampoline_kernelINS0_14default_configENS1_20scan_config_selectorIiEEZZNS1_9scan_implILNS1_25lookback_scan_determinismE0ELb0ELb0ES3_N6thrust23THRUST_200600_302600_NS6detail15normal_iteratorINS9_10device_ptrIiEEEESE_iNS9_4plusIvEEiEEDaPvRmT3_T4_T5_mT6_P12ihipStream_tbENKUlT_T0_E_clISt17integral_constantIbLb1EEST_IbLb0EEEEDaSP_SQ_EUlSP_E_NS1_11comp_targetILNS1_3genE10ELNS1_11target_archE1200ELNS1_3gpuE4ELNS1_3repE0EEENS1_30default_config_static_selectorELNS0_4arch9wavefront6targetE0EEEvT1_.private_seg_size, 0
	.set _ZN7rocprim17ROCPRIM_400000_NS6detail17trampoline_kernelINS0_14default_configENS1_20scan_config_selectorIiEEZZNS1_9scan_implILNS1_25lookback_scan_determinismE0ELb0ELb0ES3_N6thrust23THRUST_200600_302600_NS6detail15normal_iteratorINS9_10device_ptrIiEEEESE_iNS9_4plusIvEEiEEDaPvRmT3_T4_T5_mT6_P12ihipStream_tbENKUlT_T0_E_clISt17integral_constantIbLb1EEST_IbLb0EEEEDaSP_SQ_EUlSP_E_NS1_11comp_targetILNS1_3genE10ELNS1_11target_archE1200ELNS1_3gpuE4ELNS1_3repE0EEENS1_30default_config_static_selectorELNS0_4arch9wavefront6targetE0EEEvT1_.uses_vcc, 0
	.set _ZN7rocprim17ROCPRIM_400000_NS6detail17trampoline_kernelINS0_14default_configENS1_20scan_config_selectorIiEEZZNS1_9scan_implILNS1_25lookback_scan_determinismE0ELb0ELb0ES3_N6thrust23THRUST_200600_302600_NS6detail15normal_iteratorINS9_10device_ptrIiEEEESE_iNS9_4plusIvEEiEEDaPvRmT3_T4_T5_mT6_P12ihipStream_tbENKUlT_T0_E_clISt17integral_constantIbLb1EEST_IbLb0EEEEDaSP_SQ_EUlSP_E_NS1_11comp_targetILNS1_3genE10ELNS1_11target_archE1200ELNS1_3gpuE4ELNS1_3repE0EEENS1_30default_config_static_selectorELNS0_4arch9wavefront6targetE0EEEvT1_.uses_flat_scratch, 0
	.set _ZN7rocprim17ROCPRIM_400000_NS6detail17trampoline_kernelINS0_14default_configENS1_20scan_config_selectorIiEEZZNS1_9scan_implILNS1_25lookback_scan_determinismE0ELb0ELb0ES3_N6thrust23THRUST_200600_302600_NS6detail15normal_iteratorINS9_10device_ptrIiEEEESE_iNS9_4plusIvEEiEEDaPvRmT3_T4_T5_mT6_P12ihipStream_tbENKUlT_T0_E_clISt17integral_constantIbLb1EEST_IbLb0EEEEDaSP_SQ_EUlSP_E_NS1_11comp_targetILNS1_3genE10ELNS1_11target_archE1200ELNS1_3gpuE4ELNS1_3repE0EEENS1_30default_config_static_selectorELNS0_4arch9wavefront6targetE0EEEvT1_.has_dyn_sized_stack, 0
	.set _ZN7rocprim17ROCPRIM_400000_NS6detail17trampoline_kernelINS0_14default_configENS1_20scan_config_selectorIiEEZZNS1_9scan_implILNS1_25lookback_scan_determinismE0ELb0ELb0ES3_N6thrust23THRUST_200600_302600_NS6detail15normal_iteratorINS9_10device_ptrIiEEEESE_iNS9_4plusIvEEiEEDaPvRmT3_T4_T5_mT6_P12ihipStream_tbENKUlT_T0_E_clISt17integral_constantIbLb1EEST_IbLb0EEEEDaSP_SQ_EUlSP_E_NS1_11comp_targetILNS1_3genE10ELNS1_11target_archE1200ELNS1_3gpuE4ELNS1_3repE0EEENS1_30default_config_static_selectorELNS0_4arch9wavefront6targetE0EEEvT1_.has_recursion, 0
	.set _ZN7rocprim17ROCPRIM_400000_NS6detail17trampoline_kernelINS0_14default_configENS1_20scan_config_selectorIiEEZZNS1_9scan_implILNS1_25lookback_scan_determinismE0ELb0ELb0ES3_N6thrust23THRUST_200600_302600_NS6detail15normal_iteratorINS9_10device_ptrIiEEEESE_iNS9_4plusIvEEiEEDaPvRmT3_T4_T5_mT6_P12ihipStream_tbENKUlT_T0_E_clISt17integral_constantIbLb1EEST_IbLb0EEEEDaSP_SQ_EUlSP_E_NS1_11comp_targetILNS1_3genE10ELNS1_11target_archE1200ELNS1_3gpuE4ELNS1_3repE0EEENS1_30default_config_static_selectorELNS0_4arch9wavefront6targetE0EEEvT1_.has_indirect_call, 0
	.section	.AMDGPU.csdata,"",@progbits
; Kernel info:
; codeLenInByte = 0
; TotalNumSgprs: 0
; NumVgprs: 0
; ScratchSize: 0
; MemoryBound: 0
; FloatMode: 240
; IeeeMode: 1
; LDSByteSize: 0 bytes/workgroup (compile time only)
; SGPRBlocks: 0
; VGPRBlocks: 0
; NumSGPRsForWavesPerEU: 1
; NumVGPRsForWavesPerEU: 1
; NamedBarCnt: 0
; Occupancy: 16
; WaveLimiterHint : 0
; COMPUTE_PGM_RSRC2:SCRATCH_EN: 0
; COMPUTE_PGM_RSRC2:USER_SGPR: 2
; COMPUTE_PGM_RSRC2:TRAP_HANDLER: 0
; COMPUTE_PGM_RSRC2:TGID_X_EN: 1
; COMPUTE_PGM_RSRC2:TGID_Y_EN: 0
; COMPUTE_PGM_RSRC2:TGID_Z_EN: 0
; COMPUTE_PGM_RSRC2:TIDIG_COMP_CNT: 0
	.section	.text._ZN7rocprim17ROCPRIM_400000_NS6detail17trampoline_kernelINS0_14default_configENS1_20scan_config_selectorIiEEZZNS1_9scan_implILNS1_25lookback_scan_determinismE0ELb0ELb0ES3_N6thrust23THRUST_200600_302600_NS6detail15normal_iteratorINS9_10device_ptrIiEEEESE_iNS9_4plusIvEEiEEDaPvRmT3_T4_T5_mT6_P12ihipStream_tbENKUlT_T0_E_clISt17integral_constantIbLb1EEST_IbLb0EEEEDaSP_SQ_EUlSP_E_NS1_11comp_targetILNS1_3genE9ELNS1_11target_archE1100ELNS1_3gpuE3ELNS1_3repE0EEENS1_30default_config_static_selectorELNS0_4arch9wavefront6targetE0EEEvT1_,"axG",@progbits,_ZN7rocprim17ROCPRIM_400000_NS6detail17trampoline_kernelINS0_14default_configENS1_20scan_config_selectorIiEEZZNS1_9scan_implILNS1_25lookback_scan_determinismE0ELb0ELb0ES3_N6thrust23THRUST_200600_302600_NS6detail15normal_iteratorINS9_10device_ptrIiEEEESE_iNS9_4plusIvEEiEEDaPvRmT3_T4_T5_mT6_P12ihipStream_tbENKUlT_T0_E_clISt17integral_constantIbLb1EEST_IbLb0EEEEDaSP_SQ_EUlSP_E_NS1_11comp_targetILNS1_3genE9ELNS1_11target_archE1100ELNS1_3gpuE3ELNS1_3repE0EEENS1_30default_config_static_selectorELNS0_4arch9wavefront6targetE0EEEvT1_,comdat
	.protected	_ZN7rocprim17ROCPRIM_400000_NS6detail17trampoline_kernelINS0_14default_configENS1_20scan_config_selectorIiEEZZNS1_9scan_implILNS1_25lookback_scan_determinismE0ELb0ELb0ES3_N6thrust23THRUST_200600_302600_NS6detail15normal_iteratorINS9_10device_ptrIiEEEESE_iNS9_4plusIvEEiEEDaPvRmT3_T4_T5_mT6_P12ihipStream_tbENKUlT_T0_E_clISt17integral_constantIbLb1EEST_IbLb0EEEEDaSP_SQ_EUlSP_E_NS1_11comp_targetILNS1_3genE9ELNS1_11target_archE1100ELNS1_3gpuE3ELNS1_3repE0EEENS1_30default_config_static_selectorELNS0_4arch9wavefront6targetE0EEEvT1_ ; -- Begin function _ZN7rocprim17ROCPRIM_400000_NS6detail17trampoline_kernelINS0_14default_configENS1_20scan_config_selectorIiEEZZNS1_9scan_implILNS1_25lookback_scan_determinismE0ELb0ELb0ES3_N6thrust23THRUST_200600_302600_NS6detail15normal_iteratorINS9_10device_ptrIiEEEESE_iNS9_4plusIvEEiEEDaPvRmT3_T4_T5_mT6_P12ihipStream_tbENKUlT_T0_E_clISt17integral_constantIbLb1EEST_IbLb0EEEEDaSP_SQ_EUlSP_E_NS1_11comp_targetILNS1_3genE9ELNS1_11target_archE1100ELNS1_3gpuE3ELNS1_3repE0EEENS1_30default_config_static_selectorELNS0_4arch9wavefront6targetE0EEEvT1_
	.globl	_ZN7rocprim17ROCPRIM_400000_NS6detail17trampoline_kernelINS0_14default_configENS1_20scan_config_selectorIiEEZZNS1_9scan_implILNS1_25lookback_scan_determinismE0ELb0ELb0ES3_N6thrust23THRUST_200600_302600_NS6detail15normal_iteratorINS9_10device_ptrIiEEEESE_iNS9_4plusIvEEiEEDaPvRmT3_T4_T5_mT6_P12ihipStream_tbENKUlT_T0_E_clISt17integral_constantIbLb1EEST_IbLb0EEEEDaSP_SQ_EUlSP_E_NS1_11comp_targetILNS1_3genE9ELNS1_11target_archE1100ELNS1_3gpuE3ELNS1_3repE0EEENS1_30default_config_static_selectorELNS0_4arch9wavefront6targetE0EEEvT1_
	.p2align	8
	.type	_ZN7rocprim17ROCPRIM_400000_NS6detail17trampoline_kernelINS0_14default_configENS1_20scan_config_selectorIiEEZZNS1_9scan_implILNS1_25lookback_scan_determinismE0ELb0ELb0ES3_N6thrust23THRUST_200600_302600_NS6detail15normal_iteratorINS9_10device_ptrIiEEEESE_iNS9_4plusIvEEiEEDaPvRmT3_T4_T5_mT6_P12ihipStream_tbENKUlT_T0_E_clISt17integral_constantIbLb1EEST_IbLb0EEEEDaSP_SQ_EUlSP_E_NS1_11comp_targetILNS1_3genE9ELNS1_11target_archE1100ELNS1_3gpuE3ELNS1_3repE0EEENS1_30default_config_static_selectorELNS0_4arch9wavefront6targetE0EEEvT1_,@function
_ZN7rocprim17ROCPRIM_400000_NS6detail17trampoline_kernelINS0_14default_configENS1_20scan_config_selectorIiEEZZNS1_9scan_implILNS1_25lookback_scan_determinismE0ELb0ELb0ES3_N6thrust23THRUST_200600_302600_NS6detail15normal_iteratorINS9_10device_ptrIiEEEESE_iNS9_4plusIvEEiEEDaPvRmT3_T4_T5_mT6_P12ihipStream_tbENKUlT_T0_E_clISt17integral_constantIbLb1EEST_IbLb0EEEEDaSP_SQ_EUlSP_E_NS1_11comp_targetILNS1_3genE9ELNS1_11target_archE1100ELNS1_3gpuE3ELNS1_3repE0EEENS1_30default_config_static_selectorELNS0_4arch9wavefront6targetE0EEEvT1_: ; @_ZN7rocprim17ROCPRIM_400000_NS6detail17trampoline_kernelINS0_14default_configENS1_20scan_config_selectorIiEEZZNS1_9scan_implILNS1_25lookback_scan_determinismE0ELb0ELb0ES3_N6thrust23THRUST_200600_302600_NS6detail15normal_iteratorINS9_10device_ptrIiEEEESE_iNS9_4plusIvEEiEEDaPvRmT3_T4_T5_mT6_P12ihipStream_tbENKUlT_T0_E_clISt17integral_constantIbLb1EEST_IbLb0EEEEDaSP_SQ_EUlSP_E_NS1_11comp_targetILNS1_3genE9ELNS1_11target_archE1100ELNS1_3gpuE3ELNS1_3repE0EEENS1_30default_config_static_selectorELNS0_4arch9wavefront6targetE0EEEvT1_
; %bb.0:
	.section	.rodata,"a",@progbits
	.p2align	6, 0x0
	.amdhsa_kernel _ZN7rocprim17ROCPRIM_400000_NS6detail17trampoline_kernelINS0_14default_configENS1_20scan_config_selectorIiEEZZNS1_9scan_implILNS1_25lookback_scan_determinismE0ELb0ELb0ES3_N6thrust23THRUST_200600_302600_NS6detail15normal_iteratorINS9_10device_ptrIiEEEESE_iNS9_4plusIvEEiEEDaPvRmT3_T4_T5_mT6_P12ihipStream_tbENKUlT_T0_E_clISt17integral_constantIbLb1EEST_IbLb0EEEEDaSP_SQ_EUlSP_E_NS1_11comp_targetILNS1_3genE9ELNS1_11target_archE1100ELNS1_3gpuE3ELNS1_3repE0EEENS1_30default_config_static_selectorELNS0_4arch9wavefront6targetE0EEEvT1_
		.amdhsa_group_segment_fixed_size 0
		.amdhsa_private_segment_fixed_size 0
		.amdhsa_kernarg_size 96
		.amdhsa_user_sgpr_count 2
		.amdhsa_user_sgpr_dispatch_ptr 0
		.amdhsa_user_sgpr_queue_ptr 0
		.amdhsa_user_sgpr_kernarg_segment_ptr 1
		.amdhsa_user_sgpr_dispatch_id 0
		.amdhsa_user_sgpr_kernarg_preload_length 0
		.amdhsa_user_sgpr_kernarg_preload_offset 0
		.amdhsa_user_sgpr_private_segment_size 0
		.amdhsa_wavefront_size32 1
		.amdhsa_uses_dynamic_stack 0
		.amdhsa_enable_private_segment 0
		.amdhsa_system_sgpr_workgroup_id_x 1
		.amdhsa_system_sgpr_workgroup_id_y 0
		.amdhsa_system_sgpr_workgroup_id_z 0
		.amdhsa_system_sgpr_workgroup_info 0
		.amdhsa_system_vgpr_workitem_id 0
		.amdhsa_next_free_vgpr 1
		.amdhsa_next_free_sgpr 1
		.amdhsa_named_barrier_count 0
		.amdhsa_reserve_vcc 0
		.amdhsa_float_round_mode_32 0
		.amdhsa_float_round_mode_16_64 0
		.amdhsa_float_denorm_mode_32 3
		.amdhsa_float_denorm_mode_16_64 3
		.amdhsa_fp16_overflow 0
		.amdhsa_memory_ordered 1
		.amdhsa_forward_progress 1
		.amdhsa_inst_pref_size 0
		.amdhsa_round_robin_scheduling 0
		.amdhsa_exception_fp_ieee_invalid_op 0
		.amdhsa_exception_fp_denorm_src 0
		.amdhsa_exception_fp_ieee_div_zero 0
		.amdhsa_exception_fp_ieee_overflow 0
		.amdhsa_exception_fp_ieee_underflow 0
		.amdhsa_exception_fp_ieee_inexact 0
		.amdhsa_exception_int_div_zero 0
	.end_amdhsa_kernel
	.section	.text._ZN7rocprim17ROCPRIM_400000_NS6detail17trampoline_kernelINS0_14default_configENS1_20scan_config_selectorIiEEZZNS1_9scan_implILNS1_25lookback_scan_determinismE0ELb0ELb0ES3_N6thrust23THRUST_200600_302600_NS6detail15normal_iteratorINS9_10device_ptrIiEEEESE_iNS9_4plusIvEEiEEDaPvRmT3_T4_T5_mT6_P12ihipStream_tbENKUlT_T0_E_clISt17integral_constantIbLb1EEST_IbLb0EEEEDaSP_SQ_EUlSP_E_NS1_11comp_targetILNS1_3genE9ELNS1_11target_archE1100ELNS1_3gpuE3ELNS1_3repE0EEENS1_30default_config_static_selectorELNS0_4arch9wavefront6targetE0EEEvT1_,"axG",@progbits,_ZN7rocprim17ROCPRIM_400000_NS6detail17trampoline_kernelINS0_14default_configENS1_20scan_config_selectorIiEEZZNS1_9scan_implILNS1_25lookback_scan_determinismE0ELb0ELb0ES3_N6thrust23THRUST_200600_302600_NS6detail15normal_iteratorINS9_10device_ptrIiEEEESE_iNS9_4plusIvEEiEEDaPvRmT3_T4_T5_mT6_P12ihipStream_tbENKUlT_T0_E_clISt17integral_constantIbLb1EEST_IbLb0EEEEDaSP_SQ_EUlSP_E_NS1_11comp_targetILNS1_3genE9ELNS1_11target_archE1100ELNS1_3gpuE3ELNS1_3repE0EEENS1_30default_config_static_selectorELNS0_4arch9wavefront6targetE0EEEvT1_,comdat
.Lfunc_end54:
	.size	_ZN7rocprim17ROCPRIM_400000_NS6detail17trampoline_kernelINS0_14default_configENS1_20scan_config_selectorIiEEZZNS1_9scan_implILNS1_25lookback_scan_determinismE0ELb0ELb0ES3_N6thrust23THRUST_200600_302600_NS6detail15normal_iteratorINS9_10device_ptrIiEEEESE_iNS9_4plusIvEEiEEDaPvRmT3_T4_T5_mT6_P12ihipStream_tbENKUlT_T0_E_clISt17integral_constantIbLb1EEST_IbLb0EEEEDaSP_SQ_EUlSP_E_NS1_11comp_targetILNS1_3genE9ELNS1_11target_archE1100ELNS1_3gpuE3ELNS1_3repE0EEENS1_30default_config_static_selectorELNS0_4arch9wavefront6targetE0EEEvT1_, .Lfunc_end54-_ZN7rocprim17ROCPRIM_400000_NS6detail17trampoline_kernelINS0_14default_configENS1_20scan_config_selectorIiEEZZNS1_9scan_implILNS1_25lookback_scan_determinismE0ELb0ELb0ES3_N6thrust23THRUST_200600_302600_NS6detail15normal_iteratorINS9_10device_ptrIiEEEESE_iNS9_4plusIvEEiEEDaPvRmT3_T4_T5_mT6_P12ihipStream_tbENKUlT_T0_E_clISt17integral_constantIbLb1EEST_IbLb0EEEEDaSP_SQ_EUlSP_E_NS1_11comp_targetILNS1_3genE9ELNS1_11target_archE1100ELNS1_3gpuE3ELNS1_3repE0EEENS1_30default_config_static_selectorELNS0_4arch9wavefront6targetE0EEEvT1_
                                        ; -- End function
	.set _ZN7rocprim17ROCPRIM_400000_NS6detail17trampoline_kernelINS0_14default_configENS1_20scan_config_selectorIiEEZZNS1_9scan_implILNS1_25lookback_scan_determinismE0ELb0ELb0ES3_N6thrust23THRUST_200600_302600_NS6detail15normal_iteratorINS9_10device_ptrIiEEEESE_iNS9_4plusIvEEiEEDaPvRmT3_T4_T5_mT6_P12ihipStream_tbENKUlT_T0_E_clISt17integral_constantIbLb1EEST_IbLb0EEEEDaSP_SQ_EUlSP_E_NS1_11comp_targetILNS1_3genE9ELNS1_11target_archE1100ELNS1_3gpuE3ELNS1_3repE0EEENS1_30default_config_static_selectorELNS0_4arch9wavefront6targetE0EEEvT1_.num_vgpr, 0
	.set _ZN7rocprim17ROCPRIM_400000_NS6detail17trampoline_kernelINS0_14default_configENS1_20scan_config_selectorIiEEZZNS1_9scan_implILNS1_25lookback_scan_determinismE0ELb0ELb0ES3_N6thrust23THRUST_200600_302600_NS6detail15normal_iteratorINS9_10device_ptrIiEEEESE_iNS9_4plusIvEEiEEDaPvRmT3_T4_T5_mT6_P12ihipStream_tbENKUlT_T0_E_clISt17integral_constantIbLb1EEST_IbLb0EEEEDaSP_SQ_EUlSP_E_NS1_11comp_targetILNS1_3genE9ELNS1_11target_archE1100ELNS1_3gpuE3ELNS1_3repE0EEENS1_30default_config_static_selectorELNS0_4arch9wavefront6targetE0EEEvT1_.num_agpr, 0
	.set _ZN7rocprim17ROCPRIM_400000_NS6detail17trampoline_kernelINS0_14default_configENS1_20scan_config_selectorIiEEZZNS1_9scan_implILNS1_25lookback_scan_determinismE0ELb0ELb0ES3_N6thrust23THRUST_200600_302600_NS6detail15normal_iteratorINS9_10device_ptrIiEEEESE_iNS9_4plusIvEEiEEDaPvRmT3_T4_T5_mT6_P12ihipStream_tbENKUlT_T0_E_clISt17integral_constantIbLb1EEST_IbLb0EEEEDaSP_SQ_EUlSP_E_NS1_11comp_targetILNS1_3genE9ELNS1_11target_archE1100ELNS1_3gpuE3ELNS1_3repE0EEENS1_30default_config_static_selectorELNS0_4arch9wavefront6targetE0EEEvT1_.numbered_sgpr, 0
	.set _ZN7rocprim17ROCPRIM_400000_NS6detail17trampoline_kernelINS0_14default_configENS1_20scan_config_selectorIiEEZZNS1_9scan_implILNS1_25lookback_scan_determinismE0ELb0ELb0ES3_N6thrust23THRUST_200600_302600_NS6detail15normal_iteratorINS9_10device_ptrIiEEEESE_iNS9_4plusIvEEiEEDaPvRmT3_T4_T5_mT6_P12ihipStream_tbENKUlT_T0_E_clISt17integral_constantIbLb1EEST_IbLb0EEEEDaSP_SQ_EUlSP_E_NS1_11comp_targetILNS1_3genE9ELNS1_11target_archE1100ELNS1_3gpuE3ELNS1_3repE0EEENS1_30default_config_static_selectorELNS0_4arch9wavefront6targetE0EEEvT1_.num_named_barrier, 0
	.set _ZN7rocprim17ROCPRIM_400000_NS6detail17trampoline_kernelINS0_14default_configENS1_20scan_config_selectorIiEEZZNS1_9scan_implILNS1_25lookback_scan_determinismE0ELb0ELb0ES3_N6thrust23THRUST_200600_302600_NS6detail15normal_iteratorINS9_10device_ptrIiEEEESE_iNS9_4plusIvEEiEEDaPvRmT3_T4_T5_mT6_P12ihipStream_tbENKUlT_T0_E_clISt17integral_constantIbLb1EEST_IbLb0EEEEDaSP_SQ_EUlSP_E_NS1_11comp_targetILNS1_3genE9ELNS1_11target_archE1100ELNS1_3gpuE3ELNS1_3repE0EEENS1_30default_config_static_selectorELNS0_4arch9wavefront6targetE0EEEvT1_.private_seg_size, 0
	.set _ZN7rocprim17ROCPRIM_400000_NS6detail17trampoline_kernelINS0_14default_configENS1_20scan_config_selectorIiEEZZNS1_9scan_implILNS1_25lookback_scan_determinismE0ELb0ELb0ES3_N6thrust23THRUST_200600_302600_NS6detail15normal_iteratorINS9_10device_ptrIiEEEESE_iNS9_4plusIvEEiEEDaPvRmT3_T4_T5_mT6_P12ihipStream_tbENKUlT_T0_E_clISt17integral_constantIbLb1EEST_IbLb0EEEEDaSP_SQ_EUlSP_E_NS1_11comp_targetILNS1_3genE9ELNS1_11target_archE1100ELNS1_3gpuE3ELNS1_3repE0EEENS1_30default_config_static_selectorELNS0_4arch9wavefront6targetE0EEEvT1_.uses_vcc, 0
	.set _ZN7rocprim17ROCPRIM_400000_NS6detail17trampoline_kernelINS0_14default_configENS1_20scan_config_selectorIiEEZZNS1_9scan_implILNS1_25lookback_scan_determinismE0ELb0ELb0ES3_N6thrust23THRUST_200600_302600_NS6detail15normal_iteratorINS9_10device_ptrIiEEEESE_iNS9_4plusIvEEiEEDaPvRmT3_T4_T5_mT6_P12ihipStream_tbENKUlT_T0_E_clISt17integral_constantIbLb1EEST_IbLb0EEEEDaSP_SQ_EUlSP_E_NS1_11comp_targetILNS1_3genE9ELNS1_11target_archE1100ELNS1_3gpuE3ELNS1_3repE0EEENS1_30default_config_static_selectorELNS0_4arch9wavefront6targetE0EEEvT1_.uses_flat_scratch, 0
	.set _ZN7rocprim17ROCPRIM_400000_NS6detail17trampoline_kernelINS0_14default_configENS1_20scan_config_selectorIiEEZZNS1_9scan_implILNS1_25lookback_scan_determinismE0ELb0ELb0ES3_N6thrust23THRUST_200600_302600_NS6detail15normal_iteratorINS9_10device_ptrIiEEEESE_iNS9_4plusIvEEiEEDaPvRmT3_T4_T5_mT6_P12ihipStream_tbENKUlT_T0_E_clISt17integral_constantIbLb1EEST_IbLb0EEEEDaSP_SQ_EUlSP_E_NS1_11comp_targetILNS1_3genE9ELNS1_11target_archE1100ELNS1_3gpuE3ELNS1_3repE0EEENS1_30default_config_static_selectorELNS0_4arch9wavefront6targetE0EEEvT1_.has_dyn_sized_stack, 0
	.set _ZN7rocprim17ROCPRIM_400000_NS6detail17trampoline_kernelINS0_14default_configENS1_20scan_config_selectorIiEEZZNS1_9scan_implILNS1_25lookback_scan_determinismE0ELb0ELb0ES3_N6thrust23THRUST_200600_302600_NS6detail15normal_iteratorINS9_10device_ptrIiEEEESE_iNS9_4plusIvEEiEEDaPvRmT3_T4_T5_mT6_P12ihipStream_tbENKUlT_T0_E_clISt17integral_constantIbLb1EEST_IbLb0EEEEDaSP_SQ_EUlSP_E_NS1_11comp_targetILNS1_3genE9ELNS1_11target_archE1100ELNS1_3gpuE3ELNS1_3repE0EEENS1_30default_config_static_selectorELNS0_4arch9wavefront6targetE0EEEvT1_.has_recursion, 0
	.set _ZN7rocprim17ROCPRIM_400000_NS6detail17trampoline_kernelINS0_14default_configENS1_20scan_config_selectorIiEEZZNS1_9scan_implILNS1_25lookback_scan_determinismE0ELb0ELb0ES3_N6thrust23THRUST_200600_302600_NS6detail15normal_iteratorINS9_10device_ptrIiEEEESE_iNS9_4plusIvEEiEEDaPvRmT3_T4_T5_mT6_P12ihipStream_tbENKUlT_T0_E_clISt17integral_constantIbLb1EEST_IbLb0EEEEDaSP_SQ_EUlSP_E_NS1_11comp_targetILNS1_3genE9ELNS1_11target_archE1100ELNS1_3gpuE3ELNS1_3repE0EEENS1_30default_config_static_selectorELNS0_4arch9wavefront6targetE0EEEvT1_.has_indirect_call, 0
	.section	.AMDGPU.csdata,"",@progbits
; Kernel info:
; codeLenInByte = 0
; TotalNumSgprs: 0
; NumVgprs: 0
; ScratchSize: 0
; MemoryBound: 0
; FloatMode: 240
; IeeeMode: 1
; LDSByteSize: 0 bytes/workgroup (compile time only)
; SGPRBlocks: 0
; VGPRBlocks: 0
; NumSGPRsForWavesPerEU: 1
; NumVGPRsForWavesPerEU: 1
; NamedBarCnt: 0
; Occupancy: 16
; WaveLimiterHint : 0
; COMPUTE_PGM_RSRC2:SCRATCH_EN: 0
; COMPUTE_PGM_RSRC2:USER_SGPR: 2
; COMPUTE_PGM_RSRC2:TRAP_HANDLER: 0
; COMPUTE_PGM_RSRC2:TGID_X_EN: 1
; COMPUTE_PGM_RSRC2:TGID_Y_EN: 0
; COMPUTE_PGM_RSRC2:TGID_Z_EN: 0
; COMPUTE_PGM_RSRC2:TIDIG_COMP_CNT: 0
	.section	.text._ZN7rocprim17ROCPRIM_400000_NS6detail17trampoline_kernelINS0_14default_configENS1_20scan_config_selectorIiEEZZNS1_9scan_implILNS1_25lookback_scan_determinismE0ELb0ELb0ES3_N6thrust23THRUST_200600_302600_NS6detail15normal_iteratorINS9_10device_ptrIiEEEESE_iNS9_4plusIvEEiEEDaPvRmT3_T4_T5_mT6_P12ihipStream_tbENKUlT_T0_E_clISt17integral_constantIbLb1EEST_IbLb0EEEEDaSP_SQ_EUlSP_E_NS1_11comp_targetILNS1_3genE8ELNS1_11target_archE1030ELNS1_3gpuE2ELNS1_3repE0EEENS1_30default_config_static_selectorELNS0_4arch9wavefront6targetE0EEEvT1_,"axG",@progbits,_ZN7rocprim17ROCPRIM_400000_NS6detail17trampoline_kernelINS0_14default_configENS1_20scan_config_selectorIiEEZZNS1_9scan_implILNS1_25lookback_scan_determinismE0ELb0ELb0ES3_N6thrust23THRUST_200600_302600_NS6detail15normal_iteratorINS9_10device_ptrIiEEEESE_iNS9_4plusIvEEiEEDaPvRmT3_T4_T5_mT6_P12ihipStream_tbENKUlT_T0_E_clISt17integral_constantIbLb1EEST_IbLb0EEEEDaSP_SQ_EUlSP_E_NS1_11comp_targetILNS1_3genE8ELNS1_11target_archE1030ELNS1_3gpuE2ELNS1_3repE0EEENS1_30default_config_static_selectorELNS0_4arch9wavefront6targetE0EEEvT1_,comdat
	.protected	_ZN7rocprim17ROCPRIM_400000_NS6detail17trampoline_kernelINS0_14default_configENS1_20scan_config_selectorIiEEZZNS1_9scan_implILNS1_25lookback_scan_determinismE0ELb0ELb0ES3_N6thrust23THRUST_200600_302600_NS6detail15normal_iteratorINS9_10device_ptrIiEEEESE_iNS9_4plusIvEEiEEDaPvRmT3_T4_T5_mT6_P12ihipStream_tbENKUlT_T0_E_clISt17integral_constantIbLb1EEST_IbLb0EEEEDaSP_SQ_EUlSP_E_NS1_11comp_targetILNS1_3genE8ELNS1_11target_archE1030ELNS1_3gpuE2ELNS1_3repE0EEENS1_30default_config_static_selectorELNS0_4arch9wavefront6targetE0EEEvT1_ ; -- Begin function _ZN7rocprim17ROCPRIM_400000_NS6detail17trampoline_kernelINS0_14default_configENS1_20scan_config_selectorIiEEZZNS1_9scan_implILNS1_25lookback_scan_determinismE0ELb0ELb0ES3_N6thrust23THRUST_200600_302600_NS6detail15normal_iteratorINS9_10device_ptrIiEEEESE_iNS9_4plusIvEEiEEDaPvRmT3_T4_T5_mT6_P12ihipStream_tbENKUlT_T0_E_clISt17integral_constantIbLb1EEST_IbLb0EEEEDaSP_SQ_EUlSP_E_NS1_11comp_targetILNS1_3genE8ELNS1_11target_archE1030ELNS1_3gpuE2ELNS1_3repE0EEENS1_30default_config_static_selectorELNS0_4arch9wavefront6targetE0EEEvT1_
	.globl	_ZN7rocprim17ROCPRIM_400000_NS6detail17trampoline_kernelINS0_14default_configENS1_20scan_config_selectorIiEEZZNS1_9scan_implILNS1_25lookback_scan_determinismE0ELb0ELb0ES3_N6thrust23THRUST_200600_302600_NS6detail15normal_iteratorINS9_10device_ptrIiEEEESE_iNS9_4plusIvEEiEEDaPvRmT3_T4_T5_mT6_P12ihipStream_tbENKUlT_T0_E_clISt17integral_constantIbLb1EEST_IbLb0EEEEDaSP_SQ_EUlSP_E_NS1_11comp_targetILNS1_3genE8ELNS1_11target_archE1030ELNS1_3gpuE2ELNS1_3repE0EEENS1_30default_config_static_selectorELNS0_4arch9wavefront6targetE0EEEvT1_
	.p2align	8
	.type	_ZN7rocprim17ROCPRIM_400000_NS6detail17trampoline_kernelINS0_14default_configENS1_20scan_config_selectorIiEEZZNS1_9scan_implILNS1_25lookback_scan_determinismE0ELb0ELb0ES3_N6thrust23THRUST_200600_302600_NS6detail15normal_iteratorINS9_10device_ptrIiEEEESE_iNS9_4plusIvEEiEEDaPvRmT3_T4_T5_mT6_P12ihipStream_tbENKUlT_T0_E_clISt17integral_constantIbLb1EEST_IbLb0EEEEDaSP_SQ_EUlSP_E_NS1_11comp_targetILNS1_3genE8ELNS1_11target_archE1030ELNS1_3gpuE2ELNS1_3repE0EEENS1_30default_config_static_selectorELNS0_4arch9wavefront6targetE0EEEvT1_,@function
_ZN7rocprim17ROCPRIM_400000_NS6detail17trampoline_kernelINS0_14default_configENS1_20scan_config_selectorIiEEZZNS1_9scan_implILNS1_25lookback_scan_determinismE0ELb0ELb0ES3_N6thrust23THRUST_200600_302600_NS6detail15normal_iteratorINS9_10device_ptrIiEEEESE_iNS9_4plusIvEEiEEDaPvRmT3_T4_T5_mT6_P12ihipStream_tbENKUlT_T0_E_clISt17integral_constantIbLb1EEST_IbLb0EEEEDaSP_SQ_EUlSP_E_NS1_11comp_targetILNS1_3genE8ELNS1_11target_archE1030ELNS1_3gpuE2ELNS1_3repE0EEENS1_30default_config_static_selectorELNS0_4arch9wavefront6targetE0EEEvT1_: ; @_ZN7rocprim17ROCPRIM_400000_NS6detail17trampoline_kernelINS0_14default_configENS1_20scan_config_selectorIiEEZZNS1_9scan_implILNS1_25lookback_scan_determinismE0ELb0ELb0ES3_N6thrust23THRUST_200600_302600_NS6detail15normal_iteratorINS9_10device_ptrIiEEEESE_iNS9_4plusIvEEiEEDaPvRmT3_T4_T5_mT6_P12ihipStream_tbENKUlT_T0_E_clISt17integral_constantIbLb1EEST_IbLb0EEEEDaSP_SQ_EUlSP_E_NS1_11comp_targetILNS1_3genE8ELNS1_11target_archE1030ELNS1_3gpuE2ELNS1_3repE0EEENS1_30default_config_static_selectorELNS0_4arch9wavefront6targetE0EEEvT1_
; %bb.0:
	.section	.rodata,"a",@progbits
	.p2align	6, 0x0
	.amdhsa_kernel _ZN7rocprim17ROCPRIM_400000_NS6detail17trampoline_kernelINS0_14default_configENS1_20scan_config_selectorIiEEZZNS1_9scan_implILNS1_25lookback_scan_determinismE0ELb0ELb0ES3_N6thrust23THRUST_200600_302600_NS6detail15normal_iteratorINS9_10device_ptrIiEEEESE_iNS9_4plusIvEEiEEDaPvRmT3_T4_T5_mT6_P12ihipStream_tbENKUlT_T0_E_clISt17integral_constantIbLb1EEST_IbLb0EEEEDaSP_SQ_EUlSP_E_NS1_11comp_targetILNS1_3genE8ELNS1_11target_archE1030ELNS1_3gpuE2ELNS1_3repE0EEENS1_30default_config_static_selectorELNS0_4arch9wavefront6targetE0EEEvT1_
		.amdhsa_group_segment_fixed_size 0
		.amdhsa_private_segment_fixed_size 0
		.amdhsa_kernarg_size 96
		.amdhsa_user_sgpr_count 2
		.amdhsa_user_sgpr_dispatch_ptr 0
		.amdhsa_user_sgpr_queue_ptr 0
		.amdhsa_user_sgpr_kernarg_segment_ptr 1
		.amdhsa_user_sgpr_dispatch_id 0
		.amdhsa_user_sgpr_kernarg_preload_length 0
		.amdhsa_user_sgpr_kernarg_preload_offset 0
		.amdhsa_user_sgpr_private_segment_size 0
		.amdhsa_wavefront_size32 1
		.amdhsa_uses_dynamic_stack 0
		.amdhsa_enable_private_segment 0
		.amdhsa_system_sgpr_workgroup_id_x 1
		.amdhsa_system_sgpr_workgroup_id_y 0
		.amdhsa_system_sgpr_workgroup_id_z 0
		.amdhsa_system_sgpr_workgroup_info 0
		.amdhsa_system_vgpr_workitem_id 0
		.amdhsa_next_free_vgpr 1
		.amdhsa_next_free_sgpr 1
		.amdhsa_named_barrier_count 0
		.amdhsa_reserve_vcc 0
		.amdhsa_float_round_mode_32 0
		.amdhsa_float_round_mode_16_64 0
		.amdhsa_float_denorm_mode_32 3
		.amdhsa_float_denorm_mode_16_64 3
		.amdhsa_fp16_overflow 0
		.amdhsa_memory_ordered 1
		.amdhsa_forward_progress 1
		.amdhsa_inst_pref_size 0
		.amdhsa_round_robin_scheduling 0
		.amdhsa_exception_fp_ieee_invalid_op 0
		.amdhsa_exception_fp_denorm_src 0
		.amdhsa_exception_fp_ieee_div_zero 0
		.amdhsa_exception_fp_ieee_overflow 0
		.amdhsa_exception_fp_ieee_underflow 0
		.amdhsa_exception_fp_ieee_inexact 0
		.amdhsa_exception_int_div_zero 0
	.end_amdhsa_kernel
	.section	.text._ZN7rocprim17ROCPRIM_400000_NS6detail17trampoline_kernelINS0_14default_configENS1_20scan_config_selectorIiEEZZNS1_9scan_implILNS1_25lookback_scan_determinismE0ELb0ELb0ES3_N6thrust23THRUST_200600_302600_NS6detail15normal_iteratorINS9_10device_ptrIiEEEESE_iNS9_4plusIvEEiEEDaPvRmT3_T4_T5_mT6_P12ihipStream_tbENKUlT_T0_E_clISt17integral_constantIbLb1EEST_IbLb0EEEEDaSP_SQ_EUlSP_E_NS1_11comp_targetILNS1_3genE8ELNS1_11target_archE1030ELNS1_3gpuE2ELNS1_3repE0EEENS1_30default_config_static_selectorELNS0_4arch9wavefront6targetE0EEEvT1_,"axG",@progbits,_ZN7rocprim17ROCPRIM_400000_NS6detail17trampoline_kernelINS0_14default_configENS1_20scan_config_selectorIiEEZZNS1_9scan_implILNS1_25lookback_scan_determinismE0ELb0ELb0ES3_N6thrust23THRUST_200600_302600_NS6detail15normal_iteratorINS9_10device_ptrIiEEEESE_iNS9_4plusIvEEiEEDaPvRmT3_T4_T5_mT6_P12ihipStream_tbENKUlT_T0_E_clISt17integral_constantIbLb1EEST_IbLb0EEEEDaSP_SQ_EUlSP_E_NS1_11comp_targetILNS1_3genE8ELNS1_11target_archE1030ELNS1_3gpuE2ELNS1_3repE0EEENS1_30default_config_static_selectorELNS0_4arch9wavefront6targetE0EEEvT1_,comdat
.Lfunc_end55:
	.size	_ZN7rocprim17ROCPRIM_400000_NS6detail17trampoline_kernelINS0_14default_configENS1_20scan_config_selectorIiEEZZNS1_9scan_implILNS1_25lookback_scan_determinismE0ELb0ELb0ES3_N6thrust23THRUST_200600_302600_NS6detail15normal_iteratorINS9_10device_ptrIiEEEESE_iNS9_4plusIvEEiEEDaPvRmT3_T4_T5_mT6_P12ihipStream_tbENKUlT_T0_E_clISt17integral_constantIbLb1EEST_IbLb0EEEEDaSP_SQ_EUlSP_E_NS1_11comp_targetILNS1_3genE8ELNS1_11target_archE1030ELNS1_3gpuE2ELNS1_3repE0EEENS1_30default_config_static_selectorELNS0_4arch9wavefront6targetE0EEEvT1_, .Lfunc_end55-_ZN7rocprim17ROCPRIM_400000_NS6detail17trampoline_kernelINS0_14default_configENS1_20scan_config_selectorIiEEZZNS1_9scan_implILNS1_25lookback_scan_determinismE0ELb0ELb0ES3_N6thrust23THRUST_200600_302600_NS6detail15normal_iteratorINS9_10device_ptrIiEEEESE_iNS9_4plusIvEEiEEDaPvRmT3_T4_T5_mT6_P12ihipStream_tbENKUlT_T0_E_clISt17integral_constantIbLb1EEST_IbLb0EEEEDaSP_SQ_EUlSP_E_NS1_11comp_targetILNS1_3genE8ELNS1_11target_archE1030ELNS1_3gpuE2ELNS1_3repE0EEENS1_30default_config_static_selectorELNS0_4arch9wavefront6targetE0EEEvT1_
                                        ; -- End function
	.set _ZN7rocprim17ROCPRIM_400000_NS6detail17trampoline_kernelINS0_14default_configENS1_20scan_config_selectorIiEEZZNS1_9scan_implILNS1_25lookback_scan_determinismE0ELb0ELb0ES3_N6thrust23THRUST_200600_302600_NS6detail15normal_iteratorINS9_10device_ptrIiEEEESE_iNS9_4plusIvEEiEEDaPvRmT3_T4_T5_mT6_P12ihipStream_tbENKUlT_T0_E_clISt17integral_constantIbLb1EEST_IbLb0EEEEDaSP_SQ_EUlSP_E_NS1_11comp_targetILNS1_3genE8ELNS1_11target_archE1030ELNS1_3gpuE2ELNS1_3repE0EEENS1_30default_config_static_selectorELNS0_4arch9wavefront6targetE0EEEvT1_.num_vgpr, 0
	.set _ZN7rocprim17ROCPRIM_400000_NS6detail17trampoline_kernelINS0_14default_configENS1_20scan_config_selectorIiEEZZNS1_9scan_implILNS1_25lookback_scan_determinismE0ELb0ELb0ES3_N6thrust23THRUST_200600_302600_NS6detail15normal_iteratorINS9_10device_ptrIiEEEESE_iNS9_4plusIvEEiEEDaPvRmT3_T4_T5_mT6_P12ihipStream_tbENKUlT_T0_E_clISt17integral_constantIbLb1EEST_IbLb0EEEEDaSP_SQ_EUlSP_E_NS1_11comp_targetILNS1_3genE8ELNS1_11target_archE1030ELNS1_3gpuE2ELNS1_3repE0EEENS1_30default_config_static_selectorELNS0_4arch9wavefront6targetE0EEEvT1_.num_agpr, 0
	.set _ZN7rocprim17ROCPRIM_400000_NS6detail17trampoline_kernelINS0_14default_configENS1_20scan_config_selectorIiEEZZNS1_9scan_implILNS1_25lookback_scan_determinismE0ELb0ELb0ES3_N6thrust23THRUST_200600_302600_NS6detail15normal_iteratorINS9_10device_ptrIiEEEESE_iNS9_4plusIvEEiEEDaPvRmT3_T4_T5_mT6_P12ihipStream_tbENKUlT_T0_E_clISt17integral_constantIbLb1EEST_IbLb0EEEEDaSP_SQ_EUlSP_E_NS1_11comp_targetILNS1_3genE8ELNS1_11target_archE1030ELNS1_3gpuE2ELNS1_3repE0EEENS1_30default_config_static_selectorELNS0_4arch9wavefront6targetE0EEEvT1_.numbered_sgpr, 0
	.set _ZN7rocprim17ROCPRIM_400000_NS6detail17trampoline_kernelINS0_14default_configENS1_20scan_config_selectorIiEEZZNS1_9scan_implILNS1_25lookback_scan_determinismE0ELb0ELb0ES3_N6thrust23THRUST_200600_302600_NS6detail15normal_iteratorINS9_10device_ptrIiEEEESE_iNS9_4plusIvEEiEEDaPvRmT3_T4_T5_mT6_P12ihipStream_tbENKUlT_T0_E_clISt17integral_constantIbLb1EEST_IbLb0EEEEDaSP_SQ_EUlSP_E_NS1_11comp_targetILNS1_3genE8ELNS1_11target_archE1030ELNS1_3gpuE2ELNS1_3repE0EEENS1_30default_config_static_selectorELNS0_4arch9wavefront6targetE0EEEvT1_.num_named_barrier, 0
	.set _ZN7rocprim17ROCPRIM_400000_NS6detail17trampoline_kernelINS0_14default_configENS1_20scan_config_selectorIiEEZZNS1_9scan_implILNS1_25lookback_scan_determinismE0ELb0ELb0ES3_N6thrust23THRUST_200600_302600_NS6detail15normal_iteratorINS9_10device_ptrIiEEEESE_iNS9_4plusIvEEiEEDaPvRmT3_T4_T5_mT6_P12ihipStream_tbENKUlT_T0_E_clISt17integral_constantIbLb1EEST_IbLb0EEEEDaSP_SQ_EUlSP_E_NS1_11comp_targetILNS1_3genE8ELNS1_11target_archE1030ELNS1_3gpuE2ELNS1_3repE0EEENS1_30default_config_static_selectorELNS0_4arch9wavefront6targetE0EEEvT1_.private_seg_size, 0
	.set _ZN7rocprim17ROCPRIM_400000_NS6detail17trampoline_kernelINS0_14default_configENS1_20scan_config_selectorIiEEZZNS1_9scan_implILNS1_25lookback_scan_determinismE0ELb0ELb0ES3_N6thrust23THRUST_200600_302600_NS6detail15normal_iteratorINS9_10device_ptrIiEEEESE_iNS9_4plusIvEEiEEDaPvRmT3_T4_T5_mT6_P12ihipStream_tbENKUlT_T0_E_clISt17integral_constantIbLb1EEST_IbLb0EEEEDaSP_SQ_EUlSP_E_NS1_11comp_targetILNS1_3genE8ELNS1_11target_archE1030ELNS1_3gpuE2ELNS1_3repE0EEENS1_30default_config_static_selectorELNS0_4arch9wavefront6targetE0EEEvT1_.uses_vcc, 0
	.set _ZN7rocprim17ROCPRIM_400000_NS6detail17trampoline_kernelINS0_14default_configENS1_20scan_config_selectorIiEEZZNS1_9scan_implILNS1_25lookback_scan_determinismE0ELb0ELb0ES3_N6thrust23THRUST_200600_302600_NS6detail15normal_iteratorINS9_10device_ptrIiEEEESE_iNS9_4plusIvEEiEEDaPvRmT3_T4_T5_mT6_P12ihipStream_tbENKUlT_T0_E_clISt17integral_constantIbLb1EEST_IbLb0EEEEDaSP_SQ_EUlSP_E_NS1_11comp_targetILNS1_3genE8ELNS1_11target_archE1030ELNS1_3gpuE2ELNS1_3repE0EEENS1_30default_config_static_selectorELNS0_4arch9wavefront6targetE0EEEvT1_.uses_flat_scratch, 0
	.set _ZN7rocprim17ROCPRIM_400000_NS6detail17trampoline_kernelINS0_14default_configENS1_20scan_config_selectorIiEEZZNS1_9scan_implILNS1_25lookback_scan_determinismE0ELb0ELb0ES3_N6thrust23THRUST_200600_302600_NS6detail15normal_iteratorINS9_10device_ptrIiEEEESE_iNS9_4plusIvEEiEEDaPvRmT3_T4_T5_mT6_P12ihipStream_tbENKUlT_T0_E_clISt17integral_constantIbLb1EEST_IbLb0EEEEDaSP_SQ_EUlSP_E_NS1_11comp_targetILNS1_3genE8ELNS1_11target_archE1030ELNS1_3gpuE2ELNS1_3repE0EEENS1_30default_config_static_selectorELNS0_4arch9wavefront6targetE0EEEvT1_.has_dyn_sized_stack, 0
	.set _ZN7rocprim17ROCPRIM_400000_NS6detail17trampoline_kernelINS0_14default_configENS1_20scan_config_selectorIiEEZZNS1_9scan_implILNS1_25lookback_scan_determinismE0ELb0ELb0ES3_N6thrust23THRUST_200600_302600_NS6detail15normal_iteratorINS9_10device_ptrIiEEEESE_iNS9_4plusIvEEiEEDaPvRmT3_T4_T5_mT6_P12ihipStream_tbENKUlT_T0_E_clISt17integral_constantIbLb1EEST_IbLb0EEEEDaSP_SQ_EUlSP_E_NS1_11comp_targetILNS1_3genE8ELNS1_11target_archE1030ELNS1_3gpuE2ELNS1_3repE0EEENS1_30default_config_static_selectorELNS0_4arch9wavefront6targetE0EEEvT1_.has_recursion, 0
	.set _ZN7rocprim17ROCPRIM_400000_NS6detail17trampoline_kernelINS0_14default_configENS1_20scan_config_selectorIiEEZZNS1_9scan_implILNS1_25lookback_scan_determinismE0ELb0ELb0ES3_N6thrust23THRUST_200600_302600_NS6detail15normal_iteratorINS9_10device_ptrIiEEEESE_iNS9_4plusIvEEiEEDaPvRmT3_T4_T5_mT6_P12ihipStream_tbENKUlT_T0_E_clISt17integral_constantIbLb1EEST_IbLb0EEEEDaSP_SQ_EUlSP_E_NS1_11comp_targetILNS1_3genE8ELNS1_11target_archE1030ELNS1_3gpuE2ELNS1_3repE0EEENS1_30default_config_static_selectorELNS0_4arch9wavefront6targetE0EEEvT1_.has_indirect_call, 0
	.section	.AMDGPU.csdata,"",@progbits
; Kernel info:
; codeLenInByte = 0
; TotalNumSgprs: 0
; NumVgprs: 0
; ScratchSize: 0
; MemoryBound: 0
; FloatMode: 240
; IeeeMode: 1
; LDSByteSize: 0 bytes/workgroup (compile time only)
; SGPRBlocks: 0
; VGPRBlocks: 0
; NumSGPRsForWavesPerEU: 1
; NumVGPRsForWavesPerEU: 1
; NamedBarCnt: 0
; Occupancy: 16
; WaveLimiterHint : 0
; COMPUTE_PGM_RSRC2:SCRATCH_EN: 0
; COMPUTE_PGM_RSRC2:USER_SGPR: 2
; COMPUTE_PGM_RSRC2:TRAP_HANDLER: 0
; COMPUTE_PGM_RSRC2:TGID_X_EN: 1
; COMPUTE_PGM_RSRC2:TGID_Y_EN: 0
; COMPUTE_PGM_RSRC2:TGID_Z_EN: 0
; COMPUTE_PGM_RSRC2:TIDIG_COMP_CNT: 0
	.section	.text._ZN7rocprim17ROCPRIM_400000_NS6detail17trampoline_kernelINS0_14default_configENS1_20scan_config_selectorIiEEZZNS1_9scan_implILNS1_25lookback_scan_determinismE0ELb0ELb0ES3_N6thrust23THRUST_200600_302600_NS6detail15normal_iteratorINS9_10device_ptrIiEEEESE_iNS9_4plusIvEEiEEDaPvRmT3_T4_T5_mT6_P12ihipStream_tbENKUlT_T0_E_clISt17integral_constantIbLb1EEST_IbLb0EEEEDaSP_SQ_EUlSP_E0_NS1_11comp_targetILNS1_3genE0ELNS1_11target_archE4294967295ELNS1_3gpuE0ELNS1_3repE0EEENS1_30default_config_static_selectorELNS0_4arch9wavefront6targetE0EEEvT1_,"axG",@progbits,_ZN7rocprim17ROCPRIM_400000_NS6detail17trampoline_kernelINS0_14default_configENS1_20scan_config_selectorIiEEZZNS1_9scan_implILNS1_25lookback_scan_determinismE0ELb0ELb0ES3_N6thrust23THRUST_200600_302600_NS6detail15normal_iteratorINS9_10device_ptrIiEEEESE_iNS9_4plusIvEEiEEDaPvRmT3_T4_T5_mT6_P12ihipStream_tbENKUlT_T0_E_clISt17integral_constantIbLb1EEST_IbLb0EEEEDaSP_SQ_EUlSP_E0_NS1_11comp_targetILNS1_3genE0ELNS1_11target_archE4294967295ELNS1_3gpuE0ELNS1_3repE0EEENS1_30default_config_static_selectorELNS0_4arch9wavefront6targetE0EEEvT1_,comdat
	.protected	_ZN7rocprim17ROCPRIM_400000_NS6detail17trampoline_kernelINS0_14default_configENS1_20scan_config_selectorIiEEZZNS1_9scan_implILNS1_25lookback_scan_determinismE0ELb0ELb0ES3_N6thrust23THRUST_200600_302600_NS6detail15normal_iteratorINS9_10device_ptrIiEEEESE_iNS9_4plusIvEEiEEDaPvRmT3_T4_T5_mT6_P12ihipStream_tbENKUlT_T0_E_clISt17integral_constantIbLb1EEST_IbLb0EEEEDaSP_SQ_EUlSP_E0_NS1_11comp_targetILNS1_3genE0ELNS1_11target_archE4294967295ELNS1_3gpuE0ELNS1_3repE0EEENS1_30default_config_static_selectorELNS0_4arch9wavefront6targetE0EEEvT1_ ; -- Begin function _ZN7rocprim17ROCPRIM_400000_NS6detail17trampoline_kernelINS0_14default_configENS1_20scan_config_selectorIiEEZZNS1_9scan_implILNS1_25lookback_scan_determinismE0ELb0ELb0ES3_N6thrust23THRUST_200600_302600_NS6detail15normal_iteratorINS9_10device_ptrIiEEEESE_iNS9_4plusIvEEiEEDaPvRmT3_T4_T5_mT6_P12ihipStream_tbENKUlT_T0_E_clISt17integral_constantIbLb1EEST_IbLb0EEEEDaSP_SQ_EUlSP_E0_NS1_11comp_targetILNS1_3genE0ELNS1_11target_archE4294967295ELNS1_3gpuE0ELNS1_3repE0EEENS1_30default_config_static_selectorELNS0_4arch9wavefront6targetE0EEEvT1_
	.globl	_ZN7rocprim17ROCPRIM_400000_NS6detail17trampoline_kernelINS0_14default_configENS1_20scan_config_selectorIiEEZZNS1_9scan_implILNS1_25lookback_scan_determinismE0ELb0ELb0ES3_N6thrust23THRUST_200600_302600_NS6detail15normal_iteratorINS9_10device_ptrIiEEEESE_iNS9_4plusIvEEiEEDaPvRmT3_T4_T5_mT6_P12ihipStream_tbENKUlT_T0_E_clISt17integral_constantIbLb1EEST_IbLb0EEEEDaSP_SQ_EUlSP_E0_NS1_11comp_targetILNS1_3genE0ELNS1_11target_archE4294967295ELNS1_3gpuE0ELNS1_3repE0EEENS1_30default_config_static_selectorELNS0_4arch9wavefront6targetE0EEEvT1_
	.p2align	8
	.type	_ZN7rocprim17ROCPRIM_400000_NS6detail17trampoline_kernelINS0_14default_configENS1_20scan_config_selectorIiEEZZNS1_9scan_implILNS1_25lookback_scan_determinismE0ELb0ELb0ES3_N6thrust23THRUST_200600_302600_NS6detail15normal_iteratorINS9_10device_ptrIiEEEESE_iNS9_4plusIvEEiEEDaPvRmT3_T4_T5_mT6_P12ihipStream_tbENKUlT_T0_E_clISt17integral_constantIbLb1EEST_IbLb0EEEEDaSP_SQ_EUlSP_E0_NS1_11comp_targetILNS1_3genE0ELNS1_11target_archE4294967295ELNS1_3gpuE0ELNS1_3repE0EEENS1_30default_config_static_selectorELNS0_4arch9wavefront6targetE0EEEvT1_,@function
_ZN7rocprim17ROCPRIM_400000_NS6detail17trampoline_kernelINS0_14default_configENS1_20scan_config_selectorIiEEZZNS1_9scan_implILNS1_25lookback_scan_determinismE0ELb0ELb0ES3_N6thrust23THRUST_200600_302600_NS6detail15normal_iteratorINS9_10device_ptrIiEEEESE_iNS9_4plusIvEEiEEDaPvRmT3_T4_T5_mT6_P12ihipStream_tbENKUlT_T0_E_clISt17integral_constantIbLb1EEST_IbLb0EEEEDaSP_SQ_EUlSP_E0_NS1_11comp_targetILNS1_3genE0ELNS1_11target_archE4294967295ELNS1_3gpuE0ELNS1_3repE0EEENS1_30default_config_static_selectorELNS0_4arch9wavefront6targetE0EEEvT1_: ; @_ZN7rocprim17ROCPRIM_400000_NS6detail17trampoline_kernelINS0_14default_configENS1_20scan_config_selectorIiEEZZNS1_9scan_implILNS1_25lookback_scan_determinismE0ELb0ELb0ES3_N6thrust23THRUST_200600_302600_NS6detail15normal_iteratorINS9_10device_ptrIiEEEESE_iNS9_4plusIvEEiEEDaPvRmT3_T4_T5_mT6_P12ihipStream_tbENKUlT_T0_E_clISt17integral_constantIbLb1EEST_IbLb0EEEEDaSP_SQ_EUlSP_E0_NS1_11comp_targetILNS1_3genE0ELNS1_11target_archE4294967295ELNS1_3gpuE0ELNS1_3repE0EEENS1_30default_config_static_selectorELNS0_4arch9wavefront6targetE0EEEvT1_
; %bb.0:
	s_load_b128 s[16:19], s[0:1], 0x0
	s_wait_kmcnt 0x0
	v_cmp_gt_u32_e32 vcc_lo, s18, v0
	s_load_b32 s19, s[16:17], 0x0
	s_wait_kmcnt 0x0
	v_mov_b32_e32 v1, s19
	s_and_saveexec_b32 s2, vcc_lo
	s_cbranch_execz .LBB56_2
; %bb.1:
	global_load_b32 v1, v0, s[16:17] scale_offset
.LBB56_2:
	s_wait_xcnt 0x0
	s_or_b32 exec_lo, exec_lo, s2
	v_or_b32_e32 v2, 0x100, v0
	s_delay_alu instid0(VALU_DEP_1)
	v_cmp_gt_u32_e64 s2, s18, v2
	v_mov_b32_e32 v2, s19
	s_and_saveexec_b32 s3, s2
	s_cbranch_execz .LBB56_4
; %bb.3:
	global_load_b32 v2, v0, s[16:17] offset:1024 scale_offset
.LBB56_4:
	s_wait_xcnt 0x0
	s_or_b32 exec_lo, exec_lo, s3
	v_or_b32_e32 v3, 0x200, v0
	s_delay_alu instid0(VALU_DEP_1)
	v_cmp_gt_u32_e64 s3, s18, v3
	v_mov_b32_e32 v3, s19
	s_and_saveexec_b32 s4, s3
	s_cbranch_execz .LBB56_6
; %bb.5:
	global_load_b32 v3, v0, s[16:17] offset:2048 scale_offset
.LBB56_6:
	s_wait_xcnt 0x0
	s_or_b32 exec_lo, exec_lo, s4
	v_or_b32_e32 v4, 0x300, v0
	s_delay_alu instid0(VALU_DEP_1)
	v_cmp_gt_u32_e64 s4, s18, v4
	v_mov_b32_e32 v4, s19
	s_and_saveexec_b32 s5, s4
	s_cbranch_execz .LBB56_8
; %bb.7:
	global_load_b32 v4, v0, s[16:17] offset:3072 scale_offset
.LBB56_8:
	s_wait_xcnt 0x0
	s_or_b32 exec_lo, exec_lo, s5
	v_or_b32_e32 v5, 0x400, v0
	s_delay_alu instid0(VALU_DEP_1)
	v_cmp_gt_u32_e64 s5, s18, v5
	v_mov_b32_e32 v5, s19
	s_and_saveexec_b32 s6, s5
	s_cbranch_execz .LBB56_10
; %bb.9:
	global_load_b32 v5, v0, s[16:17] offset:4096 scale_offset
.LBB56_10:
	s_wait_xcnt 0x0
	s_or_b32 exec_lo, exec_lo, s6
	v_or_b32_e32 v6, 0x500, v0
	s_delay_alu instid0(VALU_DEP_1)
	v_cmp_gt_u32_e64 s6, s18, v6
	v_mov_b32_e32 v6, s19
	s_and_saveexec_b32 s7, s6
	s_cbranch_execz .LBB56_12
; %bb.11:
	global_load_b32 v6, v0, s[16:17] offset:5120 scale_offset
.LBB56_12:
	s_wait_xcnt 0x0
	s_or_b32 exec_lo, exec_lo, s7
	v_or_b32_e32 v7, 0x600, v0
	s_delay_alu instid0(VALU_DEP_1)
	v_cmp_gt_u32_e64 s7, s18, v7
	v_mov_b32_e32 v7, s19
	s_and_saveexec_b32 s8, s7
	s_cbranch_execz .LBB56_14
; %bb.13:
	global_load_b32 v7, v0, s[16:17] offset:6144 scale_offset
.LBB56_14:
	s_wait_xcnt 0x0
	s_or_b32 exec_lo, exec_lo, s8
	v_or_b32_e32 v8, 0x700, v0
	s_delay_alu instid0(VALU_DEP_1)
	v_cmp_gt_u32_e64 s8, s18, v8
	v_mov_b32_e32 v8, s19
	s_and_saveexec_b32 s9, s8
	s_cbranch_execz .LBB56_16
; %bb.15:
	global_load_b32 v8, v0, s[16:17] offset:7168 scale_offset
.LBB56_16:
	s_wait_xcnt 0x0
	s_or_b32 exec_lo, exec_lo, s9
	v_or_b32_e32 v9, 0x800, v0
	s_delay_alu instid0(VALU_DEP_1)
	v_cmp_gt_u32_e64 s9, s18, v9
	v_mov_b32_e32 v9, s19
	s_and_saveexec_b32 s10, s9
	s_cbranch_execz .LBB56_18
; %bb.17:
	global_load_b32 v9, v0, s[16:17] offset:8192 scale_offset
.LBB56_18:
	s_wait_xcnt 0x0
	s_or_b32 exec_lo, exec_lo, s10
	v_or_b32_e32 v10, 0x900, v0
	s_delay_alu instid0(VALU_DEP_1)
	v_cmp_gt_u32_e64 s10, s18, v10
	v_mov_b32_e32 v10, s19
	s_and_saveexec_b32 s11, s10
	s_cbranch_execz .LBB56_20
; %bb.19:
	global_load_b32 v10, v0, s[16:17] offset:9216 scale_offset
.LBB56_20:
	s_wait_xcnt 0x0
	s_or_b32 exec_lo, exec_lo, s11
	v_or_b32_e32 v11, 0xa00, v0
	s_delay_alu instid0(VALU_DEP_1)
	v_cmp_gt_u32_e64 s11, s18, v11
	v_mov_b32_e32 v11, s19
	s_and_saveexec_b32 s12, s11
	s_cbranch_execz .LBB56_22
; %bb.21:
	global_load_b32 v11, v0, s[16:17] offset:10240 scale_offset
.LBB56_22:
	s_wait_xcnt 0x0
	s_or_b32 exec_lo, exec_lo, s12
	v_or_b32_e32 v12, 0xb00, v0
	s_delay_alu instid0(VALU_DEP_1)
	v_cmp_gt_u32_e64 s12, s18, v12
	v_mov_b32_e32 v12, s19
	s_and_saveexec_b32 s13, s12
	s_cbranch_execz .LBB56_24
; %bb.23:
	global_load_b32 v12, v0, s[16:17] offset:11264 scale_offset
.LBB56_24:
	s_wait_xcnt 0x0
	s_or_b32 exec_lo, exec_lo, s13
	v_or_b32_e32 v13, 0xc00, v0
	s_delay_alu instid0(VALU_DEP_1)
	v_cmp_gt_u32_e64 s13, s18, v13
	v_mov_b32_e32 v13, s19
	s_and_saveexec_b32 s14, s13
	s_cbranch_execz .LBB56_26
; %bb.25:
	global_load_b32 v13, v0, s[16:17] offset:12288 scale_offset
.LBB56_26:
	s_wait_xcnt 0x0
	s_or_b32 exec_lo, exec_lo, s14
	v_or_b32_e32 v14, 0xd00, v0
	s_delay_alu instid0(VALU_DEP_1) | instskip(SKIP_2) | instid1(SALU_CYCLE_1)
	v_cmp_gt_u32_e64 s14, s18, v14
	v_cmp_le_u32_e64 s15, s18, v14
	s_and_saveexec_b32 s18, s15
	s_xor_b32 s15, exec_lo, s18
	s_delay_alu instid0(SALU_CYCLE_1)
	s_or_saveexec_b32 s15, s15
	v_mov_b32_e32 v14, s19
	s_xor_b32 exec_lo, exec_lo, s15
	s_cbranch_execz .LBB56_28
; %bb.27:
	global_load_b32 v14, v0, s[16:17] offset:13312 scale_offset
.LBB56_28:
	s_wait_xcnt 0x0
	s_or_b32 exec_lo, exec_lo, s15
	v_dual_lshlrev_b32 v30, 2, v0 :: v_dual_bitop2_b32 v33, 31, v0 bitop3:0x54
	s_mov_b32 s16, exec_lo
	s_wait_loadcnt 0x0
	ds_store_2addr_stride64_b32 v30, v1, v2 offset1:4
	ds_store_2addr_stride64_b32 v30, v3, v4 offset0:8 offset1:12
	ds_store_2addr_stride64_b32 v30, v5, v6 offset0:16 offset1:20
	;; [unrolled: 1-line block ×6, first 2 shown]
	v_mad_u32_u24 v1, v0, 52, v30
	s_wait_dscnt 0x0
	s_barrier_signal -1
	s_barrier_wait -1
	ds_load_2addr_b64 v[6:9], v1 offset1:1
	ds_load_2addr_b64 v[2:5], v1 offset0:2 offset1:3
	ds_load_2addr_b64 v[10:13], v1 offset0:4 offset1:5
	ds_load_b64 v[28:29], v1 offset:48
	v_mbcnt_lo_u32_b32 v1, -1, 0
	s_wait_dscnt 0x0
	s_barrier_signal -1
	s_barrier_wait -1
	s_delay_alu instid0(VALU_DEP_1) | instskip(NEXT) | instid1(VALU_DEP_1)
	v_and_b32_e32 v14, 15, v1
	v_cmp_ne_u32_e64 s15, 0, v14
	v_add_nc_u32_e32 v15, v7, v6
	s_delay_alu instid0(VALU_DEP_1) | instskip(NEXT) | instid1(VALU_DEP_1)
	v_add_nc_u32_e32 v18, v15, v8
	v_add_nc_u32_e32 v19, v18, v9
	s_delay_alu instid0(VALU_DEP_1) | instskip(NEXT) | instid1(VALU_DEP_1)
	v_add_nc_u32_e32 v16, v19, v2
	;; [unrolled: 3-line block ×6, first 2 shown]
	v_add_nc_u32_e32 v27, v26, v29
	s_delay_alu instid0(VALU_DEP_1) | instskip(NEXT) | instid1(VALU_DEP_1)
	v_mov_b32_dpp v31, v27 row_shr:1 row_mask:0xf bank_mask:0xf
	v_cndmask_b32_e64 v31, 0, v31, s15
	s_delay_alu instid0(VALU_DEP_1) | instskip(SKIP_1) | instid1(VALU_DEP_2)
	v_add_nc_u32_e32 v31, v31, v27
	v_cmp_lt_u32_e64 s15, 1, v14
	v_mov_b32_dpp v32, v31 row_shr:2 row_mask:0xf bank_mask:0xf
	s_delay_alu instid0(VALU_DEP_1) | instskip(SKIP_1) | instid1(VALU_DEP_2)
	v_cndmask_b32_e64 v32, 0, v32, s15
	v_cmp_lt_u32_e64 s15, 3, v14
	v_add_nc_u32_e32 v31, v31, v32
	s_delay_alu instid0(VALU_DEP_1) | instskip(NEXT) | instid1(VALU_DEP_1)
	v_mov_b32_dpp v32, v31 row_shr:4 row_mask:0xf bank_mask:0xf
	v_cndmask_b32_e64 v32, 0, v32, s15
	v_cmp_lt_u32_e64 s15, 7, v14
	s_delay_alu instid0(VALU_DEP_2) | instskip(NEXT) | instid1(VALU_DEP_1)
	v_add_nc_u32_e32 v31, v31, v32
	v_mov_b32_dpp v32, v31 row_shr:8 row_mask:0xf bank_mask:0xf
	s_delay_alu instid0(VALU_DEP_1) | instskip(SKIP_1) | instid1(VALU_DEP_2)
	v_cndmask_b32_e64 v14, 0, v32, s15
	v_bfe_i32 v32, v1, 4, 1
	v_add_nc_u32_e32 v14, v31, v14
	ds_swizzle_b32 v31, v14 offset:swizzle(BROADCAST,32,15)
	s_wait_dscnt 0x0
	v_dual_lshrrev_b32 v31, 5, v0 :: v_dual_bitop2_b32 v32, v32, v31 bitop3:0x40
	s_delay_alu instid0(VALU_DEP_1)
	v_add_nc_u32_e32 v14, v14, v32
	v_cmpx_eq_u32_e64 v0, v33
; %bb.29:
	s_delay_alu instid0(VALU_DEP_3)
	v_lshlrev_b32_e32 v32, 2, v31
	ds_store_b32 v32, v14
; %bb.30:
	s_or_b32 exec_lo, exec_lo, s16
	s_delay_alu instid0(SALU_CYCLE_1)
	s_mov_b32 s16, exec_lo
	s_wait_dscnt 0x0
	s_barrier_signal -1
	s_barrier_wait -1
	v_cmpx_gt_u32_e32 8, v0
	s_cbranch_execz .LBB56_32
; %bb.31:
	ds_load_b32 v32, v30
	s_wait_dscnt 0x0
	v_mov_b32_dpp v34, v32 row_shr:1 row_mask:0xf bank_mask:0xf
	v_and_b32_e32 v33, 7, v1
	s_delay_alu instid0(VALU_DEP_1) | instskip(NEXT) | instid1(VALU_DEP_1)
	v_cmp_ne_u32_e64 s15, 0, v33
	v_cndmask_b32_e64 v34, 0, v34, s15
	v_cmp_lt_u32_e64 s15, 1, v33
	s_delay_alu instid0(VALU_DEP_2) | instskip(NEXT) | instid1(VALU_DEP_1)
	v_add_nc_u32_e32 v32, v34, v32
	v_mov_b32_dpp v34, v32 row_shr:2 row_mask:0xf bank_mask:0xf
	s_delay_alu instid0(VALU_DEP_1) | instskip(SKIP_1) | instid1(VALU_DEP_2)
	v_cndmask_b32_e64 v34, 0, v34, s15
	v_cmp_lt_u32_e64 s15, 3, v33
	v_add_nc_u32_e32 v32, v32, v34
	s_delay_alu instid0(VALU_DEP_1) | instskip(NEXT) | instid1(VALU_DEP_1)
	v_mov_b32_dpp v34, v32 row_shr:4 row_mask:0xf bank_mask:0xf
	v_cndmask_b32_e64 v33, 0, v34, s15
	s_delay_alu instid0(VALU_DEP_1)
	v_add_nc_u32_e32 v32, v32, v33
	ds_store_b32 v30, v32
.LBB56_32:
	s_or_b32 exec_lo, exec_lo, s16
	s_delay_alu instid0(SALU_CYCLE_1)
	s_mov_b32 s16, exec_lo
	s_wait_dscnt 0x0
	s_barrier_signal -1
	s_barrier_wait -1
                                        ; implicit-def: $vgpr32
	v_cmpx_lt_u32_e32 31, v0
	s_cbranch_execz .LBB56_34
; %bb.33:
	v_lshl_add_u32 v31, v31, 2, -4
	ds_load_b32 v32, v31
	s_wait_dscnt 0x0
	v_add_nc_u32_e32 v14, v32, v14
.LBB56_34:
	s_or_b32 exec_lo, exec_lo, s16
	v_add_nc_u32_e32 v31, -1, v1
	s_load_b64 s[16:17], s[0:1], 0x18
	s_wait_xcnt 0x0
	s_mov_b32 s1, exec_lo
	s_delay_alu instid0(VALU_DEP_1) | instskip(NEXT) | instid1(VALU_DEP_1)
	v_cmp_gt_i32_e64 s15, 0, v31
	v_cndmask_b32_e64 v31, v31, v1, s15
	s_delay_alu instid0(VALU_DEP_1)
	v_lshlrev_b32_e32 v31, 2, v31
	ds_bpermute_b32 v33, v31, v14
	v_mul_u32_u24_e32 v31, 52, v0
	v_mov_b32_e32 v14, v6
	v_cmpx_ne_u32_e32 0, v0
	s_cbranch_execz .LBB56_36
; %bb.35:
	v_cmp_eq_u32_e64 s0, 0, v1
	;;#ASMSTART
	;;#ASMEND
	s_wait_dscnt 0x0
	s_delay_alu instid0(VALU_DEP_1) | instskip(NEXT) | instid1(VALU_DEP_1)
	v_cndmask_b32_e64 v1, v33, v32, s0
	v_add_nc_u32_e32 v14, v1, v6
	s_delay_alu instid0(VALU_DEP_1) | instskip(NEXT) | instid1(VALU_DEP_1)
	v_add_nc_u32_e32 v15, v14, v7
	v_add_nc_u32_e32 v18, v15, v8
	s_delay_alu instid0(VALU_DEP_1) | instskip(NEXT) | instid1(VALU_DEP_1)
	v_add_nc_u32_e32 v19, v18, v9
	;; [unrolled: 3-line block ×6, first 2 shown]
	v_add_nc_u32_e32 v26, v25, v28
	s_delay_alu instid0(VALU_DEP_1)
	v_add_nc_u32_e32 v27, v26, v29
.LBB56_36:
	s_or_b32 exec_lo, exec_lo, s1
	v_dual_add_nc_u32 v1, v30, v31 :: v_dual_lshlrev_b32 v0, 2, v0
	s_wait_dscnt 0x0
	s_barrier_signal -1
	s_barrier_wait -1
	ds_store_2addr_b64 v1, v[14:15], v[18:19] offset1:1
	ds_store_2addr_b64 v1, v[16:17], v[22:23] offset0:2 offset1:3
	ds_store_2addr_b64 v1, v[20:21], v[24:25] offset0:4 offset1:5
	ds_store_b64 v1, v[26:27] offset:48
	s_wait_dscnt 0x0
	s_barrier_signal -1
	s_barrier_wait -1
	ds_load_2addr_stride64_b32 v[12:13], v30 offset0:4 offset1:8
	ds_load_2addr_stride64_b32 v[10:11], v30 offset0:12 offset1:16
	;; [unrolled: 1-line block ×6, first 2 shown]
	ds_load_b32 v14, v30 offset:13312
	v_mov_b32_e32 v1, 0
	s_wait_kmcnt 0x0
	s_delay_alu instid0(VALU_DEP_1)
	v_add_nc_u64_e32 v[0:1], s[16:17], v[0:1]
	s_and_saveexec_b32 s0, vcc_lo
	s_cbranch_execnz .LBB56_51
; %bb.37:
	s_or_b32 exec_lo, exec_lo, s0
	s_and_saveexec_b32 s0, s2
	s_cbranch_execnz .LBB56_52
.LBB56_38:
	s_or_b32 exec_lo, exec_lo, s0
	s_and_saveexec_b32 s0, s3
	s_cbranch_execnz .LBB56_53
.LBB56_39:
	s_or_b32 exec_lo, exec_lo, s0
	s_and_saveexec_b32 s0, s4
	s_cbranch_execnz .LBB56_54
.LBB56_40:
	s_or_b32 exec_lo, exec_lo, s0
	s_and_saveexec_b32 s0, s5
	s_cbranch_execnz .LBB56_55
.LBB56_41:
	s_or_b32 exec_lo, exec_lo, s0
	s_and_saveexec_b32 s0, s6
	s_cbranch_execnz .LBB56_56
.LBB56_42:
	s_or_b32 exec_lo, exec_lo, s0
	s_and_saveexec_b32 s0, s7
	s_cbranch_execnz .LBB56_57
.LBB56_43:
	s_or_b32 exec_lo, exec_lo, s0
	s_and_saveexec_b32 s0, s8
	s_cbranch_execnz .LBB56_58
.LBB56_44:
	s_or_b32 exec_lo, exec_lo, s0
	s_and_saveexec_b32 s0, s9
	s_cbranch_execnz .LBB56_59
.LBB56_45:
	s_or_b32 exec_lo, exec_lo, s0
	s_and_saveexec_b32 s0, s10
	s_cbranch_execnz .LBB56_60
.LBB56_46:
	s_or_b32 exec_lo, exec_lo, s0
	s_and_saveexec_b32 s0, s11
	s_cbranch_execnz .LBB56_61
.LBB56_47:
	s_or_b32 exec_lo, exec_lo, s0
	s_and_saveexec_b32 s0, s12
	s_cbranch_execnz .LBB56_62
.LBB56_48:
	s_or_b32 exec_lo, exec_lo, s0
	s_and_saveexec_b32 s0, s13
	s_cbranch_execnz .LBB56_63
.LBB56_49:
	s_or_b32 exec_lo, exec_lo, s0
	s_and_saveexec_b32 s0, s14
	s_cbranch_execnz .LBB56_64
.LBB56_50:
	s_endpgm
.LBB56_51:
	ds_load_b32 v15, v30
	s_wait_dscnt 0x0
	global_store_b32 v[0:1], v15, off
	s_wait_xcnt 0x0
	s_or_b32 exec_lo, exec_lo, s0
	s_and_saveexec_b32 s0, s2
	s_cbranch_execz .LBB56_38
.LBB56_52:
	s_wait_dscnt 0x6
	global_store_b32 v[0:1], v12, off offset:1024
	s_wait_xcnt 0x0
	s_or_b32 exec_lo, exec_lo, s0
	s_and_saveexec_b32 s0, s3
	s_cbranch_execz .LBB56_39
.LBB56_53:
	s_wait_dscnt 0x6
	global_store_b32 v[0:1], v13, off offset:2048
	s_wait_xcnt 0x0
	s_or_b32 exec_lo, exec_lo, s0
	s_and_saveexec_b32 s0, s4
	s_cbranch_execz .LBB56_40
.LBB56_54:
	s_wait_dscnt 0x5
	global_store_b32 v[0:1], v10, off offset:3072
	s_wait_xcnt 0x0
	s_or_b32 exec_lo, exec_lo, s0
	s_and_saveexec_b32 s0, s5
	s_cbranch_execz .LBB56_41
.LBB56_55:
	s_wait_dscnt 0x5
	global_store_b32 v[0:1], v11, off offset:4096
	s_wait_xcnt 0x0
	s_or_b32 exec_lo, exec_lo, s0
	s_and_saveexec_b32 s0, s6
	s_cbranch_execz .LBB56_42
.LBB56_56:
	s_wait_dscnt 0x4
	global_store_b32 v[0:1], v8, off offset:5120
	s_wait_xcnt 0x0
	s_or_b32 exec_lo, exec_lo, s0
	s_and_saveexec_b32 s0, s7
	s_cbranch_execz .LBB56_43
.LBB56_57:
	s_wait_dscnt 0x4
	global_store_b32 v[0:1], v9, off offset:6144
	s_wait_xcnt 0x0
	s_or_b32 exec_lo, exec_lo, s0
	s_and_saveexec_b32 s0, s8
	s_cbranch_execz .LBB56_44
.LBB56_58:
	s_wait_dscnt 0x3
	global_store_b32 v[0:1], v6, off offset:7168
	s_wait_xcnt 0x0
	s_or_b32 exec_lo, exec_lo, s0
	s_and_saveexec_b32 s0, s9
	s_cbranch_execz .LBB56_45
.LBB56_59:
	s_wait_dscnt 0x3
	global_store_b32 v[0:1], v7, off offset:8192
	s_wait_xcnt 0x0
	s_or_b32 exec_lo, exec_lo, s0
	s_and_saveexec_b32 s0, s10
	s_cbranch_execz .LBB56_46
.LBB56_60:
	s_wait_dscnt 0x2
	global_store_b32 v[0:1], v4, off offset:9216
	s_wait_xcnt 0x0
	s_or_b32 exec_lo, exec_lo, s0
	s_and_saveexec_b32 s0, s11
	s_cbranch_execz .LBB56_47
.LBB56_61:
	s_wait_dscnt 0x2
	global_store_b32 v[0:1], v5, off offset:10240
	s_wait_xcnt 0x0
	s_or_b32 exec_lo, exec_lo, s0
	s_and_saveexec_b32 s0, s12
	s_cbranch_execz .LBB56_48
.LBB56_62:
	s_wait_dscnt 0x1
	global_store_b32 v[0:1], v2, off offset:11264
	s_wait_xcnt 0x0
	s_or_b32 exec_lo, exec_lo, s0
	s_and_saveexec_b32 s0, s13
	s_cbranch_execz .LBB56_49
.LBB56_63:
	s_wait_dscnt 0x1
	global_store_b32 v[0:1], v3, off offset:12288
	s_wait_xcnt 0x0
	s_or_b32 exec_lo, exec_lo, s0
	s_and_saveexec_b32 s0, s14
	s_cbranch_execz .LBB56_50
.LBB56_64:
	s_wait_dscnt 0x0
	global_store_b32 v[0:1], v14, off offset:13312
	s_endpgm
	.section	.rodata,"a",@progbits
	.p2align	6, 0x0
	.amdhsa_kernel _ZN7rocprim17ROCPRIM_400000_NS6detail17trampoline_kernelINS0_14default_configENS1_20scan_config_selectorIiEEZZNS1_9scan_implILNS1_25lookback_scan_determinismE0ELb0ELb0ES3_N6thrust23THRUST_200600_302600_NS6detail15normal_iteratorINS9_10device_ptrIiEEEESE_iNS9_4plusIvEEiEEDaPvRmT3_T4_T5_mT6_P12ihipStream_tbENKUlT_T0_E_clISt17integral_constantIbLb1EEST_IbLb0EEEEDaSP_SQ_EUlSP_E0_NS1_11comp_targetILNS1_3genE0ELNS1_11target_archE4294967295ELNS1_3gpuE0ELNS1_3repE0EEENS1_30default_config_static_selectorELNS0_4arch9wavefront6targetE0EEEvT1_
		.amdhsa_group_segment_fixed_size 14336
		.amdhsa_private_segment_fixed_size 0
		.amdhsa_kernarg_size 32
		.amdhsa_user_sgpr_count 2
		.amdhsa_user_sgpr_dispatch_ptr 0
		.amdhsa_user_sgpr_queue_ptr 0
		.amdhsa_user_sgpr_kernarg_segment_ptr 1
		.amdhsa_user_sgpr_dispatch_id 0
		.amdhsa_user_sgpr_kernarg_preload_length 0
		.amdhsa_user_sgpr_kernarg_preload_offset 0
		.amdhsa_user_sgpr_private_segment_size 0
		.amdhsa_wavefront_size32 1
		.amdhsa_uses_dynamic_stack 0
		.amdhsa_enable_private_segment 0
		.amdhsa_system_sgpr_workgroup_id_x 1
		.amdhsa_system_sgpr_workgroup_id_y 0
		.amdhsa_system_sgpr_workgroup_id_z 0
		.amdhsa_system_sgpr_workgroup_info 0
		.amdhsa_system_vgpr_workitem_id 0
		.amdhsa_next_free_vgpr 35
		.amdhsa_next_free_sgpr 20
		.amdhsa_named_barrier_count 0
		.amdhsa_reserve_vcc 1
		.amdhsa_float_round_mode_32 0
		.amdhsa_float_round_mode_16_64 0
		.amdhsa_float_denorm_mode_32 3
		.amdhsa_float_denorm_mode_16_64 3
		.amdhsa_fp16_overflow 0
		.amdhsa_memory_ordered 1
		.amdhsa_forward_progress 1
		.amdhsa_inst_pref_size 19
		.amdhsa_round_robin_scheduling 0
		.amdhsa_exception_fp_ieee_invalid_op 0
		.amdhsa_exception_fp_denorm_src 0
		.amdhsa_exception_fp_ieee_div_zero 0
		.amdhsa_exception_fp_ieee_overflow 0
		.amdhsa_exception_fp_ieee_underflow 0
		.amdhsa_exception_fp_ieee_inexact 0
		.amdhsa_exception_int_div_zero 0
	.end_amdhsa_kernel
	.section	.text._ZN7rocprim17ROCPRIM_400000_NS6detail17trampoline_kernelINS0_14default_configENS1_20scan_config_selectorIiEEZZNS1_9scan_implILNS1_25lookback_scan_determinismE0ELb0ELb0ES3_N6thrust23THRUST_200600_302600_NS6detail15normal_iteratorINS9_10device_ptrIiEEEESE_iNS9_4plusIvEEiEEDaPvRmT3_T4_T5_mT6_P12ihipStream_tbENKUlT_T0_E_clISt17integral_constantIbLb1EEST_IbLb0EEEEDaSP_SQ_EUlSP_E0_NS1_11comp_targetILNS1_3genE0ELNS1_11target_archE4294967295ELNS1_3gpuE0ELNS1_3repE0EEENS1_30default_config_static_selectorELNS0_4arch9wavefront6targetE0EEEvT1_,"axG",@progbits,_ZN7rocprim17ROCPRIM_400000_NS6detail17trampoline_kernelINS0_14default_configENS1_20scan_config_selectorIiEEZZNS1_9scan_implILNS1_25lookback_scan_determinismE0ELb0ELb0ES3_N6thrust23THRUST_200600_302600_NS6detail15normal_iteratorINS9_10device_ptrIiEEEESE_iNS9_4plusIvEEiEEDaPvRmT3_T4_T5_mT6_P12ihipStream_tbENKUlT_T0_E_clISt17integral_constantIbLb1EEST_IbLb0EEEEDaSP_SQ_EUlSP_E0_NS1_11comp_targetILNS1_3genE0ELNS1_11target_archE4294967295ELNS1_3gpuE0ELNS1_3repE0EEENS1_30default_config_static_selectorELNS0_4arch9wavefront6targetE0EEEvT1_,comdat
.Lfunc_end56:
	.size	_ZN7rocprim17ROCPRIM_400000_NS6detail17trampoline_kernelINS0_14default_configENS1_20scan_config_selectorIiEEZZNS1_9scan_implILNS1_25lookback_scan_determinismE0ELb0ELb0ES3_N6thrust23THRUST_200600_302600_NS6detail15normal_iteratorINS9_10device_ptrIiEEEESE_iNS9_4plusIvEEiEEDaPvRmT3_T4_T5_mT6_P12ihipStream_tbENKUlT_T0_E_clISt17integral_constantIbLb1EEST_IbLb0EEEEDaSP_SQ_EUlSP_E0_NS1_11comp_targetILNS1_3genE0ELNS1_11target_archE4294967295ELNS1_3gpuE0ELNS1_3repE0EEENS1_30default_config_static_selectorELNS0_4arch9wavefront6targetE0EEEvT1_, .Lfunc_end56-_ZN7rocprim17ROCPRIM_400000_NS6detail17trampoline_kernelINS0_14default_configENS1_20scan_config_selectorIiEEZZNS1_9scan_implILNS1_25lookback_scan_determinismE0ELb0ELb0ES3_N6thrust23THRUST_200600_302600_NS6detail15normal_iteratorINS9_10device_ptrIiEEEESE_iNS9_4plusIvEEiEEDaPvRmT3_T4_T5_mT6_P12ihipStream_tbENKUlT_T0_E_clISt17integral_constantIbLb1EEST_IbLb0EEEEDaSP_SQ_EUlSP_E0_NS1_11comp_targetILNS1_3genE0ELNS1_11target_archE4294967295ELNS1_3gpuE0ELNS1_3repE0EEENS1_30default_config_static_selectorELNS0_4arch9wavefront6targetE0EEEvT1_
                                        ; -- End function
	.set _ZN7rocprim17ROCPRIM_400000_NS6detail17trampoline_kernelINS0_14default_configENS1_20scan_config_selectorIiEEZZNS1_9scan_implILNS1_25lookback_scan_determinismE0ELb0ELb0ES3_N6thrust23THRUST_200600_302600_NS6detail15normal_iteratorINS9_10device_ptrIiEEEESE_iNS9_4plusIvEEiEEDaPvRmT3_T4_T5_mT6_P12ihipStream_tbENKUlT_T0_E_clISt17integral_constantIbLb1EEST_IbLb0EEEEDaSP_SQ_EUlSP_E0_NS1_11comp_targetILNS1_3genE0ELNS1_11target_archE4294967295ELNS1_3gpuE0ELNS1_3repE0EEENS1_30default_config_static_selectorELNS0_4arch9wavefront6targetE0EEEvT1_.num_vgpr, 35
	.set _ZN7rocprim17ROCPRIM_400000_NS6detail17trampoline_kernelINS0_14default_configENS1_20scan_config_selectorIiEEZZNS1_9scan_implILNS1_25lookback_scan_determinismE0ELb0ELb0ES3_N6thrust23THRUST_200600_302600_NS6detail15normal_iteratorINS9_10device_ptrIiEEEESE_iNS9_4plusIvEEiEEDaPvRmT3_T4_T5_mT6_P12ihipStream_tbENKUlT_T0_E_clISt17integral_constantIbLb1EEST_IbLb0EEEEDaSP_SQ_EUlSP_E0_NS1_11comp_targetILNS1_3genE0ELNS1_11target_archE4294967295ELNS1_3gpuE0ELNS1_3repE0EEENS1_30default_config_static_selectorELNS0_4arch9wavefront6targetE0EEEvT1_.num_agpr, 0
	.set _ZN7rocprim17ROCPRIM_400000_NS6detail17trampoline_kernelINS0_14default_configENS1_20scan_config_selectorIiEEZZNS1_9scan_implILNS1_25lookback_scan_determinismE0ELb0ELb0ES3_N6thrust23THRUST_200600_302600_NS6detail15normal_iteratorINS9_10device_ptrIiEEEESE_iNS9_4plusIvEEiEEDaPvRmT3_T4_T5_mT6_P12ihipStream_tbENKUlT_T0_E_clISt17integral_constantIbLb1EEST_IbLb0EEEEDaSP_SQ_EUlSP_E0_NS1_11comp_targetILNS1_3genE0ELNS1_11target_archE4294967295ELNS1_3gpuE0ELNS1_3repE0EEENS1_30default_config_static_selectorELNS0_4arch9wavefront6targetE0EEEvT1_.numbered_sgpr, 20
	.set _ZN7rocprim17ROCPRIM_400000_NS6detail17trampoline_kernelINS0_14default_configENS1_20scan_config_selectorIiEEZZNS1_9scan_implILNS1_25lookback_scan_determinismE0ELb0ELb0ES3_N6thrust23THRUST_200600_302600_NS6detail15normal_iteratorINS9_10device_ptrIiEEEESE_iNS9_4plusIvEEiEEDaPvRmT3_T4_T5_mT6_P12ihipStream_tbENKUlT_T0_E_clISt17integral_constantIbLb1EEST_IbLb0EEEEDaSP_SQ_EUlSP_E0_NS1_11comp_targetILNS1_3genE0ELNS1_11target_archE4294967295ELNS1_3gpuE0ELNS1_3repE0EEENS1_30default_config_static_selectorELNS0_4arch9wavefront6targetE0EEEvT1_.num_named_barrier, 0
	.set _ZN7rocprim17ROCPRIM_400000_NS6detail17trampoline_kernelINS0_14default_configENS1_20scan_config_selectorIiEEZZNS1_9scan_implILNS1_25lookback_scan_determinismE0ELb0ELb0ES3_N6thrust23THRUST_200600_302600_NS6detail15normal_iteratorINS9_10device_ptrIiEEEESE_iNS9_4plusIvEEiEEDaPvRmT3_T4_T5_mT6_P12ihipStream_tbENKUlT_T0_E_clISt17integral_constantIbLb1EEST_IbLb0EEEEDaSP_SQ_EUlSP_E0_NS1_11comp_targetILNS1_3genE0ELNS1_11target_archE4294967295ELNS1_3gpuE0ELNS1_3repE0EEENS1_30default_config_static_selectorELNS0_4arch9wavefront6targetE0EEEvT1_.private_seg_size, 0
	.set _ZN7rocprim17ROCPRIM_400000_NS6detail17trampoline_kernelINS0_14default_configENS1_20scan_config_selectorIiEEZZNS1_9scan_implILNS1_25lookback_scan_determinismE0ELb0ELb0ES3_N6thrust23THRUST_200600_302600_NS6detail15normal_iteratorINS9_10device_ptrIiEEEESE_iNS9_4plusIvEEiEEDaPvRmT3_T4_T5_mT6_P12ihipStream_tbENKUlT_T0_E_clISt17integral_constantIbLb1EEST_IbLb0EEEEDaSP_SQ_EUlSP_E0_NS1_11comp_targetILNS1_3genE0ELNS1_11target_archE4294967295ELNS1_3gpuE0ELNS1_3repE0EEENS1_30default_config_static_selectorELNS0_4arch9wavefront6targetE0EEEvT1_.uses_vcc, 1
	.set _ZN7rocprim17ROCPRIM_400000_NS6detail17trampoline_kernelINS0_14default_configENS1_20scan_config_selectorIiEEZZNS1_9scan_implILNS1_25lookback_scan_determinismE0ELb0ELb0ES3_N6thrust23THRUST_200600_302600_NS6detail15normal_iteratorINS9_10device_ptrIiEEEESE_iNS9_4plusIvEEiEEDaPvRmT3_T4_T5_mT6_P12ihipStream_tbENKUlT_T0_E_clISt17integral_constantIbLb1EEST_IbLb0EEEEDaSP_SQ_EUlSP_E0_NS1_11comp_targetILNS1_3genE0ELNS1_11target_archE4294967295ELNS1_3gpuE0ELNS1_3repE0EEENS1_30default_config_static_selectorELNS0_4arch9wavefront6targetE0EEEvT1_.uses_flat_scratch, 0
	.set _ZN7rocprim17ROCPRIM_400000_NS6detail17trampoline_kernelINS0_14default_configENS1_20scan_config_selectorIiEEZZNS1_9scan_implILNS1_25lookback_scan_determinismE0ELb0ELb0ES3_N6thrust23THRUST_200600_302600_NS6detail15normal_iteratorINS9_10device_ptrIiEEEESE_iNS9_4plusIvEEiEEDaPvRmT3_T4_T5_mT6_P12ihipStream_tbENKUlT_T0_E_clISt17integral_constantIbLb1EEST_IbLb0EEEEDaSP_SQ_EUlSP_E0_NS1_11comp_targetILNS1_3genE0ELNS1_11target_archE4294967295ELNS1_3gpuE0ELNS1_3repE0EEENS1_30default_config_static_selectorELNS0_4arch9wavefront6targetE0EEEvT1_.has_dyn_sized_stack, 0
	.set _ZN7rocprim17ROCPRIM_400000_NS6detail17trampoline_kernelINS0_14default_configENS1_20scan_config_selectorIiEEZZNS1_9scan_implILNS1_25lookback_scan_determinismE0ELb0ELb0ES3_N6thrust23THRUST_200600_302600_NS6detail15normal_iteratorINS9_10device_ptrIiEEEESE_iNS9_4plusIvEEiEEDaPvRmT3_T4_T5_mT6_P12ihipStream_tbENKUlT_T0_E_clISt17integral_constantIbLb1EEST_IbLb0EEEEDaSP_SQ_EUlSP_E0_NS1_11comp_targetILNS1_3genE0ELNS1_11target_archE4294967295ELNS1_3gpuE0ELNS1_3repE0EEENS1_30default_config_static_selectorELNS0_4arch9wavefront6targetE0EEEvT1_.has_recursion, 0
	.set _ZN7rocprim17ROCPRIM_400000_NS6detail17trampoline_kernelINS0_14default_configENS1_20scan_config_selectorIiEEZZNS1_9scan_implILNS1_25lookback_scan_determinismE0ELb0ELb0ES3_N6thrust23THRUST_200600_302600_NS6detail15normal_iteratorINS9_10device_ptrIiEEEESE_iNS9_4plusIvEEiEEDaPvRmT3_T4_T5_mT6_P12ihipStream_tbENKUlT_T0_E_clISt17integral_constantIbLb1EEST_IbLb0EEEEDaSP_SQ_EUlSP_E0_NS1_11comp_targetILNS1_3genE0ELNS1_11target_archE4294967295ELNS1_3gpuE0ELNS1_3repE0EEENS1_30default_config_static_selectorELNS0_4arch9wavefront6targetE0EEEvT1_.has_indirect_call, 0
	.section	.AMDGPU.csdata,"",@progbits
; Kernel info:
; codeLenInByte = 2348
; TotalNumSgprs: 22
; NumVgprs: 35
; ScratchSize: 0
; MemoryBound: 0
; FloatMode: 240
; IeeeMode: 1
; LDSByteSize: 14336 bytes/workgroup (compile time only)
; SGPRBlocks: 0
; VGPRBlocks: 2
; NumSGPRsForWavesPerEU: 22
; NumVGPRsForWavesPerEU: 35
; NamedBarCnt: 0
; Occupancy: 16
; WaveLimiterHint : 0
; COMPUTE_PGM_RSRC2:SCRATCH_EN: 0
; COMPUTE_PGM_RSRC2:USER_SGPR: 2
; COMPUTE_PGM_RSRC2:TRAP_HANDLER: 0
; COMPUTE_PGM_RSRC2:TGID_X_EN: 1
; COMPUTE_PGM_RSRC2:TGID_Y_EN: 0
; COMPUTE_PGM_RSRC2:TGID_Z_EN: 0
; COMPUTE_PGM_RSRC2:TIDIG_COMP_CNT: 0
	.section	.text._ZN7rocprim17ROCPRIM_400000_NS6detail17trampoline_kernelINS0_14default_configENS1_20scan_config_selectorIiEEZZNS1_9scan_implILNS1_25lookback_scan_determinismE0ELb0ELb0ES3_N6thrust23THRUST_200600_302600_NS6detail15normal_iteratorINS9_10device_ptrIiEEEESE_iNS9_4plusIvEEiEEDaPvRmT3_T4_T5_mT6_P12ihipStream_tbENKUlT_T0_E_clISt17integral_constantIbLb1EEST_IbLb0EEEEDaSP_SQ_EUlSP_E0_NS1_11comp_targetILNS1_3genE5ELNS1_11target_archE942ELNS1_3gpuE9ELNS1_3repE0EEENS1_30default_config_static_selectorELNS0_4arch9wavefront6targetE0EEEvT1_,"axG",@progbits,_ZN7rocprim17ROCPRIM_400000_NS6detail17trampoline_kernelINS0_14default_configENS1_20scan_config_selectorIiEEZZNS1_9scan_implILNS1_25lookback_scan_determinismE0ELb0ELb0ES3_N6thrust23THRUST_200600_302600_NS6detail15normal_iteratorINS9_10device_ptrIiEEEESE_iNS9_4plusIvEEiEEDaPvRmT3_T4_T5_mT6_P12ihipStream_tbENKUlT_T0_E_clISt17integral_constantIbLb1EEST_IbLb0EEEEDaSP_SQ_EUlSP_E0_NS1_11comp_targetILNS1_3genE5ELNS1_11target_archE942ELNS1_3gpuE9ELNS1_3repE0EEENS1_30default_config_static_selectorELNS0_4arch9wavefront6targetE0EEEvT1_,comdat
	.protected	_ZN7rocprim17ROCPRIM_400000_NS6detail17trampoline_kernelINS0_14default_configENS1_20scan_config_selectorIiEEZZNS1_9scan_implILNS1_25lookback_scan_determinismE0ELb0ELb0ES3_N6thrust23THRUST_200600_302600_NS6detail15normal_iteratorINS9_10device_ptrIiEEEESE_iNS9_4plusIvEEiEEDaPvRmT3_T4_T5_mT6_P12ihipStream_tbENKUlT_T0_E_clISt17integral_constantIbLb1EEST_IbLb0EEEEDaSP_SQ_EUlSP_E0_NS1_11comp_targetILNS1_3genE5ELNS1_11target_archE942ELNS1_3gpuE9ELNS1_3repE0EEENS1_30default_config_static_selectorELNS0_4arch9wavefront6targetE0EEEvT1_ ; -- Begin function _ZN7rocprim17ROCPRIM_400000_NS6detail17trampoline_kernelINS0_14default_configENS1_20scan_config_selectorIiEEZZNS1_9scan_implILNS1_25lookback_scan_determinismE0ELb0ELb0ES3_N6thrust23THRUST_200600_302600_NS6detail15normal_iteratorINS9_10device_ptrIiEEEESE_iNS9_4plusIvEEiEEDaPvRmT3_T4_T5_mT6_P12ihipStream_tbENKUlT_T0_E_clISt17integral_constantIbLb1EEST_IbLb0EEEEDaSP_SQ_EUlSP_E0_NS1_11comp_targetILNS1_3genE5ELNS1_11target_archE942ELNS1_3gpuE9ELNS1_3repE0EEENS1_30default_config_static_selectorELNS0_4arch9wavefront6targetE0EEEvT1_
	.globl	_ZN7rocprim17ROCPRIM_400000_NS6detail17trampoline_kernelINS0_14default_configENS1_20scan_config_selectorIiEEZZNS1_9scan_implILNS1_25lookback_scan_determinismE0ELb0ELb0ES3_N6thrust23THRUST_200600_302600_NS6detail15normal_iteratorINS9_10device_ptrIiEEEESE_iNS9_4plusIvEEiEEDaPvRmT3_T4_T5_mT6_P12ihipStream_tbENKUlT_T0_E_clISt17integral_constantIbLb1EEST_IbLb0EEEEDaSP_SQ_EUlSP_E0_NS1_11comp_targetILNS1_3genE5ELNS1_11target_archE942ELNS1_3gpuE9ELNS1_3repE0EEENS1_30default_config_static_selectorELNS0_4arch9wavefront6targetE0EEEvT1_
	.p2align	8
	.type	_ZN7rocprim17ROCPRIM_400000_NS6detail17trampoline_kernelINS0_14default_configENS1_20scan_config_selectorIiEEZZNS1_9scan_implILNS1_25lookback_scan_determinismE0ELb0ELb0ES3_N6thrust23THRUST_200600_302600_NS6detail15normal_iteratorINS9_10device_ptrIiEEEESE_iNS9_4plusIvEEiEEDaPvRmT3_T4_T5_mT6_P12ihipStream_tbENKUlT_T0_E_clISt17integral_constantIbLb1EEST_IbLb0EEEEDaSP_SQ_EUlSP_E0_NS1_11comp_targetILNS1_3genE5ELNS1_11target_archE942ELNS1_3gpuE9ELNS1_3repE0EEENS1_30default_config_static_selectorELNS0_4arch9wavefront6targetE0EEEvT1_,@function
_ZN7rocprim17ROCPRIM_400000_NS6detail17trampoline_kernelINS0_14default_configENS1_20scan_config_selectorIiEEZZNS1_9scan_implILNS1_25lookback_scan_determinismE0ELb0ELb0ES3_N6thrust23THRUST_200600_302600_NS6detail15normal_iteratorINS9_10device_ptrIiEEEESE_iNS9_4plusIvEEiEEDaPvRmT3_T4_T5_mT6_P12ihipStream_tbENKUlT_T0_E_clISt17integral_constantIbLb1EEST_IbLb0EEEEDaSP_SQ_EUlSP_E0_NS1_11comp_targetILNS1_3genE5ELNS1_11target_archE942ELNS1_3gpuE9ELNS1_3repE0EEENS1_30default_config_static_selectorELNS0_4arch9wavefront6targetE0EEEvT1_: ; @_ZN7rocprim17ROCPRIM_400000_NS6detail17trampoline_kernelINS0_14default_configENS1_20scan_config_selectorIiEEZZNS1_9scan_implILNS1_25lookback_scan_determinismE0ELb0ELb0ES3_N6thrust23THRUST_200600_302600_NS6detail15normal_iteratorINS9_10device_ptrIiEEEESE_iNS9_4plusIvEEiEEDaPvRmT3_T4_T5_mT6_P12ihipStream_tbENKUlT_T0_E_clISt17integral_constantIbLb1EEST_IbLb0EEEEDaSP_SQ_EUlSP_E0_NS1_11comp_targetILNS1_3genE5ELNS1_11target_archE942ELNS1_3gpuE9ELNS1_3repE0EEENS1_30default_config_static_selectorELNS0_4arch9wavefront6targetE0EEEvT1_
; %bb.0:
	.section	.rodata,"a",@progbits
	.p2align	6, 0x0
	.amdhsa_kernel _ZN7rocprim17ROCPRIM_400000_NS6detail17trampoline_kernelINS0_14default_configENS1_20scan_config_selectorIiEEZZNS1_9scan_implILNS1_25lookback_scan_determinismE0ELb0ELb0ES3_N6thrust23THRUST_200600_302600_NS6detail15normal_iteratorINS9_10device_ptrIiEEEESE_iNS9_4plusIvEEiEEDaPvRmT3_T4_T5_mT6_P12ihipStream_tbENKUlT_T0_E_clISt17integral_constantIbLb1EEST_IbLb0EEEEDaSP_SQ_EUlSP_E0_NS1_11comp_targetILNS1_3genE5ELNS1_11target_archE942ELNS1_3gpuE9ELNS1_3repE0EEENS1_30default_config_static_selectorELNS0_4arch9wavefront6targetE0EEEvT1_
		.amdhsa_group_segment_fixed_size 0
		.amdhsa_private_segment_fixed_size 0
		.amdhsa_kernarg_size 32
		.amdhsa_user_sgpr_count 2
		.amdhsa_user_sgpr_dispatch_ptr 0
		.amdhsa_user_sgpr_queue_ptr 0
		.amdhsa_user_sgpr_kernarg_segment_ptr 1
		.amdhsa_user_sgpr_dispatch_id 0
		.amdhsa_user_sgpr_kernarg_preload_length 0
		.amdhsa_user_sgpr_kernarg_preload_offset 0
		.amdhsa_user_sgpr_private_segment_size 0
		.amdhsa_wavefront_size32 1
		.amdhsa_uses_dynamic_stack 0
		.amdhsa_enable_private_segment 0
		.amdhsa_system_sgpr_workgroup_id_x 1
		.amdhsa_system_sgpr_workgroup_id_y 0
		.amdhsa_system_sgpr_workgroup_id_z 0
		.amdhsa_system_sgpr_workgroup_info 0
		.amdhsa_system_vgpr_workitem_id 0
		.amdhsa_next_free_vgpr 1
		.amdhsa_next_free_sgpr 1
		.amdhsa_named_barrier_count 0
		.amdhsa_reserve_vcc 0
		.amdhsa_float_round_mode_32 0
		.amdhsa_float_round_mode_16_64 0
		.amdhsa_float_denorm_mode_32 3
		.amdhsa_float_denorm_mode_16_64 3
		.amdhsa_fp16_overflow 0
		.amdhsa_memory_ordered 1
		.amdhsa_forward_progress 1
		.amdhsa_inst_pref_size 0
		.amdhsa_round_robin_scheduling 0
		.amdhsa_exception_fp_ieee_invalid_op 0
		.amdhsa_exception_fp_denorm_src 0
		.amdhsa_exception_fp_ieee_div_zero 0
		.amdhsa_exception_fp_ieee_overflow 0
		.amdhsa_exception_fp_ieee_underflow 0
		.amdhsa_exception_fp_ieee_inexact 0
		.amdhsa_exception_int_div_zero 0
	.end_amdhsa_kernel
	.section	.text._ZN7rocprim17ROCPRIM_400000_NS6detail17trampoline_kernelINS0_14default_configENS1_20scan_config_selectorIiEEZZNS1_9scan_implILNS1_25lookback_scan_determinismE0ELb0ELb0ES3_N6thrust23THRUST_200600_302600_NS6detail15normal_iteratorINS9_10device_ptrIiEEEESE_iNS9_4plusIvEEiEEDaPvRmT3_T4_T5_mT6_P12ihipStream_tbENKUlT_T0_E_clISt17integral_constantIbLb1EEST_IbLb0EEEEDaSP_SQ_EUlSP_E0_NS1_11comp_targetILNS1_3genE5ELNS1_11target_archE942ELNS1_3gpuE9ELNS1_3repE0EEENS1_30default_config_static_selectorELNS0_4arch9wavefront6targetE0EEEvT1_,"axG",@progbits,_ZN7rocprim17ROCPRIM_400000_NS6detail17trampoline_kernelINS0_14default_configENS1_20scan_config_selectorIiEEZZNS1_9scan_implILNS1_25lookback_scan_determinismE0ELb0ELb0ES3_N6thrust23THRUST_200600_302600_NS6detail15normal_iteratorINS9_10device_ptrIiEEEESE_iNS9_4plusIvEEiEEDaPvRmT3_T4_T5_mT6_P12ihipStream_tbENKUlT_T0_E_clISt17integral_constantIbLb1EEST_IbLb0EEEEDaSP_SQ_EUlSP_E0_NS1_11comp_targetILNS1_3genE5ELNS1_11target_archE942ELNS1_3gpuE9ELNS1_3repE0EEENS1_30default_config_static_selectorELNS0_4arch9wavefront6targetE0EEEvT1_,comdat
.Lfunc_end57:
	.size	_ZN7rocprim17ROCPRIM_400000_NS6detail17trampoline_kernelINS0_14default_configENS1_20scan_config_selectorIiEEZZNS1_9scan_implILNS1_25lookback_scan_determinismE0ELb0ELb0ES3_N6thrust23THRUST_200600_302600_NS6detail15normal_iteratorINS9_10device_ptrIiEEEESE_iNS9_4plusIvEEiEEDaPvRmT3_T4_T5_mT6_P12ihipStream_tbENKUlT_T0_E_clISt17integral_constantIbLb1EEST_IbLb0EEEEDaSP_SQ_EUlSP_E0_NS1_11comp_targetILNS1_3genE5ELNS1_11target_archE942ELNS1_3gpuE9ELNS1_3repE0EEENS1_30default_config_static_selectorELNS0_4arch9wavefront6targetE0EEEvT1_, .Lfunc_end57-_ZN7rocprim17ROCPRIM_400000_NS6detail17trampoline_kernelINS0_14default_configENS1_20scan_config_selectorIiEEZZNS1_9scan_implILNS1_25lookback_scan_determinismE0ELb0ELb0ES3_N6thrust23THRUST_200600_302600_NS6detail15normal_iteratorINS9_10device_ptrIiEEEESE_iNS9_4plusIvEEiEEDaPvRmT3_T4_T5_mT6_P12ihipStream_tbENKUlT_T0_E_clISt17integral_constantIbLb1EEST_IbLb0EEEEDaSP_SQ_EUlSP_E0_NS1_11comp_targetILNS1_3genE5ELNS1_11target_archE942ELNS1_3gpuE9ELNS1_3repE0EEENS1_30default_config_static_selectorELNS0_4arch9wavefront6targetE0EEEvT1_
                                        ; -- End function
	.set _ZN7rocprim17ROCPRIM_400000_NS6detail17trampoline_kernelINS0_14default_configENS1_20scan_config_selectorIiEEZZNS1_9scan_implILNS1_25lookback_scan_determinismE0ELb0ELb0ES3_N6thrust23THRUST_200600_302600_NS6detail15normal_iteratorINS9_10device_ptrIiEEEESE_iNS9_4plusIvEEiEEDaPvRmT3_T4_T5_mT6_P12ihipStream_tbENKUlT_T0_E_clISt17integral_constantIbLb1EEST_IbLb0EEEEDaSP_SQ_EUlSP_E0_NS1_11comp_targetILNS1_3genE5ELNS1_11target_archE942ELNS1_3gpuE9ELNS1_3repE0EEENS1_30default_config_static_selectorELNS0_4arch9wavefront6targetE0EEEvT1_.num_vgpr, 0
	.set _ZN7rocprim17ROCPRIM_400000_NS6detail17trampoline_kernelINS0_14default_configENS1_20scan_config_selectorIiEEZZNS1_9scan_implILNS1_25lookback_scan_determinismE0ELb0ELb0ES3_N6thrust23THRUST_200600_302600_NS6detail15normal_iteratorINS9_10device_ptrIiEEEESE_iNS9_4plusIvEEiEEDaPvRmT3_T4_T5_mT6_P12ihipStream_tbENKUlT_T0_E_clISt17integral_constantIbLb1EEST_IbLb0EEEEDaSP_SQ_EUlSP_E0_NS1_11comp_targetILNS1_3genE5ELNS1_11target_archE942ELNS1_3gpuE9ELNS1_3repE0EEENS1_30default_config_static_selectorELNS0_4arch9wavefront6targetE0EEEvT1_.num_agpr, 0
	.set _ZN7rocprim17ROCPRIM_400000_NS6detail17trampoline_kernelINS0_14default_configENS1_20scan_config_selectorIiEEZZNS1_9scan_implILNS1_25lookback_scan_determinismE0ELb0ELb0ES3_N6thrust23THRUST_200600_302600_NS6detail15normal_iteratorINS9_10device_ptrIiEEEESE_iNS9_4plusIvEEiEEDaPvRmT3_T4_T5_mT6_P12ihipStream_tbENKUlT_T0_E_clISt17integral_constantIbLb1EEST_IbLb0EEEEDaSP_SQ_EUlSP_E0_NS1_11comp_targetILNS1_3genE5ELNS1_11target_archE942ELNS1_3gpuE9ELNS1_3repE0EEENS1_30default_config_static_selectorELNS0_4arch9wavefront6targetE0EEEvT1_.numbered_sgpr, 0
	.set _ZN7rocprim17ROCPRIM_400000_NS6detail17trampoline_kernelINS0_14default_configENS1_20scan_config_selectorIiEEZZNS1_9scan_implILNS1_25lookback_scan_determinismE0ELb0ELb0ES3_N6thrust23THRUST_200600_302600_NS6detail15normal_iteratorINS9_10device_ptrIiEEEESE_iNS9_4plusIvEEiEEDaPvRmT3_T4_T5_mT6_P12ihipStream_tbENKUlT_T0_E_clISt17integral_constantIbLb1EEST_IbLb0EEEEDaSP_SQ_EUlSP_E0_NS1_11comp_targetILNS1_3genE5ELNS1_11target_archE942ELNS1_3gpuE9ELNS1_3repE0EEENS1_30default_config_static_selectorELNS0_4arch9wavefront6targetE0EEEvT1_.num_named_barrier, 0
	.set _ZN7rocprim17ROCPRIM_400000_NS6detail17trampoline_kernelINS0_14default_configENS1_20scan_config_selectorIiEEZZNS1_9scan_implILNS1_25lookback_scan_determinismE0ELb0ELb0ES3_N6thrust23THRUST_200600_302600_NS6detail15normal_iteratorINS9_10device_ptrIiEEEESE_iNS9_4plusIvEEiEEDaPvRmT3_T4_T5_mT6_P12ihipStream_tbENKUlT_T0_E_clISt17integral_constantIbLb1EEST_IbLb0EEEEDaSP_SQ_EUlSP_E0_NS1_11comp_targetILNS1_3genE5ELNS1_11target_archE942ELNS1_3gpuE9ELNS1_3repE0EEENS1_30default_config_static_selectorELNS0_4arch9wavefront6targetE0EEEvT1_.private_seg_size, 0
	.set _ZN7rocprim17ROCPRIM_400000_NS6detail17trampoline_kernelINS0_14default_configENS1_20scan_config_selectorIiEEZZNS1_9scan_implILNS1_25lookback_scan_determinismE0ELb0ELb0ES3_N6thrust23THRUST_200600_302600_NS6detail15normal_iteratorINS9_10device_ptrIiEEEESE_iNS9_4plusIvEEiEEDaPvRmT3_T4_T5_mT6_P12ihipStream_tbENKUlT_T0_E_clISt17integral_constantIbLb1EEST_IbLb0EEEEDaSP_SQ_EUlSP_E0_NS1_11comp_targetILNS1_3genE5ELNS1_11target_archE942ELNS1_3gpuE9ELNS1_3repE0EEENS1_30default_config_static_selectorELNS0_4arch9wavefront6targetE0EEEvT1_.uses_vcc, 0
	.set _ZN7rocprim17ROCPRIM_400000_NS6detail17trampoline_kernelINS0_14default_configENS1_20scan_config_selectorIiEEZZNS1_9scan_implILNS1_25lookback_scan_determinismE0ELb0ELb0ES3_N6thrust23THRUST_200600_302600_NS6detail15normal_iteratorINS9_10device_ptrIiEEEESE_iNS9_4plusIvEEiEEDaPvRmT3_T4_T5_mT6_P12ihipStream_tbENKUlT_T0_E_clISt17integral_constantIbLb1EEST_IbLb0EEEEDaSP_SQ_EUlSP_E0_NS1_11comp_targetILNS1_3genE5ELNS1_11target_archE942ELNS1_3gpuE9ELNS1_3repE0EEENS1_30default_config_static_selectorELNS0_4arch9wavefront6targetE0EEEvT1_.uses_flat_scratch, 0
	.set _ZN7rocprim17ROCPRIM_400000_NS6detail17trampoline_kernelINS0_14default_configENS1_20scan_config_selectorIiEEZZNS1_9scan_implILNS1_25lookback_scan_determinismE0ELb0ELb0ES3_N6thrust23THRUST_200600_302600_NS6detail15normal_iteratorINS9_10device_ptrIiEEEESE_iNS9_4plusIvEEiEEDaPvRmT3_T4_T5_mT6_P12ihipStream_tbENKUlT_T0_E_clISt17integral_constantIbLb1EEST_IbLb0EEEEDaSP_SQ_EUlSP_E0_NS1_11comp_targetILNS1_3genE5ELNS1_11target_archE942ELNS1_3gpuE9ELNS1_3repE0EEENS1_30default_config_static_selectorELNS0_4arch9wavefront6targetE0EEEvT1_.has_dyn_sized_stack, 0
	.set _ZN7rocprim17ROCPRIM_400000_NS6detail17trampoline_kernelINS0_14default_configENS1_20scan_config_selectorIiEEZZNS1_9scan_implILNS1_25lookback_scan_determinismE0ELb0ELb0ES3_N6thrust23THRUST_200600_302600_NS6detail15normal_iteratorINS9_10device_ptrIiEEEESE_iNS9_4plusIvEEiEEDaPvRmT3_T4_T5_mT6_P12ihipStream_tbENKUlT_T0_E_clISt17integral_constantIbLb1EEST_IbLb0EEEEDaSP_SQ_EUlSP_E0_NS1_11comp_targetILNS1_3genE5ELNS1_11target_archE942ELNS1_3gpuE9ELNS1_3repE0EEENS1_30default_config_static_selectorELNS0_4arch9wavefront6targetE0EEEvT1_.has_recursion, 0
	.set _ZN7rocprim17ROCPRIM_400000_NS6detail17trampoline_kernelINS0_14default_configENS1_20scan_config_selectorIiEEZZNS1_9scan_implILNS1_25lookback_scan_determinismE0ELb0ELb0ES3_N6thrust23THRUST_200600_302600_NS6detail15normal_iteratorINS9_10device_ptrIiEEEESE_iNS9_4plusIvEEiEEDaPvRmT3_T4_T5_mT6_P12ihipStream_tbENKUlT_T0_E_clISt17integral_constantIbLb1EEST_IbLb0EEEEDaSP_SQ_EUlSP_E0_NS1_11comp_targetILNS1_3genE5ELNS1_11target_archE942ELNS1_3gpuE9ELNS1_3repE0EEENS1_30default_config_static_selectorELNS0_4arch9wavefront6targetE0EEEvT1_.has_indirect_call, 0
	.section	.AMDGPU.csdata,"",@progbits
; Kernel info:
; codeLenInByte = 0
; TotalNumSgprs: 0
; NumVgprs: 0
; ScratchSize: 0
; MemoryBound: 0
; FloatMode: 240
; IeeeMode: 1
; LDSByteSize: 0 bytes/workgroup (compile time only)
; SGPRBlocks: 0
; VGPRBlocks: 0
; NumSGPRsForWavesPerEU: 1
; NumVGPRsForWavesPerEU: 1
; NamedBarCnt: 0
; Occupancy: 16
; WaveLimiterHint : 0
; COMPUTE_PGM_RSRC2:SCRATCH_EN: 0
; COMPUTE_PGM_RSRC2:USER_SGPR: 2
; COMPUTE_PGM_RSRC2:TRAP_HANDLER: 0
; COMPUTE_PGM_RSRC2:TGID_X_EN: 1
; COMPUTE_PGM_RSRC2:TGID_Y_EN: 0
; COMPUTE_PGM_RSRC2:TGID_Z_EN: 0
; COMPUTE_PGM_RSRC2:TIDIG_COMP_CNT: 0
	.section	.text._ZN7rocprim17ROCPRIM_400000_NS6detail17trampoline_kernelINS0_14default_configENS1_20scan_config_selectorIiEEZZNS1_9scan_implILNS1_25lookback_scan_determinismE0ELb0ELb0ES3_N6thrust23THRUST_200600_302600_NS6detail15normal_iteratorINS9_10device_ptrIiEEEESE_iNS9_4plusIvEEiEEDaPvRmT3_T4_T5_mT6_P12ihipStream_tbENKUlT_T0_E_clISt17integral_constantIbLb1EEST_IbLb0EEEEDaSP_SQ_EUlSP_E0_NS1_11comp_targetILNS1_3genE4ELNS1_11target_archE910ELNS1_3gpuE8ELNS1_3repE0EEENS1_30default_config_static_selectorELNS0_4arch9wavefront6targetE0EEEvT1_,"axG",@progbits,_ZN7rocprim17ROCPRIM_400000_NS6detail17trampoline_kernelINS0_14default_configENS1_20scan_config_selectorIiEEZZNS1_9scan_implILNS1_25lookback_scan_determinismE0ELb0ELb0ES3_N6thrust23THRUST_200600_302600_NS6detail15normal_iteratorINS9_10device_ptrIiEEEESE_iNS9_4plusIvEEiEEDaPvRmT3_T4_T5_mT6_P12ihipStream_tbENKUlT_T0_E_clISt17integral_constantIbLb1EEST_IbLb0EEEEDaSP_SQ_EUlSP_E0_NS1_11comp_targetILNS1_3genE4ELNS1_11target_archE910ELNS1_3gpuE8ELNS1_3repE0EEENS1_30default_config_static_selectorELNS0_4arch9wavefront6targetE0EEEvT1_,comdat
	.protected	_ZN7rocprim17ROCPRIM_400000_NS6detail17trampoline_kernelINS0_14default_configENS1_20scan_config_selectorIiEEZZNS1_9scan_implILNS1_25lookback_scan_determinismE0ELb0ELb0ES3_N6thrust23THRUST_200600_302600_NS6detail15normal_iteratorINS9_10device_ptrIiEEEESE_iNS9_4plusIvEEiEEDaPvRmT3_T4_T5_mT6_P12ihipStream_tbENKUlT_T0_E_clISt17integral_constantIbLb1EEST_IbLb0EEEEDaSP_SQ_EUlSP_E0_NS1_11comp_targetILNS1_3genE4ELNS1_11target_archE910ELNS1_3gpuE8ELNS1_3repE0EEENS1_30default_config_static_selectorELNS0_4arch9wavefront6targetE0EEEvT1_ ; -- Begin function _ZN7rocprim17ROCPRIM_400000_NS6detail17trampoline_kernelINS0_14default_configENS1_20scan_config_selectorIiEEZZNS1_9scan_implILNS1_25lookback_scan_determinismE0ELb0ELb0ES3_N6thrust23THRUST_200600_302600_NS6detail15normal_iteratorINS9_10device_ptrIiEEEESE_iNS9_4plusIvEEiEEDaPvRmT3_T4_T5_mT6_P12ihipStream_tbENKUlT_T0_E_clISt17integral_constantIbLb1EEST_IbLb0EEEEDaSP_SQ_EUlSP_E0_NS1_11comp_targetILNS1_3genE4ELNS1_11target_archE910ELNS1_3gpuE8ELNS1_3repE0EEENS1_30default_config_static_selectorELNS0_4arch9wavefront6targetE0EEEvT1_
	.globl	_ZN7rocprim17ROCPRIM_400000_NS6detail17trampoline_kernelINS0_14default_configENS1_20scan_config_selectorIiEEZZNS1_9scan_implILNS1_25lookback_scan_determinismE0ELb0ELb0ES3_N6thrust23THRUST_200600_302600_NS6detail15normal_iteratorINS9_10device_ptrIiEEEESE_iNS9_4plusIvEEiEEDaPvRmT3_T4_T5_mT6_P12ihipStream_tbENKUlT_T0_E_clISt17integral_constantIbLb1EEST_IbLb0EEEEDaSP_SQ_EUlSP_E0_NS1_11comp_targetILNS1_3genE4ELNS1_11target_archE910ELNS1_3gpuE8ELNS1_3repE0EEENS1_30default_config_static_selectorELNS0_4arch9wavefront6targetE0EEEvT1_
	.p2align	8
	.type	_ZN7rocprim17ROCPRIM_400000_NS6detail17trampoline_kernelINS0_14default_configENS1_20scan_config_selectorIiEEZZNS1_9scan_implILNS1_25lookback_scan_determinismE0ELb0ELb0ES3_N6thrust23THRUST_200600_302600_NS6detail15normal_iteratorINS9_10device_ptrIiEEEESE_iNS9_4plusIvEEiEEDaPvRmT3_T4_T5_mT6_P12ihipStream_tbENKUlT_T0_E_clISt17integral_constantIbLb1EEST_IbLb0EEEEDaSP_SQ_EUlSP_E0_NS1_11comp_targetILNS1_3genE4ELNS1_11target_archE910ELNS1_3gpuE8ELNS1_3repE0EEENS1_30default_config_static_selectorELNS0_4arch9wavefront6targetE0EEEvT1_,@function
_ZN7rocprim17ROCPRIM_400000_NS6detail17trampoline_kernelINS0_14default_configENS1_20scan_config_selectorIiEEZZNS1_9scan_implILNS1_25lookback_scan_determinismE0ELb0ELb0ES3_N6thrust23THRUST_200600_302600_NS6detail15normal_iteratorINS9_10device_ptrIiEEEESE_iNS9_4plusIvEEiEEDaPvRmT3_T4_T5_mT6_P12ihipStream_tbENKUlT_T0_E_clISt17integral_constantIbLb1EEST_IbLb0EEEEDaSP_SQ_EUlSP_E0_NS1_11comp_targetILNS1_3genE4ELNS1_11target_archE910ELNS1_3gpuE8ELNS1_3repE0EEENS1_30default_config_static_selectorELNS0_4arch9wavefront6targetE0EEEvT1_: ; @_ZN7rocprim17ROCPRIM_400000_NS6detail17trampoline_kernelINS0_14default_configENS1_20scan_config_selectorIiEEZZNS1_9scan_implILNS1_25lookback_scan_determinismE0ELb0ELb0ES3_N6thrust23THRUST_200600_302600_NS6detail15normal_iteratorINS9_10device_ptrIiEEEESE_iNS9_4plusIvEEiEEDaPvRmT3_T4_T5_mT6_P12ihipStream_tbENKUlT_T0_E_clISt17integral_constantIbLb1EEST_IbLb0EEEEDaSP_SQ_EUlSP_E0_NS1_11comp_targetILNS1_3genE4ELNS1_11target_archE910ELNS1_3gpuE8ELNS1_3repE0EEENS1_30default_config_static_selectorELNS0_4arch9wavefront6targetE0EEEvT1_
; %bb.0:
	.section	.rodata,"a",@progbits
	.p2align	6, 0x0
	.amdhsa_kernel _ZN7rocprim17ROCPRIM_400000_NS6detail17trampoline_kernelINS0_14default_configENS1_20scan_config_selectorIiEEZZNS1_9scan_implILNS1_25lookback_scan_determinismE0ELb0ELb0ES3_N6thrust23THRUST_200600_302600_NS6detail15normal_iteratorINS9_10device_ptrIiEEEESE_iNS9_4plusIvEEiEEDaPvRmT3_T4_T5_mT6_P12ihipStream_tbENKUlT_T0_E_clISt17integral_constantIbLb1EEST_IbLb0EEEEDaSP_SQ_EUlSP_E0_NS1_11comp_targetILNS1_3genE4ELNS1_11target_archE910ELNS1_3gpuE8ELNS1_3repE0EEENS1_30default_config_static_selectorELNS0_4arch9wavefront6targetE0EEEvT1_
		.amdhsa_group_segment_fixed_size 0
		.amdhsa_private_segment_fixed_size 0
		.amdhsa_kernarg_size 32
		.amdhsa_user_sgpr_count 2
		.amdhsa_user_sgpr_dispatch_ptr 0
		.amdhsa_user_sgpr_queue_ptr 0
		.amdhsa_user_sgpr_kernarg_segment_ptr 1
		.amdhsa_user_sgpr_dispatch_id 0
		.amdhsa_user_sgpr_kernarg_preload_length 0
		.amdhsa_user_sgpr_kernarg_preload_offset 0
		.amdhsa_user_sgpr_private_segment_size 0
		.amdhsa_wavefront_size32 1
		.amdhsa_uses_dynamic_stack 0
		.amdhsa_enable_private_segment 0
		.amdhsa_system_sgpr_workgroup_id_x 1
		.amdhsa_system_sgpr_workgroup_id_y 0
		.amdhsa_system_sgpr_workgroup_id_z 0
		.amdhsa_system_sgpr_workgroup_info 0
		.amdhsa_system_vgpr_workitem_id 0
		.amdhsa_next_free_vgpr 1
		.amdhsa_next_free_sgpr 1
		.amdhsa_named_barrier_count 0
		.amdhsa_reserve_vcc 0
		.amdhsa_float_round_mode_32 0
		.amdhsa_float_round_mode_16_64 0
		.amdhsa_float_denorm_mode_32 3
		.amdhsa_float_denorm_mode_16_64 3
		.amdhsa_fp16_overflow 0
		.amdhsa_memory_ordered 1
		.amdhsa_forward_progress 1
		.amdhsa_inst_pref_size 0
		.amdhsa_round_robin_scheduling 0
		.amdhsa_exception_fp_ieee_invalid_op 0
		.amdhsa_exception_fp_denorm_src 0
		.amdhsa_exception_fp_ieee_div_zero 0
		.amdhsa_exception_fp_ieee_overflow 0
		.amdhsa_exception_fp_ieee_underflow 0
		.amdhsa_exception_fp_ieee_inexact 0
		.amdhsa_exception_int_div_zero 0
	.end_amdhsa_kernel
	.section	.text._ZN7rocprim17ROCPRIM_400000_NS6detail17trampoline_kernelINS0_14default_configENS1_20scan_config_selectorIiEEZZNS1_9scan_implILNS1_25lookback_scan_determinismE0ELb0ELb0ES3_N6thrust23THRUST_200600_302600_NS6detail15normal_iteratorINS9_10device_ptrIiEEEESE_iNS9_4plusIvEEiEEDaPvRmT3_T4_T5_mT6_P12ihipStream_tbENKUlT_T0_E_clISt17integral_constantIbLb1EEST_IbLb0EEEEDaSP_SQ_EUlSP_E0_NS1_11comp_targetILNS1_3genE4ELNS1_11target_archE910ELNS1_3gpuE8ELNS1_3repE0EEENS1_30default_config_static_selectorELNS0_4arch9wavefront6targetE0EEEvT1_,"axG",@progbits,_ZN7rocprim17ROCPRIM_400000_NS6detail17trampoline_kernelINS0_14default_configENS1_20scan_config_selectorIiEEZZNS1_9scan_implILNS1_25lookback_scan_determinismE0ELb0ELb0ES3_N6thrust23THRUST_200600_302600_NS6detail15normal_iteratorINS9_10device_ptrIiEEEESE_iNS9_4plusIvEEiEEDaPvRmT3_T4_T5_mT6_P12ihipStream_tbENKUlT_T0_E_clISt17integral_constantIbLb1EEST_IbLb0EEEEDaSP_SQ_EUlSP_E0_NS1_11comp_targetILNS1_3genE4ELNS1_11target_archE910ELNS1_3gpuE8ELNS1_3repE0EEENS1_30default_config_static_selectorELNS0_4arch9wavefront6targetE0EEEvT1_,comdat
.Lfunc_end58:
	.size	_ZN7rocprim17ROCPRIM_400000_NS6detail17trampoline_kernelINS0_14default_configENS1_20scan_config_selectorIiEEZZNS1_9scan_implILNS1_25lookback_scan_determinismE0ELb0ELb0ES3_N6thrust23THRUST_200600_302600_NS6detail15normal_iteratorINS9_10device_ptrIiEEEESE_iNS9_4plusIvEEiEEDaPvRmT3_T4_T5_mT6_P12ihipStream_tbENKUlT_T0_E_clISt17integral_constantIbLb1EEST_IbLb0EEEEDaSP_SQ_EUlSP_E0_NS1_11comp_targetILNS1_3genE4ELNS1_11target_archE910ELNS1_3gpuE8ELNS1_3repE0EEENS1_30default_config_static_selectorELNS0_4arch9wavefront6targetE0EEEvT1_, .Lfunc_end58-_ZN7rocprim17ROCPRIM_400000_NS6detail17trampoline_kernelINS0_14default_configENS1_20scan_config_selectorIiEEZZNS1_9scan_implILNS1_25lookback_scan_determinismE0ELb0ELb0ES3_N6thrust23THRUST_200600_302600_NS6detail15normal_iteratorINS9_10device_ptrIiEEEESE_iNS9_4plusIvEEiEEDaPvRmT3_T4_T5_mT6_P12ihipStream_tbENKUlT_T0_E_clISt17integral_constantIbLb1EEST_IbLb0EEEEDaSP_SQ_EUlSP_E0_NS1_11comp_targetILNS1_3genE4ELNS1_11target_archE910ELNS1_3gpuE8ELNS1_3repE0EEENS1_30default_config_static_selectorELNS0_4arch9wavefront6targetE0EEEvT1_
                                        ; -- End function
	.set _ZN7rocprim17ROCPRIM_400000_NS6detail17trampoline_kernelINS0_14default_configENS1_20scan_config_selectorIiEEZZNS1_9scan_implILNS1_25lookback_scan_determinismE0ELb0ELb0ES3_N6thrust23THRUST_200600_302600_NS6detail15normal_iteratorINS9_10device_ptrIiEEEESE_iNS9_4plusIvEEiEEDaPvRmT3_T4_T5_mT6_P12ihipStream_tbENKUlT_T0_E_clISt17integral_constantIbLb1EEST_IbLb0EEEEDaSP_SQ_EUlSP_E0_NS1_11comp_targetILNS1_3genE4ELNS1_11target_archE910ELNS1_3gpuE8ELNS1_3repE0EEENS1_30default_config_static_selectorELNS0_4arch9wavefront6targetE0EEEvT1_.num_vgpr, 0
	.set _ZN7rocprim17ROCPRIM_400000_NS6detail17trampoline_kernelINS0_14default_configENS1_20scan_config_selectorIiEEZZNS1_9scan_implILNS1_25lookback_scan_determinismE0ELb0ELb0ES3_N6thrust23THRUST_200600_302600_NS6detail15normal_iteratorINS9_10device_ptrIiEEEESE_iNS9_4plusIvEEiEEDaPvRmT3_T4_T5_mT6_P12ihipStream_tbENKUlT_T0_E_clISt17integral_constantIbLb1EEST_IbLb0EEEEDaSP_SQ_EUlSP_E0_NS1_11comp_targetILNS1_3genE4ELNS1_11target_archE910ELNS1_3gpuE8ELNS1_3repE0EEENS1_30default_config_static_selectorELNS0_4arch9wavefront6targetE0EEEvT1_.num_agpr, 0
	.set _ZN7rocprim17ROCPRIM_400000_NS6detail17trampoline_kernelINS0_14default_configENS1_20scan_config_selectorIiEEZZNS1_9scan_implILNS1_25lookback_scan_determinismE0ELb0ELb0ES3_N6thrust23THRUST_200600_302600_NS6detail15normal_iteratorINS9_10device_ptrIiEEEESE_iNS9_4plusIvEEiEEDaPvRmT3_T4_T5_mT6_P12ihipStream_tbENKUlT_T0_E_clISt17integral_constantIbLb1EEST_IbLb0EEEEDaSP_SQ_EUlSP_E0_NS1_11comp_targetILNS1_3genE4ELNS1_11target_archE910ELNS1_3gpuE8ELNS1_3repE0EEENS1_30default_config_static_selectorELNS0_4arch9wavefront6targetE0EEEvT1_.numbered_sgpr, 0
	.set _ZN7rocprim17ROCPRIM_400000_NS6detail17trampoline_kernelINS0_14default_configENS1_20scan_config_selectorIiEEZZNS1_9scan_implILNS1_25lookback_scan_determinismE0ELb0ELb0ES3_N6thrust23THRUST_200600_302600_NS6detail15normal_iteratorINS9_10device_ptrIiEEEESE_iNS9_4plusIvEEiEEDaPvRmT3_T4_T5_mT6_P12ihipStream_tbENKUlT_T0_E_clISt17integral_constantIbLb1EEST_IbLb0EEEEDaSP_SQ_EUlSP_E0_NS1_11comp_targetILNS1_3genE4ELNS1_11target_archE910ELNS1_3gpuE8ELNS1_3repE0EEENS1_30default_config_static_selectorELNS0_4arch9wavefront6targetE0EEEvT1_.num_named_barrier, 0
	.set _ZN7rocprim17ROCPRIM_400000_NS6detail17trampoline_kernelINS0_14default_configENS1_20scan_config_selectorIiEEZZNS1_9scan_implILNS1_25lookback_scan_determinismE0ELb0ELb0ES3_N6thrust23THRUST_200600_302600_NS6detail15normal_iteratorINS9_10device_ptrIiEEEESE_iNS9_4plusIvEEiEEDaPvRmT3_T4_T5_mT6_P12ihipStream_tbENKUlT_T0_E_clISt17integral_constantIbLb1EEST_IbLb0EEEEDaSP_SQ_EUlSP_E0_NS1_11comp_targetILNS1_3genE4ELNS1_11target_archE910ELNS1_3gpuE8ELNS1_3repE0EEENS1_30default_config_static_selectorELNS0_4arch9wavefront6targetE0EEEvT1_.private_seg_size, 0
	.set _ZN7rocprim17ROCPRIM_400000_NS6detail17trampoline_kernelINS0_14default_configENS1_20scan_config_selectorIiEEZZNS1_9scan_implILNS1_25lookback_scan_determinismE0ELb0ELb0ES3_N6thrust23THRUST_200600_302600_NS6detail15normal_iteratorINS9_10device_ptrIiEEEESE_iNS9_4plusIvEEiEEDaPvRmT3_T4_T5_mT6_P12ihipStream_tbENKUlT_T0_E_clISt17integral_constantIbLb1EEST_IbLb0EEEEDaSP_SQ_EUlSP_E0_NS1_11comp_targetILNS1_3genE4ELNS1_11target_archE910ELNS1_3gpuE8ELNS1_3repE0EEENS1_30default_config_static_selectorELNS0_4arch9wavefront6targetE0EEEvT1_.uses_vcc, 0
	.set _ZN7rocprim17ROCPRIM_400000_NS6detail17trampoline_kernelINS0_14default_configENS1_20scan_config_selectorIiEEZZNS1_9scan_implILNS1_25lookback_scan_determinismE0ELb0ELb0ES3_N6thrust23THRUST_200600_302600_NS6detail15normal_iteratorINS9_10device_ptrIiEEEESE_iNS9_4plusIvEEiEEDaPvRmT3_T4_T5_mT6_P12ihipStream_tbENKUlT_T0_E_clISt17integral_constantIbLb1EEST_IbLb0EEEEDaSP_SQ_EUlSP_E0_NS1_11comp_targetILNS1_3genE4ELNS1_11target_archE910ELNS1_3gpuE8ELNS1_3repE0EEENS1_30default_config_static_selectorELNS0_4arch9wavefront6targetE0EEEvT1_.uses_flat_scratch, 0
	.set _ZN7rocprim17ROCPRIM_400000_NS6detail17trampoline_kernelINS0_14default_configENS1_20scan_config_selectorIiEEZZNS1_9scan_implILNS1_25lookback_scan_determinismE0ELb0ELb0ES3_N6thrust23THRUST_200600_302600_NS6detail15normal_iteratorINS9_10device_ptrIiEEEESE_iNS9_4plusIvEEiEEDaPvRmT3_T4_T5_mT6_P12ihipStream_tbENKUlT_T0_E_clISt17integral_constantIbLb1EEST_IbLb0EEEEDaSP_SQ_EUlSP_E0_NS1_11comp_targetILNS1_3genE4ELNS1_11target_archE910ELNS1_3gpuE8ELNS1_3repE0EEENS1_30default_config_static_selectorELNS0_4arch9wavefront6targetE0EEEvT1_.has_dyn_sized_stack, 0
	.set _ZN7rocprim17ROCPRIM_400000_NS6detail17trampoline_kernelINS0_14default_configENS1_20scan_config_selectorIiEEZZNS1_9scan_implILNS1_25lookback_scan_determinismE0ELb0ELb0ES3_N6thrust23THRUST_200600_302600_NS6detail15normal_iteratorINS9_10device_ptrIiEEEESE_iNS9_4plusIvEEiEEDaPvRmT3_T4_T5_mT6_P12ihipStream_tbENKUlT_T0_E_clISt17integral_constantIbLb1EEST_IbLb0EEEEDaSP_SQ_EUlSP_E0_NS1_11comp_targetILNS1_3genE4ELNS1_11target_archE910ELNS1_3gpuE8ELNS1_3repE0EEENS1_30default_config_static_selectorELNS0_4arch9wavefront6targetE0EEEvT1_.has_recursion, 0
	.set _ZN7rocprim17ROCPRIM_400000_NS6detail17trampoline_kernelINS0_14default_configENS1_20scan_config_selectorIiEEZZNS1_9scan_implILNS1_25lookback_scan_determinismE0ELb0ELb0ES3_N6thrust23THRUST_200600_302600_NS6detail15normal_iteratorINS9_10device_ptrIiEEEESE_iNS9_4plusIvEEiEEDaPvRmT3_T4_T5_mT6_P12ihipStream_tbENKUlT_T0_E_clISt17integral_constantIbLb1EEST_IbLb0EEEEDaSP_SQ_EUlSP_E0_NS1_11comp_targetILNS1_3genE4ELNS1_11target_archE910ELNS1_3gpuE8ELNS1_3repE0EEENS1_30default_config_static_selectorELNS0_4arch9wavefront6targetE0EEEvT1_.has_indirect_call, 0
	.section	.AMDGPU.csdata,"",@progbits
; Kernel info:
; codeLenInByte = 0
; TotalNumSgprs: 0
; NumVgprs: 0
; ScratchSize: 0
; MemoryBound: 0
; FloatMode: 240
; IeeeMode: 1
; LDSByteSize: 0 bytes/workgroup (compile time only)
; SGPRBlocks: 0
; VGPRBlocks: 0
; NumSGPRsForWavesPerEU: 1
; NumVGPRsForWavesPerEU: 1
; NamedBarCnt: 0
; Occupancy: 16
; WaveLimiterHint : 0
; COMPUTE_PGM_RSRC2:SCRATCH_EN: 0
; COMPUTE_PGM_RSRC2:USER_SGPR: 2
; COMPUTE_PGM_RSRC2:TRAP_HANDLER: 0
; COMPUTE_PGM_RSRC2:TGID_X_EN: 1
; COMPUTE_PGM_RSRC2:TGID_Y_EN: 0
; COMPUTE_PGM_RSRC2:TGID_Z_EN: 0
; COMPUTE_PGM_RSRC2:TIDIG_COMP_CNT: 0
	.section	.text._ZN7rocprim17ROCPRIM_400000_NS6detail17trampoline_kernelINS0_14default_configENS1_20scan_config_selectorIiEEZZNS1_9scan_implILNS1_25lookback_scan_determinismE0ELb0ELb0ES3_N6thrust23THRUST_200600_302600_NS6detail15normal_iteratorINS9_10device_ptrIiEEEESE_iNS9_4plusIvEEiEEDaPvRmT3_T4_T5_mT6_P12ihipStream_tbENKUlT_T0_E_clISt17integral_constantIbLb1EEST_IbLb0EEEEDaSP_SQ_EUlSP_E0_NS1_11comp_targetILNS1_3genE3ELNS1_11target_archE908ELNS1_3gpuE7ELNS1_3repE0EEENS1_30default_config_static_selectorELNS0_4arch9wavefront6targetE0EEEvT1_,"axG",@progbits,_ZN7rocprim17ROCPRIM_400000_NS6detail17trampoline_kernelINS0_14default_configENS1_20scan_config_selectorIiEEZZNS1_9scan_implILNS1_25lookback_scan_determinismE0ELb0ELb0ES3_N6thrust23THRUST_200600_302600_NS6detail15normal_iteratorINS9_10device_ptrIiEEEESE_iNS9_4plusIvEEiEEDaPvRmT3_T4_T5_mT6_P12ihipStream_tbENKUlT_T0_E_clISt17integral_constantIbLb1EEST_IbLb0EEEEDaSP_SQ_EUlSP_E0_NS1_11comp_targetILNS1_3genE3ELNS1_11target_archE908ELNS1_3gpuE7ELNS1_3repE0EEENS1_30default_config_static_selectorELNS0_4arch9wavefront6targetE0EEEvT1_,comdat
	.protected	_ZN7rocprim17ROCPRIM_400000_NS6detail17trampoline_kernelINS0_14default_configENS1_20scan_config_selectorIiEEZZNS1_9scan_implILNS1_25lookback_scan_determinismE0ELb0ELb0ES3_N6thrust23THRUST_200600_302600_NS6detail15normal_iteratorINS9_10device_ptrIiEEEESE_iNS9_4plusIvEEiEEDaPvRmT3_T4_T5_mT6_P12ihipStream_tbENKUlT_T0_E_clISt17integral_constantIbLb1EEST_IbLb0EEEEDaSP_SQ_EUlSP_E0_NS1_11comp_targetILNS1_3genE3ELNS1_11target_archE908ELNS1_3gpuE7ELNS1_3repE0EEENS1_30default_config_static_selectorELNS0_4arch9wavefront6targetE0EEEvT1_ ; -- Begin function _ZN7rocprim17ROCPRIM_400000_NS6detail17trampoline_kernelINS0_14default_configENS1_20scan_config_selectorIiEEZZNS1_9scan_implILNS1_25lookback_scan_determinismE0ELb0ELb0ES3_N6thrust23THRUST_200600_302600_NS6detail15normal_iteratorINS9_10device_ptrIiEEEESE_iNS9_4plusIvEEiEEDaPvRmT3_T4_T5_mT6_P12ihipStream_tbENKUlT_T0_E_clISt17integral_constantIbLb1EEST_IbLb0EEEEDaSP_SQ_EUlSP_E0_NS1_11comp_targetILNS1_3genE3ELNS1_11target_archE908ELNS1_3gpuE7ELNS1_3repE0EEENS1_30default_config_static_selectorELNS0_4arch9wavefront6targetE0EEEvT1_
	.globl	_ZN7rocprim17ROCPRIM_400000_NS6detail17trampoline_kernelINS0_14default_configENS1_20scan_config_selectorIiEEZZNS1_9scan_implILNS1_25lookback_scan_determinismE0ELb0ELb0ES3_N6thrust23THRUST_200600_302600_NS6detail15normal_iteratorINS9_10device_ptrIiEEEESE_iNS9_4plusIvEEiEEDaPvRmT3_T4_T5_mT6_P12ihipStream_tbENKUlT_T0_E_clISt17integral_constantIbLb1EEST_IbLb0EEEEDaSP_SQ_EUlSP_E0_NS1_11comp_targetILNS1_3genE3ELNS1_11target_archE908ELNS1_3gpuE7ELNS1_3repE0EEENS1_30default_config_static_selectorELNS0_4arch9wavefront6targetE0EEEvT1_
	.p2align	8
	.type	_ZN7rocprim17ROCPRIM_400000_NS6detail17trampoline_kernelINS0_14default_configENS1_20scan_config_selectorIiEEZZNS1_9scan_implILNS1_25lookback_scan_determinismE0ELb0ELb0ES3_N6thrust23THRUST_200600_302600_NS6detail15normal_iteratorINS9_10device_ptrIiEEEESE_iNS9_4plusIvEEiEEDaPvRmT3_T4_T5_mT6_P12ihipStream_tbENKUlT_T0_E_clISt17integral_constantIbLb1EEST_IbLb0EEEEDaSP_SQ_EUlSP_E0_NS1_11comp_targetILNS1_3genE3ELNS1_11target_archE908ELNS1_3gpuE7ELNS1_3repE0EEENS1_30default_config_static_selectorELNS0_4arch9wavefront6targetE0EEEvT1_,@function
_ZN7rocprim17ROCPRIM_400000_NS6detail17trampoline_kernelINS0_14default_configENS1_20scan_config_selectorIiEEZZNS1_9scan_implILNS1_25lookback_scan_determinismE0ELb0ELb0ES3_N6thrust23THRUST_200600_302600_NS6detail15normal_iteratorINS9_10device_ptrIiEEEESE_iNS9_4plusIvEEiEEDaPvRmT3_T4_T5_mT6_P12ihipStream_tbENKUlT_T0_E_clISt17integral_constantIbLb1EEST_IbLb0EEEEDaSP_SQ_EUlSP_E0_NS1_11comp_targetILNS1_3genE3ELNS1_11target_archE908ELNS1_3gpuE7ELNS1_3repE0EEENS1_30default_config_static_selectorELNS0_4arch9wavefront6targetE0EEEvT1_: ; @_ZN7rocprim17ROCPRIM_400000_NS6detail17trampoline_kernelINS0_14default_configENS1_20scan_config_selectorIiEEZZNS1_9scan_implILNS1_25lookback_scan_determinismE0ELb0ELb0ES3_N6thrust23THRUST_200600_302600_NS6detail15normal_iteratorINS9_10device_ptrIiEEEESE_iNS9_4plusIvEEiEEDaPvRmT3_T4_T5_mT6_P12ihipStream_tbENKUlT_T0_E_clISt17integral_constantIbLb1EEST_IbLb0EEEEDaSP_SQ_EUlSP_E0_NS1_11comp_targetILNS1_3genE3ELNS1_11target_archE908ELNS1_3gpuE7ELNS1_3repE0EEENS1_30default_config_static_selectorELNS0_4arch9wavefront6targetE0EEEvT1_
; %bb.0:
	.section	.rodata,"a",@progbits
	.p2align	6, 0x0
	.amdhsa_kernel _ZN7rocprim17ROCPRIM_400000_NS6detail17trampoline_kernelINS0_14default_configENS1_20scan_config_selectorIiEEZZNS1_9scan_implILNS1_25lookback_scan_determinismE0ELb0ELb0ES3_N6thrust23THRUST_200600_302600_NS6detail15normal_iteratorINS9_10device_ptrIiEEEESE_iNS9_4plusIvEEiEEDaPvRmT3_T4_T5_mT6_P12ihipStream_tbENKUlT_T0_E_clISt17integral_constantIbLb1EEST_IbLb0EEEEDaSP_SQ_EUlSP_E0_NS1_11comp_targetILNS1_3genE3ELNS1_11target_archE908ELNS1_3gpuE7ELNS1_3repE0EEENS1_30default_config_static_selectorELNS0_4arch9wavefront6targetE0EEEvT1_
		.amdhsa_group_segment_fixed_size 0
		.amdhsa_private_segment_fixed_size 0
		.amdhsa_kernarg_size 32
		.amdhsa_user_sgpr_count 2
		.amdhsa_user_sgpr_dispatch_ptr 0
		.amdhsa_user_sgpr_queue_ptr 0
		.amdhsa_user_sgpr_kernarg_segment_ptr 1
		.amdhsa_user_sgpr_dispatch_id 0
		.amdhsa_user_sgpr_kernarg_preload_length 0
		.amdhsa_user_sgpr_kernarg_preload_offset 0
		.amdhsa_user_sgpr_private_segment_size 0
		.amdhsa_wavefront_size32 1
		.amdhsa_uses_dynamic_stack 0
		.amdhsa_enable_private_segment 0
		.amdhsa_system_sgpr_workgroup_id_x 1
		.amdhsa_system_sgpr_workgroup_id_y 0
		.amdhsa_system_sgpr_workgroup_id_z 0
		.amdhsa_system_sgpr_workgroup_info 0
		.amdhsa_system_vgpr_workitem_id 0
		.amdhsa_next_free_vgpr 1
		.amdhsa_next_free_sgpr 1
		.amdhsa_named_barrier_count 0
		.amdhsa_reserve_vcc 0
		.amdhsa_float_round_mode_32 0
		.amdhsa_float_round_mode_16_64 0
		.amdhsa_float_denorm_mode_32 3
		.amdhsa_float_denorm_mode_16_64 3
		.amdhsa_fp16_overflow 0
		.amdhsa_memory_ordered 1
		.amdhsa_forward_progress 1
		.amdhsa_inst_pref_size 0
		.amdhsa_round_robin_scheduling 0
		.amdhsa_exception_fp_ieee_invalid_op 0
		.amdhsa_exception_fp_denorm_src 0
		.amdhsa_exception_fp_ieee_div_zero 0
		.amdhsa_exception_fp_ieee_overflow 0
		.amdhsa_exception_fp_ieee_underflow 0
		.amdhsa_exception_fp_ieee_inexact 0
		.amdhsa_exception_int_div_zero 0
	.end_amdhsa_kernel
	.section	.text._ZN7rocprim17ROCPRIM_400000_NS6detail17trampoline_kernelINS0_14default_configENS1_20scan_config_selectorIiEEZZNS1_9scan_implILNS1_25lookback_scan_determinismE0ELb0ELb0ES3_N6thrust23THRUST_200600_302600_NS6detail15normal_iteratorINS9_10device_ptrIiEEEESE_iNS9_4plusIvEEiEEDaPvRmT3_T4_T5_mT6_P12ihipStream_tbENKUlT_T0_E_clISt17integral_constantIbLb1EEST_IbLb0EEEEDaSP_SQ_EUlSP_E0_NS1_11comp_targetILNS1_3genE3ELNS1_11target_archE908ELNS1_3gpuE7ELNS1_3repE0EEENS1_30default_config_static_selectorELNS0_4arch9wavefront6targetE0EEEvT1_,"axG",@progbits,_ZN7rocprim17ROCPRIM_400000_NS6detail17trampoline_kernelINS0_14default_configENS1_20scan_config_selectorIiEEZZNS1_9scan_implILNS1_25lookback_scan_determinismE0ELb0ELb0ES3_N6thrust23THRUST_200600_302600_NS6detail15normal_iteratorINS9_10device_ptrIiEEEESE_iNS9_4plusIvEEiEEDaPvRmT3_T4_T5_mT6_P12ihipStream_tbENKUlT_T0_E_clISt17integral_constantIbLb1EEST_IbLb0EEEEDaSP_SQ_EUlSP_E0_NS1_11comp_targetILNS1_3genE3ELNS1_11target_archE908ELNS1_3gpuE7ELNS1_3repE0EEENS1_30default_config_static_selectorELNS0_4arch9wavefront6targetE0EEEvT1_,comdat
.Lfunc_end59:
	.size	_ZN7rocprim17ROCPRIM_400000_NS6detail17trampoline_kernelINS0_14default_configENS1_20scan_config_selectorIiEEZZNS1_9scan_implILNS1_25lookback_scan_determinismE0ELb0ELb0ES3_N6thrust23THRUST_200600_302600_NS6detail15normal_iteratorINS9_10device_ptrIiEEEESE_iNS9_4plusIvEEiEEDaPvRmT3_T4_T5_mT6_P12ihipStream_tbENKUlT_T0_E_clISt17integral_constantIbLb1EEST_IbLb0EEEEDaSP_SQ_EUlSP_E0_NS1_11comp_targetILNS1_3genE3ELNS1_11target_archE908ELNS1_3gpuE7ELNS1_3repE0EEENS1_30default_config_static_selectorELNS0_4arch9wavefront6targetE0EEEvT1_, .Lfunc_end59-_ZN7rocprim17ROCPRIM_400000_NS6detail17trampoline_kernelINS0_14default_configENS1_20scan_config_selectorIiEEZZNS1_9scan_implILNS1_25lookback_scan_determinismE0ELb0ELb0ES3_N6thrust23THRUST_200600_302600_NS6detail15normal_iteratorINS9_10device_ptrIiEEEESE_iNS9_4plusIvEEiEEDaPvRmT3_T4_T5_mT6_P12ihipStream_tbENKUlT_T0_E_clISt17integral_constantIbLb1EEST_IbLb0EEEEDaSP_SQ_EUlSP_E0_NS1_11comp_targetILNS1_3genE3ELNS1_11target_archE908ELNS1_3gpuE7ELNS1_3repE0EEENS1_30default_config_static_selectorELNS0_4arch9wavefront6targetE0EEEvT1_
                                        ; -- End function
	.set _ZN7rocprim17ROCPRIM_400000_NS6detail17trampoline_kernelINS0_14default_configENS1_20scan_config_selectorIiEEZZNS1_9scan_implILNS1_25lookback_scan_determinismE0ELb0ELb0ES3_N6thrust23THRUST_200600_302600_NS6detail15normal_iteratorINS9_10device_ptrIiEEEESE_iNS9_4plusIvEEiEEDaPvRmT3_T4_T5_mT6_P12ihipStream_tbENKUlT_T0_E_clISt17integral_constantIbLb1EEST_IbLb0EEEEDaSP_SQ_EUlSP_E0_NS1_11comp_targetILNS1_3genE3ELNS1_11target_archE908ELNS1_3gpuE7ELNS1_3repE0EEENS1_30default_config_static_selectorELNS0_4arch9wavefront6targetE0EEEvT1_.num_vgpr, 0
	.set _ZN7rocprim17ROCPRIM_400000_NS6detail17trampoline_kernelINS0_14default_configENS1_20scan_config_selectorIiEEZZNS1_9scan_implILNS1_25lookback_scan_determinismE0ELb0ELb0ES3_N6thrust23THRUST_200600_302600_NS6detail15normal_iteratorINS9_10device_ptrIiEEEESE_iNS9_4plusIvEEiEEDaPvRmT3_T4_T5_mT6_P12ihipStream_tbENKUlT_T0_E_clISt17integral_constantIbLb1EEST_IbLb0EEEEDaSP_SQ_EUlSP_E0_NS1_11comp_targetILNS1_3genE3ELNS1_11target_archE908ELNS1_3gpuE7ELNS1_3repE0EEENS1_30default_config_static_selectorELNS0_4arch9wavefront6targetE0EEEvT1_.num_agpr, 0
	.set _ZN7rocprim17ROCPRIM_400000_NS6detail17trampoline_kernelINS0_14default_configENS1_20scan_config_selectorIiEEZZNS1_9scan_implILNS1_25lookback_scan_determinismE0ELb0ELb0ES3_N6thrust23THRUST_200600_302600_NS6detail15normal_iteratorINS9_10device_ptrIiEEEESE_iNS9_4plusIvEEiEEDaPvRmT3_T4_T5_mT6_P12ihipStream_tbENKUlT_T0_E_clISt17integral_constantIbLb1EEST_IbLb0EEEEDaSP_SQ_EUlSP_E0_NS1_11comp_targetILNS1_3genE3ELNS1_11target_archE908ELNS1_3gpuE7ELNS1_3repE0EEENS1_30default_config_static_selectorELNS0_4arch9wavefront6targetE0EEEvT1_.numbered_sgpr, 0
	.set _ZN7rocprim17ROCPRIM_400000_NS6detail17trampoline_kernelINS0_14default_configENS1_20scan_config_selectorIiEEZZNS1_9scan_implILNS1_25lookback_scan_determinismE0ELb0ELb0ES3_N6thrust23THRUST_200600_302600_NS6detail15normal_iteratorINS9_10device_ptrIiEEEESE_iNS9_4plusIvEEiEEDaPvRmT3_T4_T5_mT6_P12ihipStream_tbENKUlT_T0_E_clISt17integral_constantIbLb1EEST_IbLb0EEEEDaSP_SQ_EUlSP_E0_NS1_11comp_targetILNS1_3genE3ELNS1_11target_archE908ELNS1_3gpuE7ELNS1_3repE0EEENS1_30default_config_static_selectorELNS0_4arch9wavefront6targetE0EEEvT1_.num_named_barrier, 0
	.set _ZN7rocprim17ROCPRIM_400000_NS6detail17trampoline_kernelINS0_14default_configENS1_20scan_config_selectorIiEEZZNS1_9scan_implILNS1_25lookback_scan_determinismE0ELb0ELb0ES3_N6thrust23THRUST_200600_302600_NS6detail15normal_iteratorINS9_10device_ptrIiEEEESE_iNS9_4plusIvEEiEEDaPvRmT3_T4_T5_mT6_P12ihipStream_tbENKUlT_T0_E_clISt17integral_constantIbLb1EEST_IbLb0EEEEDaSP_SQ_EUlSP_E0_NS1_11comp_targetILNS1_3genE3ELNS1_11target_archE908ELNS1_3gpuE7ELNS1_3repE0EEENS1_30default_config_static_selectorELNS0_4arch9wavefront6targetE0EEEvT1_.private_seg_size, 0
	.set _ZN7rocprim17ROCPRIM_400000_NS6detail17trampoline_kernelINS0_14default_configENS1_20scan_config_selectorIiEEZZNS1_9scan_implILNS1_25lookback_scan_determinismE0ELb0ELb0ES3_N6thrust23THRUST_200600_302600_NS6detail15normal_iteratorINS9_10device_ptrIiEEEESE_iNS9_4plusIvEEiEEDaPvRmT3_T4_T5_mT6_P12ihipStream_tbENKUlT_T0_E_clISt17integral_constantIbLb1EEST_IbLb0EEEEDaSP_SQ_EUlSP_E0_NS1_11comp_targetILNS1_3genE3ELNS1_11target_archE908ELNS1_3gpuE7ELNS1_3repE0EEENS1_30default_config_static_selectorELNS0_4arch9wavefront6targetE0EEEvT1_.uses_vcc, 0
	.set _ZN7rocprim17ROCPRIM_400000_NS6detail17trampoline_kernelINS0_14default_configENS1_20scan_config_selectorIiEEZZNS1_9scan_implILNS1_25lookback_scan_determinismE0ELb0ELb0ES3_N6thrust23THRUST_200600_302600_NS6detail15normal_iteratorINS9_10device_ptrIiEEEESE_iNS9_4plusIvEEiEEDaPvRmT3_T4_T5_mT6_P12ihipStream_tbENKUlT_T0_E_clISt17integral_constantIbLb1EEST_IbLb0EEEEDaSP_SQ_EUlSP_E0_NS1_11comp_targetILNS1_3genE3ELNS1_11target_archE908ELNS1_3gpuE7ELNS1_3repE0EEENS1_30default_config_static_selectorELNS0_4arch9wavefront6targetE0EEEvT1_.uses_flat_scratch, 0
	.set _ZN7rocprim17ROCPRIM_400000_NS6detail17trampoline_kernelINS0_14default_configENS1_20scan_config_selectorIiEEZZNS1_9scan_implILNS1_25lookback_scan_determinismE0ELb0ELb0ES3_N6thrust23THRUST_200600_302600_NS6detail15normal_iteratorINS9_10device_ptrIiEEEESE_iNS9_4plusIvEEiEEDaPvRmT3_T4_T5_mT6_P12ihipStream_tbENKUlT_T0_E_clISt17integral_constantIbLb1EEST_IbLb0EEEEDaSP_SQ_EUlSP_E0_NS1_11comp_targetILNS1_3genE3ELNS1_11target_archE908ELNS1_3gpuE7ELNS1_3repE0EEENS1_30default_config_static_selectorELNS0_4arch9wavefront6targetE0EEEvT1_.has_dyn_sized_stack, 0
	.set _ZN7rocprim17ROCPRIM_400000_NS6detail17trampoline_kernelINS0_14default_configENS1_20scan_config_selectorIiEEZZNS1_9scan_implILNS1_25lookback_scan_determinismE0ELb0ELb0ES3_N6thrust23THRUST_200600_302600_NS6detail15normal_iteratorINS9_10device_ptrIiEEEESE_iNS9_4plusIvEEiEEDaPvRmT3_T4_T5_mT6_P12ihipStream_tbENKUlT_T0_E_clISt17integral_constantIbLb1EEST_IbLb0EEEEDaSP_SQ_EUlSP_E0_NS1_11comp_targetILNS1_3genE3ELNS1_11target_archE908ELNS1_3gpuE7ELNS1_3repE0EEENS1_30default_config_static_selectorELNS0_4arch9wavefront6targetE0EEEvT1_.has_recursion, 0
	.set _ZN7rocprim17ROCPRIM_400000_NS6detail17trampoline_kernelINS0_14default_configENS1_20scan_config_selectorIiEEZZNS1_9scan_implILNS1_25lookback_scan_determinismE0ELb0ELb0ES3_N6thrust23THRUST_200600_302600_NS6detail15normal_iteratorINS9_10device_ptrIiEEEESE_iNS9_4plusIvEEiEEDaPvRmT3_T4_T5_mT6_P12ihipStream_tbENKUlT_T0_E_clISt17integral_constantIbLb1EEST_IbLb0EEEEDaSP_SQ_EUlSP_E0_NS1_11comp_targetILNS1_3genE3ELNS1_11target_archE908ELNS1_3gpuE7ELNS1_3repE0EEENS1_30default_config_static_selectorELNS0_4arch9wavefront6targetE0EEEvT1_.has_indirect_call, 0
	.section	.AMDGPU.csdata,"",@progbits
; Kernel info:
; codeLenInByte = 0
; TotalNumSgprs: 0
; NumVgprs: 0
; ScratchSize: 0
; MemoryBound: 0
; FloatMode: 240
; IeeeMode: 1
; LDSByteSize: 0 bytes/workgroup (compile time only)
; SGPRBlocks: 0
; VGPRBlocks: 0
; NumSGPRsForWavesPerEU: 1
; NumVGPRsForWavesPerEU: 1
; NamedBarCnt: 0
; Occupancy: 16
; WaveLimiterHint : 0
; COMPUTE_PGM_RSRC2:SCRATCH_EN: 0
; COMPUTE_PGM_RSRC2:USER_SGPR: 2
; COMPUTE_PGM_RSRC2:TRAP_HANDLER: 0
; COMPUTE_PGM_RSRC2:TGID_X_EN: 1
; COMPUTE_PGM_RSRC2:TGID_Y_EN: 0
; COMPUTE_PGM_RSRC2:TGID_Z_EN: 0
; COMPUTE_PGM_RSRC2:TIDIG_COMP_CNT: 0
	.section	.text._ZN7rocprim17ROCPRIM_400000_NS6detail17trampoline_kernelINS0_14default_configENS1_20scan_config_selectorIiEEZZNS1_9scan_implILNS1_25lookback_scan_determinismE0ELb0ELb0ES3_N6thrust23THRUST_200600_302600_NS6detail15normal_iteratorINS9_10device_ptrIiEEEESE_iNS9_4plusIvEEiEEDaPvRmT3_T4_T5_mT6_P12ihipStream_tbENKUlT_T0_E_clISt17integral_constantIbLb1EEST_IbLb0EEEEDaSP_SQ_EUlSP_E0_NS1_11comp_targetILNS1_3genE2ELNS1_11target_archE906ELNS1_3gpuE6ELNS1_3repE0EEENS1_30default_config_static_selectorELNS0_4arch9wavefront6targetE0EEEvT1_,"axG",@progbits,_ZN7rocprim17ROCPRIM_400000_NS6detail17trampoline_kernelINS0_14default_configENS1_20scan_config_selectorIiEEZZNS1_9scan_implILNS1_25lookback_scan_determinismE0ELb0ELb0ES3_N6thrust23THRUST_200600_302600_NS6detail15normal_iteratorINS9_10device_ptrIiEEEESE_iNS9_4plusIvEEiEEDaPvRmT3_T4_T5_mT6_P12ihipStream_tbENKUlT_T0_E_clISt17integral_constantIbLb1EEST_IbLb0EEEEDaSP_SQ_EUlSP_E0_NS1_11comp_targetILNS1_3genE2ELNS1_11target_archE906ELNS1_3gpuE6ELNS1_3repE0EEENS1_30default_config_static_selectorELNS0_4arch9wavefront6targetE0EEEvT1_,comdat
	.protected	_ZN7rocprim17ROCPRIM_400000_NS6detail17trampoline_kernelINS0_14default_configENS1_20scan_config_selectorIiEEZZNS1_9scan_implILNS1_25lookback_scan_determinismE0ELb0ELb0ES3_N6thrust23THRUST_200600_302600_NS6detail15normal_iteratorINS9_10device_ptrIiEEEESE_iNS9_4plusIvEEiEEDaPvRmT3_T4_T5_mT6_P12ihipStream_tbENKUlT_T0_E_clISt17integral_constantIbLb1EEST_IbLb0EEEEDaSP_SQ_EUlSP_E0_NS1_11comp_targetILNS1_3genE2ELNS1_11target_archE906ELNS1_3gpuE6ELNS1_3repE0EEENS1_30default_config_static_selectorELNS0_4arch9wavefront6targetE0EEEvT1_ ; -- Begin function _ZN7rocprim17ROCPRIM_400000_NS6detail17trampoline_kernelINS0_14default_configENS1_20scan_config_selectorIiEEZZNS1_9scan_implILNS1_25lookback_scan_determinismE0ELb0ELb0ES3_N6thrust23THRUST_200600_302600_NS6detail15normal_iteratorINS9_10device_ptrIiEEEESE_iNS9_4plusIvEEiEEDaPvRmT3_T4_T5_mT6_P12ihipStream_tbENKUlT_T0_E_clISt17integral_constantIbLb1EEST_IbLb0EEEEDaSP_SQ_EUlSP_E0_NS1_11comp_targetILNS1_3genE2ELNS1_11target_archE906ELNS1_3gpuE6ELNS1_3repE0EEENS1_30default_config_static_selectorELNS0_4arch9wavefront6targetE0EEEvT1_
	.globl	_ZN7rocprim17ROCPRIM_400000_NS6detail17trampoline_kernelINS0_14default_configENS1_20scan_config_selectorIiEEZZNS1_9scan_implILNS1_25lookback_scan_determinismE0ELb0ELb0ES3_N6thrust23THRUST_200600_302600_NS6detail15normal_iteratorINS9_10device_ptrIiEEEESE_iNS9_4plusIvEEiEEDaPvRmT3_T4_T5_mT6_P12ihipStream_tbENKUlT_T0_E_clISt17integral_constantIbLb1EEST_IbLb0EEEEDaSP_SQ_EUlSP_E0_NS1_11comp_targetILNS1_3genE2ELNS1_11target_archE906ELNS1_3gpuE6ELNS1_3repE0EEENS1_30default_config_static_selectorELNS0_4arch9wavefront6targetE0EEEvT1_
	.p2align	8
	.type	_ZN7rocprim17ROCPRIM_400000_NS6detail17trampoline_kernelINS0_14default_configENS1_20scan_config_selectorIiEEZZNS1_9scan_implILNS1_25lookback_scan_determinismE0ELb0ELb0ES3_N6thrust23THRUST_200600_302600_NS6detail15normal_iteratorINS9_10device_ptrIiEEEESE_iNS9_4plusIvEEiEEDaPvRmT3_T4_T5_mT6_P12ihipStream_tbENKUlT_T0_E_clISt17integral_constantIbLb1EEST_IbLb0EEEEDaSP_SQ_EUlSP_E0_NS1_11comp_targetILNS1_3genE2ELNS1_11target_archE906ELNS1_3gpuE6ELNS1_3repE0EEENS1_30default_config_static_selectorELNS0_4arch9wavefront6targetE0EEEvT1_,@function
_ZN7rocprim17ROCPRIM_400000_NS6detail17trampoline_kernelINS0_14default_configENS1_20scan_config_selectorIiEEZZNS1_9scan_implILNS1_25lookback_scan_determinismE0ELb0ELb0ES3_N6thrust23THRUST_200600_302600_NS6detail15normal_iteratorINS9_10device_ptrIiEEEESE_iNS9_4plusIvEEiEEDaPvRmT3_T4_T5_mT6_P12ihipStream_tbENKUlT_T0_E_clISt17integral_constantIbLb1EEST_IbLb0EEEEDaSP_SQ_EUlSP_E0_NS1_11comp_targetILNS1_3genE2ELNS1_11target_archE906ELNS1_3gpuE6ELNS1_3repE0EEENS1_30default_config_static_selectorELNS0_4arch9wavefront6targetE0EEEvT1_: ; @_ZN7rocprim17ROCPRIM_400000_NS6detail17trampoline_kernelINS0_14default_configENS1_20scan_config_selectorIiEEZZNS1_9scan_implILNS1_25lookback_scan_determinismE0ELb0ELb0ES3_N6thrust23THRUST_200600_302600_NS6detail15normal_iteratorINS9_10device_ptrIiEEEESE_iNS9_4plusIvEEiEEDaPvRmT3_T4_T5_mT6_P12ihipStream_tbENKUlT_T0_E_clISt17integral_constantIbLb1EEST_IbLb0EEEEDaSP_SQ_EUlSP_E0_NS1_11comp_targetILNS1_3genE2ELNS1_11target_archE906ELNS1_3gpuE6ELNS1_3repE0EEENS1_30default_config_static_selectorELNS0_4arch9wavefront6targetE0EEEvT1_
; %bb.0:
	.section	.rodata,"a",@progbits
	.p2align	6, 0x0
	.amdhsa_kernel _ZN7rocprim17ROCPRIM_400000_NS6detail17trampoline_kernelINS0_14default_configENS1_20scan_config_selectorIiEEZZNS1_9scan_implILNS1_25lookback_scan_determinismE0ELb0ELb0ES3_N6thrust23THRUST_200600_302600_NS6detail15normal_iteratorINS9_10device_ptrIiEEEESE_iNS9_4plusIvEEiEEDaPvRmT3_T4_T5_mT6_P12ihipStream_tbENKUlT_T0_E_clISt17integral_constantIbLb1EEST_IbLb0EEEEDaSP_SQ_EUlSP_E0_NS1_11comp_targetILNS1_3genE2ELNS1_11target_archE906ELNS1_3gpuE6ELNS1_3repE0EEENS1_30default_config_static_selectorELNS0_4arch9wavefront6targetE0EEEvT1_
		.amdhsa_group_segment_fixed_size 0
		.amdhsa_private_segment_fixed_size 0
		.amdhsa_kernarg_size 32
		.amdhsa_user_sgpr_count 2
		.amdhsa_user_sgpr_dispatch_ptr 0
		.amdhsa_user_sgpr_queue_ptr 0
		.amdhsa_user_sgpr_kernarg_segment_ptr 1
		.amdhsa_user_sgpr_dispatch_id 0
		.amdhsa_user_sgpr_kernarg_preload_length 0
		.amdhsa_user_sgpr_kernarg_preload_offset 0
		.amdhsa_user_sgpr_private_segment_size 0
		.amdhsa_wavefront_size32 1
		.amdhsa_uses_dynamic_stack 0
		.amdhsa_enable_private_segment 0
		.amdhsa_system_sgpr_workgroup_id_x 1
		.amdhsa_system_sgpr_workgroup_id_y 0
		.amdhsa_system_sgpr_workgroup_id_z 0
		.amdhsa_system_sgpr_workgroup_info 0
		.amdhsa_system_vgpr_workitem_id 0
		.amdhsa_next_free_vgpr 1
		.amdhsa_next_free_sgpr 1
		.amdhsa_named_barrier_count 0
		.amdhsa_reserve_vcc 0
		.amdhsa_float_round_mode_32 0
		.amdhsa_float_round_mode_16_64 0
		.amdhsa_float_denorm_mode_32 3
		.amdhsa_float_denorm_mode_16_64 3
		.amdhsa_fp16_overflow 0
		.amdhsa_memory_ordered 1
		.amdhsa_forward_progress 1
		.amdhsa_inst_pref_size 0
		.amdhsa_round_robin_scheduling 0
		.amdhsa_exception_fp_ieee_invalid_op 0
		.amdhsa_exception_fp_denorm_src 0
		.amdhsa_exception_fp_ieee_div_zero 0
		.amdhsa_exception_fp_ieee_overflow 0
		.amdhsa_exception_fp_ieee_underflow 0
		.amdhsa_exception_fp_ieee_inexact 0
		.amdhsa_exception_int_div_zero 0
	.end_amdhsa_kernel
	.section	.text._ZN7rocprim17ROCPRIM_400000_NS6detail17trampoline_kernelINS0_14default_configENS1_20scan_config_selectorIiEEZZNS1_9scan_implILNS1_25lookback_scan_determinismE0ELb0ELb0ES3_N6thrust23THRUST_200600_302600_NS6detail15normal_iteratorINS9_10device_ptrIiEEEESE_iNS9_4plusIvEEiEEDaPvRmT3_T4_T5_mT6_P12ihipStream_tbENKUlT_T0_E_clISt17integral_constantIbLb1EEST_IbLb0EEEEDaSP_SQ_EUlSP_E0_NS1_11comp_targetILNS1_3genE2ELNS1_11target_archE906ELNS1_3gpuE6ELNS1_3repE0EEENS1_30default_config_static_selectorELNS0_4arch9wavefront6targetE0EEEvT1_,"axG",@progbits,_ZN7rocprim17ROCPRIM_400000_NS6detail17trampoline_kernelINS0_14default_configENS1_20scan_config_selectorIiEEZZNS1_9scan_implILNS1_25lookback_scan_determinismE0ELb0ELb0ES3_N6thrust23THRUST_200600_302600_NS6detail15normal_iteratorINS9_10device_ptrIiEEEESE_iNS9_4plusIvEEiEEDaPvRmT3_T4_T5_mT6_P12ihipStream_tbENKUlT_T0_E_clISt17integral_constantIbLb1EEST_IbLb0EEEEDaSP_SQ_EUlSP_E0_NS1_11comp_targetILNS1_3genE2ELNS1_11target_archE906ELNS1_3gpuE6ELNS1_3repE0EEENS1_30default_config_static_selectorELNS0_4arch9wavefront6targetE0EEEvT1_,comdat
.Lfunc_end60:
	.size	_ZN7rocprim17ROCPRIM_400000_NS6detail17trampoline_kernelINS0_14default_configENS1_20scan_config_selectorIiEEZZNS1_9scan_implILNS1_25lookback_scan_determinismE0ELb0ELb0ES3_N6thrust23THRUST_200600_302600_NS6detail15normal_iteratorINS9_10device_ptrIiEEEESE_iNS9_4plusIvEEiEEDaPvRmT3_T4_T5_mT6_P12ihipStream_tbENKUlT_T0_E_clISt17integral_constantIbLb1EEST_IbLb0EEEEDaSP_SQ_EUlSP_E0_NS1_11comp_targetILNS1_3genE2ELNS1_11target_archE906ELNS1_3gpuE6ELNS1_3repE0EEENS1_30default_config_static_selectorELNS0_4arch9wavefront6targetE0EEEvT1_, .Lfunc_end60-_ZN7rocprim17ROCPRIM_400000_NS6detail17trampoline_kernelINS0_14default_configENS1_20scan_config_selectorIiEEZZNS1_9scan_implILNS1_25lookback_scan_determinismE0ELb0ELb0ES3_N6thrust23THRUST_200600_302600_NS6detail15normal_iteratorINS9_10device_ptrIiEEEESE_iNS9_4plusIvEEiEEDaPvRmT3_T4_T5_mT6_P12ihipStream_tbENKUlT_T0_E_clISt17integral_constantIbLb1EEST_IbLb0EEEEDaSP_SQ_EUlSP_E0_NS1_11comp_targetILNS1_3genE2ELNS1_11target_archE906ELNS1_3gpuE6ELNS1_3repE0EEENS1_30default_config_static_selectorELNS0_4arch9wavefront6targetE0EEEvT1_
                                        ; -- End function
	.set _ZN7rocprim17ROCPRIM_400000_NS6detail17trampoline_kernelINS0_14default_configENS1_20scan_config_selectorIiEEZZNS1_9scan_implILNS1_25lookback_scan_determinismE0ELb0ELb0ES3_N6thrust23THRUST_200600_302600_NS6detail15normal_iteratorINS9_10device_ptrIiEEEESE_iNS9_4plusIvEEiEEDaPvRmT3_T4_T5_mT6_P12ihipStream_tbENKUlT_T0_E_clISt17integral_constantIbLb1EEST_IbLb0EEEEDaSP_SQ_EUlSP_E0_NS1_11comp_targetILNS1_3genE2ELNS1_11target_archE906ELNS1_3gpuE6ELNS1_3repE0EEENS1_30default_config_static_selectorELNS0_4arch9wavefront6targetE0EEEvT1_.num_vgpr, 0
	.set _ZN7rocprim17ROCPRIM_400000_NS6detail17trampoline_kernelINS0_14default_configENS1_20scan_config_selectorIiEEZZNS1_9scan_implILNS1_25lookback_scan_determinismE0ELb0ELb0ES3_N6thrust23THRUST_200600_302600_NS6detail15normal_iteratorINS9_10device_ptrIiEEEESE_iNS9_4plusIvEEiEEDaPvRmT3_T4_T5_mT6_P12ihipStream_tbENKUlT_T0_E_clISt17integral_constantIbLb1EEST_IbLb0EEEEDaSP_SQ_EUlSP_E0_NS1_11comp_targetILNS1_3genE2ELNS1_11target_archE906ELNS1_3gpuE6ELNS1_3repE0EEENS1_30default_config_static_selectorELNS0_4arch9wavefront6targetE0EEEvT1_.num_agpr, 0
	.set _ZN7rocprim17ROCPRIM_400000_NS6detail17trampoline_kernelINS0_14default_configENS1_20scan_config_selectorIiEEZZNS1_9scan_implILNS1_25lookback_scan_determinismE0ELb0ELb0ES3_N6thrust23THRUST_200600_302600_NS6detail15normal_iteratorINS9_10device_ptrIiEEEESE_iNS9_4plusIvEEiEEDaPvRmT3_T4_T5_mT6_P12ihipStream_tbENKUlT_T0_E_clISt17integral_constantIbLb1EEST_IbLb0EEEEDaSP_SQ_EUlSP_E0_NS1_11comp_targetILNS1_3genE2ELNS1_11target_archE906ELNS1_3gpuE6ELNS1_3repE0EEENS1_30default_config_static_selectorELNS0_4arch9wavefront6targetE0EEEvT1_.numbered_sgpr, 0
	.set _ZN7rocprim17ROCPRIM_400000_NS6detail17trampoline_kernelINS0_14default_configENS1_20scan_config_selectorIiEEZZNS1_9scan_implILNS1_25lookback_scan_determinismE0ELb0ELb0ES3_N6thrust23THRUST_200600_302600_NS6detail15normal_iteratorINS9_10device_ptrIiEEEESE_iNS9_4plusIvEEiEEDaPvRmT3_T4_T5_mT6_P12ihipStream_tbENKUlT_T0_E_clISt17integral_constantIbLb1EEST_IbLb0EEEEDaSP_SQ_EUlSP_E0_NS1_11comp_targetILNS1_3genE2ELNS1_11target_archE906ELNS1_3gpuE6ELNS1_3repE0EEENS1_30default_config_static_selectorELNS0_4arch9wavefront6targetE0EEEvT1_.num_named_barrier, 0
	.set _ZN7rocprim17ROCPRIM_400000_NS6detail17trampoline_kernelINS0_14default_configENS1_20scan_config_selectorIiEEZZNS1_9scan_implILNS1_25lookback_scan_determinismE0ELb0ELb0ES3_N6thrust23THRUST_200600_302600_NS6detail15normal_iteratorINS9_10device_ptrIiEEEESE_iNS9_4plusIvEEiEEDaPvRmT3_T4_T5_mT6_P12ihipStream_tbENKUlT_T0_E_clISt17integral_constantIbLb1EEST_IbLb0EEEEDaSP_SQ_EUlSP_E0_NS1_11comp_targetILNS1_3genE2ELNS1_11target_archE906ELNS1_3gpuE6ELNS1_3repE0EEENS1_30default_config_static_selectorELNS0_4arch9wavefront6targetE0EEEvT1_.private_seg_size, 0
	.set _ZN7rocprim17ROCPRIM_400000_NS6detail17trampoline_kernelINS0_14default_configENS1_20scan_config_selectorIiEEZZNS1_9scan_implILNS1_25lookback_scan_determinismE0ELb0ELb0ES3_N6thrust23THRUST_200600_302600_NS6detail15normal_iteratorINS9_10device_ptrIiEEEESE_iNS9_4plusIvEEiEEDaPvRmT3_T4_T5_mT6_P12ihipStream_tbENKUlT_T0_E_clISt17integral_constantIbLb1EEST_IbLb0EEEEDaSP_SQ_EUlSP_E0_NS1_11comp_targetILNS1_3genE2ELNS1_11target_archE906ELNS1_3gpuE6ELNS1_3repE0EEENS1_30default_config_static_selectorELNS0_4arch9wavefront6targetE0EEEvT1_.uses_vcc, 0
	.set _ZN7rocprim17ROCPRIM_400000_NS6detail17trampoline_kernelINS0_14default_configENS1_20scan_config_selectorIiEEZZNS1_9scan_implILNS1_25lookback_scan_determinismE0ELb0ELb0ES3_N6thrust23THRUST_200600_302600_NS6detail15normal_iteratorINS9_10device_ptrIiEEEESE_iNS9_4plusIvEEiEEDaPvRmT3_T4_T5_mT6_P12ihipStream_tbENKUlT_T0_E_clISt17integral_constantIbLb1EEST_IbLb0EEEEDaSP_SQ_EUlSP_E0_NS1_11comp_targetILNS1_3genE2ELNS1_11target_archE906ELNS1_3gpuE6ELNS1_3repE0EEENS1_30default_config_static_selectorELNS0_4arch9wavefront6targetE0EEEvT1_.uses_flat_scratch, 0
	.set _ZN7rocprim17ROCPRIM_400000_NS6detail17trampoline_kernelINS0_14default_configENS1_20scan_config_selectorIiEEZZNS1_9scan_implILNS1_25lookback_scan_determinismE0ELb0ELb0ES3_N6thrust23THRUST_200600_302600_NS6detail15normal_iteratorINS9_10device_ptrIiEEEESE_iNS9_4plusIvEEiEEDaPvRmT3_T4_T5_mT6_P12ihipStream_tbENKUlT_T0_E_clISt17integral_constantIbLb1EEST_IbLb0EEEEDaSP_SQ_EUlSP_E0_NS1_11comp_targetILNS1_3genE2ELNS1_11target_archE906ELNS1_3gpuE6ELNS1_3repE0EEENS1_30default_config_static_selectorELNS0_4arch9wavefront6targetE0EEEvT1_.has_dyn_sized_stack, 0
	.set _ZN7rocprim17ROCPRIM_400000_NS6detail17trampoline_kernelINS0_14default_configENS1_20scan_config_selectorIiEEZZNS1_9scan_implILNS1_25lookback_scan_determinismE0ELb0ELb0ES3_N6thrust23THRUST_200600_302600_NS6detail15normal_iteratorINS9_10device_ptrIiEEEESE_iNS9_4plusIvEEiEEDaPvRmT3_T4_T5_mT6_P12ihipStream_tbENKUlT_T0_E_clISt17integral_constantIbLb1EEST_IbLb0EEEEDaSP_SQ_EUlSP_E0_NS1_11comp_targetILNS1_3genE2ELNS1_11target_archE906ELNS1_3gpuE6ELNS1_3repE0EEENS1_30default_config_static_selectorELNS0_4arch9wavefront6targetE0EEEvT1_.has_recursion, 0
	.set _ZN7rocprim17ROCPRIM_400000_NS6detail17trampoline_kernelINS0_14default_configENS1_20scan_config_selectorIiEEZZNS1_9scan_implILNS1_25lookback_scan_determinismE0ELb0ELb0ES3_N6thrust23THRUST_200600_302600_NS6detail15normal_iteratorINS9_10device_ptrIiEEEESE_iNS9_4plusIvEEiEEDaPvRmT3_T4_T5_mT6_P12ihipStream_tbENKUlT_T0_E_clISt17integral_constantIbLb1EEST_IbLb0EEEEDaSP_SQ_EUlSP_E0_NS1_11comp_targetILNS1_3genE2ELNS1_11target_archE906ELNS1_3gpuE6ELNS1_3repE0EEENS1_30default_config_static_selectorELNS0_4arch9wavefront6targetE0EEEvT1_.has_indirect_call, 0
	.section	.AMDGPU.csdata,"",@progbits
; Kernel info:
; codeLenInByte = 0
; TotalNumSgprs: 0
; NumVgprs: 0
; ScratchSize: 0
; MemoryBound: 0
; FloatMode: 240
; IeeeMode: 1
; LDSByteSize: 0 bytes/workgroup (compile time only)
; SGPRBlocks: 0
; VGPRBlocks: 0
; NumSGPRsForWavesPerEU: 1
; NumVGPRsForWavesPerEU: 1
; NamedBarCnt: 0
; Occupancy: 16
; WaveLimiterHint : 0
; COMPUTE_PGM_RSRC2:SCRATCH_EN: 0
; COMPUTE_PGM_RSRC2:USER_SGPR: 2
; COMPUTE_PGM_RSRC2:TRAP_HANDLER: 0
; COMPUTE_PGM_RSRC2:TGID_X_EN: 1
; COMPUTE_PGM_RSRC2:TGID_Y_EN: 0
; COMPUTE_PGM_RSRC2:TGID_Z_EN: 0
; COMPUTE_PGM_RSRC2:TIDIG_COMP_CNT: 0
	.section	.text._ZN7rocprim17ROCPRIM_400000_NS6detail17trampoline_kernelINS0_14default_configENS1_20scan_config_selectorIiEEZZNS1_9scan_implILNS1_25lookback_scan_determinismE0ELb0ELb0ES3_N6thrust23THRUST_200600_302600_NS6detail15normal_iteratorINS9_10device_ptrIiEEEESE_iNS9_4plusIvEEiEEDaPvRmT3_T4_T5_mT6_P12ihipStream_tbENKUlT_T0_E_clISt17integral_constantIbLb1EEST_IbLb0EEEEDaSP_SQ_EUlSP_E0_NS1_11comp_targetILNS1_3genE10ELNS1_11target_archE1201ELNS1_3gpuE5ELNS1_3repE0EEENS1_30default_config_static_selectorELNS0_4arch9wavefront6targetE0EEEvT1_,"axG",@progbits,_ZN7rocprim17ROCPRIM_400000_NS6detail17trampoline_kernelINS0_14default_configENS1_20scan_config_selectorIiEEZZNS1_9scan_implILNS1_25lookback_scan_determinismE0ELb0ELb0ES3_N6thrust23THRUST_200600_302600_NS6detail15normal_iteratorINS9_10device_ptrIiEEEESE_iNS9_4plusIvEEiEEDaPvRmT3_T4_T5_mT6_P12ihipStream_tbENKUlT_T0_E_clISt17integral_constantIbLb1EEST_IbLb0EEEEDaSP_SQ_EUlSP_E0_NS1_11comp_targetILNS1_3genE10ELNS1_11target_archE1201ELNS1_3gpuE5ELNS1_3repE0EEENS1_30default_config_static_selectorELNS0_4arch9wavefront6targetE0EEEvT1_,comdat
	.protected	_ZN7rocprim17ROCPRIM_400000_NS6detail17trampoline_kernelINS0_14default_configENS1_20scan_config_selectorIiEEZZNS1_9scan_implILNS1_25lookback_scan_determinismE0ELb0ELb0ES3_N6thrust23THRUST_200600_302600_NS6detail15normal_iteratorINS9_10device_ptrIiEEEESE_iNS9_4plusIvEEiEEDaPvRmT3_T4_T5_mT6_P12ihipStream_tbENKUlT_T0_E_clISt17integral_constantIbLb1EEST_IbLb0EEEEDaSP_SQ_EUlSP_E0_NS1_11comp_targetILNS1_3genE10ELNS1_11target_archE1201ELNS1_3gpuE5ELNS1_3repE0EEENS1_30default_config_static_selectorELNS0_4arch9wavefront6targetE0EEEvT1_ ; -- Begin function _ZN7rocprim17ROCPRIM_400000_NS6detail17trampoline_kernelINS0_14default_configENS1_20scan_config_selectorIiEEZZNS1_9scan_implILNS1_25lookback_scan_determinismE0ELb0ELb0ES3_N6thrust23THRUST_200600_302600_NS6detail15normal_iteratorINS9_10device_ptrIiEEEESE_iNS9_4plusIvEEiEEDaPvRmT3_T4_T5_mT6_P12ihipStream_tbENKUlT_T0_E_clISt17integral_constantIbLb1EEST_IbLb0EEEEDaSP_SQ_EUlSP_E0_NS1_11comp_targetILNS1_3genE10ELNS1_11target_archE1201ELNS1_3gpuE5ELNS1_3repE0EEENS1_30default_config_static_selectorELNS0_4arch9wavefront6targetE0EEEvT1_
	.globl	_ZN7rocprim17ROCPRIM_400000_NS6detail17trampoline_kernelINS0_14default_configENS1_20scan_config_selectorIiEEZZNS1_9scan_implILNS1_25lookback_scan_determinismE0ELb0ELb0ES3_N6thrust23THRUST_200600_302600_NS6detail15normal_iteratorINS9_10device_ptrIiEEEESE_iNS9_4plusIvEEiEEDaPvRmT3_T4_T5_mT6_P12ihipStream_tbENKUlT_T0_E_clISt17integral_constantIbLb1EEST_IbLb0EEEEDaSP_SQ_EUlSP_E0_NS1_11comp_targetILNS1_3genE10ELNS1_11target_archE1201ELNS1_3gpuE5ELNS1_3repE0EEENS1_30default_config_static_selectorELNS0_4arch9wavefront6targetE0EEEvT1_
	.p2align	8
	.type	_ZN7rocprim17ROCPRIM_400000_NS6detail17trampoline_kernelINS0_14default_configENS1_20scan_config_selectorIiEEZZNS1_9scan_implILNS1_25lookback_scan_determinismE0ELb0ELb0ES3_N6thrust23THRUST_200600_302600_NS6detail15normal_iteratorINS9_10device_ptrIiEEEESE_iNS9_4plusIvEEiEEDaPvRmT3_T4_T5_mT6_P12ihipStream_tbENKUlT_T0_E_clISt17integral_constantIbLb1EEST_IbLb0EEEEDaSP_SQ_EUlSP_E0_NS1_11comp_targetILNS1_3genE10ELNS1_11target_archE1201ELNS1_3gpuE5ELNS1_3repE0EEENS1_30default_config_static_selectorELNS0_4arch9wavefront6targetE0EEEvT1_,@function
_ZN7rocprim17ROCPRIM_400000_NS6detail17trampoline_kernelINS0_14default_configENS1_20scan_config_selectorIiEEZZNS1_9scan_implILNS1_25lookback_scan_determinismE0ELb0ELb0ES3_N6thrust23THRUST_200600_302600_NS6detail15normal_iteratorINS9_10device_ptrIiEEEESE_iNS9_4plusIvEEiEEDaPvRmT3_T4_T5_mT6_P12ihipStream_tbENKUlT_T0_E_clISt17integral_constantIbLb1EEST_IbLb0EEEEDaSP_SQ_EUlSP_E0_NS1_11comp_targetILNS1_3genE10ELNS1_11target_archE1201ELNS1_3gpuE5ELNS1_3repE0EEENS1_30default_config_static_selectorELNS0_4arch9wavefront6targetE0EEEvT1_: ; @_ZN7rocprim17ROCPRIM_400000_NS6detail17trampoline_kernelINS0_14default_configENS1_20scan_config_selectorIiEEZZNS1_9scan_implILNS1_25lookback_scan_determinismE0ELb0ELb0ES3_N6thrust23THRUST_200600_302600_NS6detail15normal_iteratorINS9_10device_ptrIiEEEESE_iNS9_4plusIvEEiEEDaPvRmT3_T4_T5_mT6_P12ihipStream_tbENKUlT_T0_E_clISt17integral_constantIbLb1EEST_IbLb0EEEEDaSP_SQ_EUlSP_E0_NS1_11comp_targetILNS1_3genE10ELNS1_11target_archE1201ELNS1_3gpuE5ELNS1_3repE0EEENS1_30default_config_static_selectorELNS0_4arch9wavefront6targetE0EEEvT1_
; %bb.0:
	.section	.rodata,"a",@progbits
	.p2align	6, 0x0
	.amdhsa_kernel _ZN7rocprim17ROCPRIM_400000_NS6detail17trampoline_kernelINS0_14default_configENS1_20scan_config_selectorIiEEZZNS1_9scan_implILNS1_25lookback_scan_determinismE0ELb0ELb0ES3_N6thrust23THRUST_200600_302600_NS6detail15normal_iteratorINS9_10device_ptrIiEEEESE_iNS9_4plusIvEEiEEDaPvRmT3_T4_T5_mT6_P12ihipStream_tbENKUlT_T0_E_clISt17integral_constantIbLb1EEST_IbLb0EEEEDaSP_SQ_EUlSP_E0_NS1_11comp_targetILNS1_3genE10ELNS1_11target_archE1201ELNS1_3gpuE5ELNS1_3repE0EEENS1_30default_config_static_selectorELNS0_4arch9wavefront6targetE0EEEvT1_
		.amdhsa_group_segment_fixed_size 0
		.amdhsa_private_segment_fixed_size 0
		.amdhsa_kernarg_size 32
		.amdhsa_user_sgpr_count 2
		.amdhsa_user_sgpr_dispatch_ptr 0
		.amdhsa_user_sgpr_queue_ptr 0
		.amdhsa_user_sgpr_kernarg_segment_ptr 1
		.amdhsa_user_sgpr_dispatch_id 0
		.amdhsa_user_sgpr_kernarg_preload_length 0
		.amdhsa_user_sgpr_kernarg_preload_offset 0
		.amdhsa_user_sgpr_private_segment_size 0
		.amdhsa_wavefront_size32 1
		.amdhsa_uses_dynamic_stack 0
		.amdhsa_enable_private_segment 0
		.amdhsa_system_sgpr_workgroup_id_x 1
		.amdhsa_system_sgpr_workgroup_id_y 0
		.amdhsa_system_sgpr_workgroup_id_z 0
		.amdhsa_system_sgpr_workgroup_info 0
		.amdhsa_system_vgpr_workitem_id 0
		.amdhsa_next_free_vgpr 1
		.amdhsa_next_free_sgpr 1
		.amdhsa_named_barrier_count 0
		.amdhsa_reserve_vcc 0
		.amdhsa_float_round_mode_32 0
		.amdhsa_float_round_mode_16_64 0
		.amdhsa_float_denorm_mode_32 3
		.amdhsa_float_denorm_mode_16_64 3
		.amdhsa_fp16_overflow 0
		.amdhsa_memory_ordered 1
		.amdhsa_forward_progress 1
		.amdhsa_inst_pref_size 0
		.amdhsa_round_robin_scheduling 0
		.amdhsa_exception_fp_ieee_invalid_op 0
		.amdhsa_exception_fp_denorm_src 0
		.amdhsa_exception_fp_ieee_div_zero 0
		.amdhsa_exception_fp_ieee_overflow 0
		.amdhsa_exception_fp_ieee_underflow 0
		.amdhsa_exception_fp_ieee_inexact 0
		.amdhsa_exception_int_div_zero 0
	.end_amdhsa_kernel
	.section	.text._ZN7rocprim17ROCPRIM_400000_NS6detail17trampoline_kernelINS0_14default_configENS1_20scan_config_selectorIiEEZZNS1_9scan_implILNS1_25lookback_scan_determinismE0ELb0ELb0ES3_N6thrust23THRUST_200600_302600_NS6detail15normal_iteratorINS9_10device_ptrIiEEEESE_iNS9_4plusIvEEiEEDaPvRmT3_T4_T5_mT6_P12ihipStream_tbENKUlT_T0_E_clISt17integral_constantIbLb1EEST_IbLb0EEEEDaSP_SQ_EUlSP_E0_NS1_11comp_targetILNS1_3genE10ELNS1_11target_archE1201ELNS1_3gpuE5ELNS1_3repE0EEENS1_30default_config_static_selectorELNS0_4arch9wavefront6targetE0EEEvT1_,"axG",@progbits,_ZN7rocprim17ROCPRIM_400000_NS6detail17trampoline_kernelINS0_14default_configENS1_20scan_config_selectorIiEEZZNS1_9scan_implILNS1_25lookback_scan_determinismE0ELb0ELb0ES3_N6thrust23THRUST_200600_302600_NS6detail15normal_iteratorINS9_10device_ptrIiEEEESE_iNS9_4plusIvEEiEEDaPvRmT3_T4_T5_mT6_P12ihipStream_tbENKUlT_T0_E_clISt17integral_constantIbLb1EEST_IbLb0EEEEDaSP_SQ_EUlSP_E0_NS1_11comp_targetILNS1_3genE10ELNS1_11target_archE1201ELNS1_3gpuE5ELNS1_3repE0EEENS1_30default_config_static_selectorELNS0_4arch9wavefront6targetE0EEEvT1_,comdat
.Lfunc_end61:
	.size	_ZN7rocprim17ROCPRIM_400000_NS6detail17trampoline_kernelINS0_14default_configENS1_20scan_config_selectorIiEEZZNS1_9scan_implILNS1_25lookback_scan_determinismE0ELb0ELb0ES3_N6thrust23THRUST_200600_302600_NS6detail15normal_iteratorINS9_10device_ptrIiEEEESE_iNS9_4plusIvEEiEEDaPvRmT3_T4_T5_mT6_P12ihipStream_tbENKUlT_T0_E_clISt17integral_constantIbLb1EEST_IbLb0EEEEDaSP_SQ_EUlSP_E0_NS1_11comp_targetILNS1_3genE10ELNS1_11target_archE1201ELNS1_3gpuE5ELNS1_3repE0EEENS1_30default_config_static_selectorELNS0_4arch9wavefront6targetE0EEEvT1_, .Lfunc_end61-_ZN7rocprim17ROCPRIM_400000_NS6detail17trampoline_kernelINS0_14default_configENS1_20scan_config_selectorIiEEZZNS1_9scan_implILNS1_25lookback_scan_determinismE0ELb0ELb0ES3_N6thrust23THRUST_200600_302600_NS6detail15normal_iteratorINS9_10device_ptrIiEEEESE_iNS9_4plusIvEEiEEDaPvRmT3_T4_T5_mT6_P12ihipStream_tbENKUlT_T0_E_clISt17integral_constantIbLb1EEST_IbLb0EEEEDaSP_SQ_EUlSP_E0_NS1_11comp_targetILNS1_3genE10ELNS1_11target_archE1201ELNS1_3gpuE5ELNS1_3repE0EEENS1_30default_config_static_selectorELNS0_4arch9wavefront6targetE0EEEvT1_
                                        ; -- End function
	.set _ZN7rocprim17ROCPRIM_400000_NS6detail17trampoline_kernelINS0_14default_configENS1_20scan_config_selectorIiEEZZNS1_9scan_implILNS1_25lookback_scan_determinismE0ELb0ELb0ES3_N6thrust23THRUST_200600_302600_NS6detail15normal_iteratorINS9_10device_ptrIiEEEESE_iNS9_4plusIvEEiEEDaPvRmT3_T4_T5_mT6_P12ihipStream_tbENKUlT_T0_E_clISt17integral_constantIbLb1EEST_IbLb0EEEEDaSP_SQ_EUlSP_E0_NS1_11comp_targetILNS1_3genE10ELNS1_11target_archE1201ELNS1_3gpuE5ELNS1_3repE0EEENS1_30default_config_static_selectorELNS0_4arch9wavefront6targetE0EEEvT1_.num_vgpr, 0
	.set _ZN7rocprim17ROCPRIM_400000_NS6detail17trampoline_kernelINS0_14default_configENS1_20scan_config_selectorIiEEZZNS1_9scan_implILNS1_25lookback_scan_determinismE0ELb0ELb0ES3_N6thrust23THRUST_200600_302600_NS6detail15normal_iteratorINS9_10device_ptrIiEEEESE_iNS9_4plusIvEEiEEDaPvRmT3_T4_T5_mT6_P12ihipStream_tbENKUlT_T0_E_clISt17integral_constantIbLb1EEST_IbLb0EEEEDaSP_SQ_EUlSP_E0_NS1_11comp_targetILNS1_3genE10ELNS1_11target_archE1201ELNS1_3gpuE5ELNS1_3repE0EEENS1_30default_config_static_selectorELNS0_4arch9wavefront6targetE0EEEvT1_.num_agpr, 0
	.set _ZN7rocprim17ROCPRIM_400000_NS6detail17trampoline_kernelINS0_14default_configENS1_20scan_config_selectorIiEEZZNS1_9scan_implILNS1_25lookback_scan_determinismE0ELb0ELb0ES3_N6thrust23THRUST_200600_302600_NS6detail15normal_iteratorINS9_10device_ptrIiEEEESE_iNS9_4plusIvEEiEEDaPvRmT3_T4_T5_mT6_P12ihipStream_tbENKUlT_T0_E_clISt17integral_constantIbLb1EEST_IbLb0EEEEDaSP_SQ_EUlSP_E0_NS1_11comp_targetILNS1_3genE10ELNS1_11target_archE1201ELNS1_3gpuE5ELNS1_3repE0EEENS1_30default_config_static_selectorELNS0_4arch9wavefront6targetE0EEEvT1_.numbered_sgpr, 0
	.set _ZN7rocprim17ROCPRIM_400000_NS6detail17trampoline_kernelINS0_14default_configENS1_20scan_config_selectorIiEEZZNS1_9scan_implILNS1_25lookback_scan_determinismE0ELb0ELb0ES3_N6thrust23THRUST_200600_302600_NS6detail15normal_iteratorINS9_10device_ptrIiEEEESE_iNS9_4plusIvEEiEEDaPvRmT3_T4_T5_mT6_P12ihipStream_tbENKUlT_T0_E_clISt17integral_constantIbLb1EEST_IbLb0EEEEDaSP_SQ_EUlSP_E0_NS1_11comp_targetILNS1_3genE10ELNS1_11target_archE1201ELNS1_3gpuE5ELNS1_3repE0EEENS1_30default_config_static_selectorELNS0_4arch9wavefront6targetE0EEEvT1_.num_named_barrier, 0
	.set _ZN7rocprim17ROCPRIM_400000_NS6detail17trampoline_kernelINS0_14default_configENS1_20scan_config_selectorIiEEZZNS1_9scan_implILNS1_25lookback_scan_determinismE0ELb0ELb0ES3_N6thrust23THRUST_200600_302600_NS6detail15normal_iteratorINS9_10device_ptrIiEEEESE_iNS9_4plusIvEEiEEDaPvRmT3_T4_T5_mT6_P12ihipStream_tbENKUlT_T0_E_clISt17integral_constantIbLb1EEST_IbLb0EEEEDaSP_SQ_EUlSP_E0_NS1_11comp_targetILNS1_3genE10ELNS1_11target_archE1201ELNS1_3gpuE5ELNS1_3repE0EEENS1_30default_config_static_selectorELNS0_4arch9wavefront6targetE0EEEvT1_.private_seg_size, 0
	.set _ZN7rocprim17ROCPRIM_400000_NS6detail17trampoline_kernelINS0_14default_configENS1_20scan_config_selectorIiEEZZNS1_9scan_implILNS1_25lookback_scan_determinismE0ELb0ELb0ES3_N6thrust23THRUST_200600_302600_NS6detail15normal_iteratorINS9_10device_ptrIiEEEESE_iNS9_4plusIvEEiEEDaPvRmT3_T4_T5_mT6_P12ihipStream_tbENKUlT_T0_E_clISt17integral_constantIbLb1EEST_IbLb0EEEEDaSP_SQ_EUlSP_E0_NS1_11comp_targetILNS1_3genE10ELNS1_11target_archE1201ELNS1_3gpuE5ELNS1_3repE0EEENS1_30default_config_static_selectorELNS0_4arch9wavefront6targetE0EEEvT1_.uses_vcc, 0
	.set _ZN7rocprim17ROCPRIM_400000_NS6detail17trampoline_kernelINS0_14default_configENS1_20scan_config_selectorIiEEZZNS1_9scan_implILNS1_25lookback_scan_determinismE0ELb0ELb0ES3_N6thrust23THRUST_200600_302600_NS6detail15normal_iteratorINS9_10device_ptrIiEEEESE_iNS9_4plusIvEEiEEDaPvRmT3_T4_T5_mT6_P12ihipStream_tbENKUlT_T0_E_clISt17integral_constantIbLb1EEST_IbLb0EEEEDaSP_SQ_EUlSP_E0_NS1_11comp_targetILNS1_3genE10ELNS1_11target_archE1201ELNS1_3gpuE5ELNS1_3repE0EEENS1_30default_config_static_selectorELNS0_4arch9wavefront6targetE0EEEvT1_.uses_flat_scratch, 0
	.set _ZN7rocprim17ROCPRIM_400000_NS6detail17trampoline_kernelINS0_14default_configENS1_20scan_config_selectorIiEEZZNS1_9scan_implILNS1_25lookback_scan_determinismE0ELb0ELb0ES3_N6thrust23THRUST_200600_302600_NS6detail15normal_iteratorINS9_10device_ptrIiEEEESE_iNS9_4plusIvEEiEEDaPvRmT3_T4_T5_mT6_P12ihipStream_tbENKUlT_T0_E_clISt17integral_constantIbLb1EEST_IbLb0EEEEDaSP_SQ_EUlSP_E0_NS1_11comp_targetILNS1_3genE10ELNS1_11target_archE1201ELNS1_3gpuE5ELNS1_3repE0EEENS1_30default_config_static_selectorELNS0_4arch9wavefront6targetE0EEEvT1_.has_dyn_sized_stack, 0
	.set _ZN7rocprim17ROCPRIM_400000_NS6detail17trampoline_kernelINS0_14default_configENS1_20scan_config_selectorIiEEZZNS1_9scan_implILNS1_25lookback_scan_determinismE0ELb0ELb0ES3_N6thrust23THRUST_200600_302600_NS6detail15normal_iteratorINS9_10device_ptrIiEEEESE_iNS9_4plusIvEEiEEDaPvRmT3_T4_T5_mT6_P12ihipStream_tbENKUlT_T0_E_clISt17integral_constantIbLb1EEST_IbLb0EEEEDaSP_SQ_EUlSP_E0_NS1_11comp_targetILNS1_3genE10ELNS1_11target_archE1201ELNS1_3gpuE5ELNS1_3repE0EEENS1_30default_config_static_selectorELNS0_4arch9wavefront6targetE0EEEvT1_.has_recursion, 0
	.set _ZN7rocprim17ROCPRIM_400000_NS6detail17trampoline_kernelINS0_14default_configENS1_20scan_config_selectorIiEEZZNS1_9scan_implILNS1_25lookback_scan_determinismE0ELb0ELb0ES3_N6thrust23THRUST_200600_302600_NS6detail15normal_iteratorINS9_10device_ptrIiEEEESE_iNS9_4plusIvEEiEEDaPvRmT3_T4_T5_mT6_P12ihipStream_tbENKUlT_T0_E_clISt17integral_constantIbLb1EEST_IbLb0EEEEDaSP_SQ_EUlSP_E0_NS1_11comp_targetILNS1_3genE10ELNS1_11target_archE1201ELNS1_3gpuE5ELNS1_3repE0EEENS1_30default_config_static_selectorELNS0_4arch9wavefront6targetE0EEEvT1_.has_indirect_call, 0
	.section	.AMDGPU.csdata,"",@progbits
; Kernel info:
; codeLenInByte = 0
; TotalNumSgprs: 0
; NumVgprs: 0
; ScratchSize: 0
; MemoryBound: 0
; FloatMode: 240
; IeeeMode: 1
; LDSByteSize: 0 bytes/workgroup (compile time only)
; SGPRBlocks: 0
; VGPRBlocks: 0
; NumSGPRsForWavesPerEU: 1
; NumVGPRsForWavesPerEU: 1
; NamedBarCnt: 0
; Occupancy: 16
; WaveLimiterHint : 0
; COMPUTE_PGM_RSRC2:SCRATCH_EN: 0
; COMPUTE_PGM_RSRC2:USER_SGPR: 2
; COMPUTE_PGM_RSRC2:TRAP_HANDLER: 0
; COMPUTE_PGM_RSRC2:TGID_X_EN: 1
; COMPUTE_PGM_RSRC2:TGID_Y_EN: 0
; COMPUTE_PGM_RSRC2:TGID_Z_EN: 0
; COMPUTE_PGM_RSRC2:TIDIG_COMP_CNT: 0
	.section	.text._ZN7rocprim17ROCPRIM_400000_NS6detail17trampoline_kernelINS0_14default_configENS1_20scan_config_selectorIiEEZZNS1_9scan_implILNS1_25lookback_scan_determinismE0ELb0ELb0ES3_N6thrust23THRUST_200600_302600_NS6detail15normal_iteratorINS9_10device_ptrIiEEEESE_iNS9_4plusIvEEiEEDaPvRmT3_T4_T5_mT6_P12ihipStream_tbENKUlT_T0_E_clISt17integral_constantIbLb1EEST_IbLb0EEEEDaSP_SQ_EUlSP_E0_NS1_11comp_targetILNS1_3genE10ELNS1_11target_archE1200ELNS1_3gpuE4ELNS1_3repE0EEENS1_30default_config_static_selectorELNS0_4arch9wavefront6targetE0EEEvT1_,"axG",@progbits,_ZN7rocprim17ROCPRIM_400000_NS6detail17trampoline_kernelINS0_14default_configENS1_20scan_config_selectorIiEEZZNS1_9scan_implILNS1_25lookback_scan_determinismE0ELb0ELb0ES3_N6thrust23THRUST_200600_302600_NS6detail15normal_iteratorINS9_10device_ptrIiEEEESE_iNS9_4plusIvEEiEEDaPvRmT3_T4_T5_mT6_P12ihipStream_tbENKUlT_T0_E_clISt17integral_constantIbLb1EEST_IbLb0EEEEDaSP_SQ_EUlSP_E0_NS1_11comp_targetILNS1_3genE10ELNS1_11target_archE1200ELNS1_3gpuE4ELNS1_3repE0EEENS1_30default_config_static_selectorELNS0_4arch9wavefront6targetE0EEEvT1_,comdat
	.protected	_ZN7rocprim17ROCPRIM_400000_NS6detail17trampoline_kernelINS0_14default_configENS1_20scan_config_selectorIiEEZZNS1_9scan_implILNS1_25lookback_scan_determinismE0ELb0ELb0ES3_N6thrust23THRUST_200600_302600_NS6detail15normal_iteratorINS9_10device_ptrIiEEEESE_iNS9_4plusIvEEiEEDaPvRmT3_T4_T5_mT6_P12ihipStream_tbENKUlT_T0_E_clISt17integral_constantIbLb1EEST_IbLb0EEEEDaSP_SQ_EUlSP_E0_NS1_11comp_targetILNS1_3genE10ELNS1_11target_archE1200ELNS1_3gpuE4ELNS1_3repE0EEENS1_30default_config_static_selectorELNS0_4arch9wavefront6targetE0EEEvT1_ ; -- Begin function _ZN7rocprim17ROCPRIM_400000_NS6detail17trampoline_kernelINS0_14default_configENS1_20scan_config_selectorIiEEZZNS1_9scan_implILNS1_25lookback_scan_determinismE0ELb0ELb0ES3_N6thrust23THRUST_200600_302600_NS6detail15normal_iteratorINS9_10device_ptrIiEEEESE_iNS9_4plusIvEEiEEDaPvRmT3_T4_T5_mT6_P12ihipStream_tbENKUlT_T0_E_clISt17integral_constantIbLb1EEST_IbLb0EEEEDaSP_SQ_EUlSP_E0_NS1_11comp_targetILNS1_3genE10ELNS1_11target_archE1200ELNS1_3gpuE4ELNS1_3repE0EEENS1_30default_config_static_selectorELNS0_4arch9wavefront6targetE0EEEvT1_
	.globl	_ZN7rocprim17ROCPRIM_400000_NS6detail17trampoline_kernelINS0_14default_configENS1_20scan_config_selectorIiEEZZNS1_9scan_implILNS1_25lookback_scan_determinismE0ELb0ELb0ES3_N6thrust23THRUST_200600_302600_NS6detail15normal_iteratorINS9_10device_ptrIiEEEESE_iNS9_4plusIvEEiEEDaPvRmT3_T4_T5_mT6_P12ihipStream_tbENKUlT_T0_E_clISt17integral_constantIbLb1EEST_IbLb0EEEEDaSP_SQ_EUlSP_E0_NS1_11comp_targetILNS1_3genE10ELNS1_11target_archE1200ELNS1_3gpuE4ELNS1_3repE0EEENS1_30default_config_static_selectorELNS0_4arch9wavefront6targetE0EEEvT1_
	.p2align	8
	.type	_ZN7rocprim17ROCPRIM_400000_NS6detail17trampoline_kernelINS0_14default_configENS1_20scan_config_selectorIiEEZZNS1_9scan_implILNS1_25lookback_scan_determinismE0ELb0ELb0ES3_N6thrust23THRUST_200600_302600_NS6detail15normal_iteratorINS9_10device_ptrIiEEEESE_iNS9_4plusIvEEiEEDaPvRmT3_T4_T5_mT6_P12ihipStream_tbENKUlT_T0_E_clISt17integral_constantIbLb1EEST_IbLb0EEEEDaSP_SQ_EUlSP_E0_NS1_11comp_targetILNS1_3genE10ELNS1_11target_archE1200ELNS1_3gpuE4ELNS1_3repE0EEENS1_30default_config_static_selectorELNS0_4arch9wavefront6targetE0EEEvT1_,@function
_ZN7rocprim17ROCPRIM_400000_NS6detail17trampoline_kernelINS0_14default_configENS1_20scan_config_selectorIiEEZZNS1_9scan_implILNS1_25lookback_scan_determinismE0ELb0ELb0ES3_N6thrust23THRUST_200600_302600_NS6detail15normal_iteratorINS9_10device_ptrIiEEEESE_iNS9_4plusIvEEiEEDaPvRmT3_T4_T5_mT6_P12ihipStream_tbENKUlT_T0_E_clISt17integral_constantIbLb1EEST_IbLb0EEEEDaSP_SQ_EUlSP_E0_NS1_11comp_targetILNS1_3genE10ELNS1_11target_archE1200ELNS1_3gpuE4ELNS1_3repE0EEENS1_30default_config_static_selectorELNS0_4arch9wavefront6targetE0EEEvT1_: ; @_ZN7rocprim17ROCPRIM_400000_NS6detail17trampoline_kernelINS0_14default_configENS1_20scan_config_selectorIiEEZZNS1_9scan_implILNS1_25lookback_scan_determinismE0ELb0ELb0ES3_N6thrust23THRUST_200600_302600_NS6detail15normal_iteratorINS9_10device_ptrIiEEEESE_iNS9_4plusIvEEiEEDaPvRmT3_T4_T5_mT6_P12ihipStream_tbENKUlT_T0_E_clISt17integral_constantIbLb1EEST_IbLb0EEEEDaSP_SQ_EUlSP_E0_NS1_11comp_targetILNS1_3genE10ELNS1_11target_archE1200ELNS1_3gpuE4ELNS1_3repE0EEENS1_30default_config_static_selectorELNS0_4arch9wavefront6targetE0EEEvT1_
; %bb.0:
	.section	.rodata,"a",@progbits
	.p2align	6, 0x0
	.amdhsa_kernel _ZN7rocprim17ROCPRIM_400000_NS6detail17trampoline_kernelINS0_14default_configENS1_20scan_config_selectorIiEEZZNS1_9scan_implILNS1_25lookback_scan_determinismE0ELb0ELb0ES3_N6thrust23THRUST_200600_302600_NS6detail15normal_iteratorINS9_10device_ptrIiEEEESE_iNS9_4plusIvEEiEEDaPvRmT3_T4_T5_mT6_P12ihipStream_tbENKUlT_T0_E_clISt17integral_constantIbLb1EEST_IbLb0EEEEDaSP_SQ_EUlSP_E0_NS1_11comp_targetILNS1_3genE10ELNS1_11target_archE1200ELNS1_3gpuE4ELNS1_3repE0EEENS1_30default_config_static_selectorELNS0_4arch9wavefront6targetE0EEEvT1_
		.amdhsa_group_segment_fixed_size 0
		.amdhsa_private_segment_fixed_size 0
		.amdhsa_kernarg_size 32
		.amdhsa_user_sgpr_count 2
		.amdhsa_user_sgpr_dispatch_ptr 0
		.amdhsa_user_sgpr_queue_ptr 0
		.amdhsa_user_sgpr_kernarg_segment_ptr 1
		.amdhsa_user_sgpr_dispatch_id 0
		.amdhsa_user_sgpr_kernarg_preload_length 0
		.amdhsa_user_sgpr_kernarg_preload_offset 0
		.amdhsa_user_sgpr_private_segment_size 0
		.amdhsa_wavefront_size32 1
		.amdhsa_uses_dynamic_stack 0
		.amdhsa_enable_private_segment 0
		.amdhsa_system_sgpr_workgroup_id_x 1
		.amdhsa_system_sgpr_workgroup_id_y 0
		.amdhsa_system_sgpr_workgroup_id_z 0
		.amdhsa_system_sgpr_workgroup_info 0
		.amdhsa_system_vgpr_workitem_id 0
		.amdhsa_next_free_vgpr 1
		.amdhsa_next_free_sgpr 1
		.amdhsa_named_barrier_count 0
		.amdhsa_reserve_vcc 0
		.amdhsa_float_round_mode_32 0
		.amdhsa_float_round_mode_16_64 0
		.amdhsa_float_denorm_mode_32 3
		.amdhsa_float_denorm_mode_16_64 3
		.amdhsa_fp16_overflow 0
		.amdhsa_memory_ordered 1
		.amdhsa_forward_progress 1
		.amdhsa_inst_pref_size 0
		.amdhsa_round_robin_scheduling 0
		.amdhsa_exception_fp_ieee_invalid_op 0
		.amdhsa_exception_fp_denorm_src 0
		.amdhsa_exception_fp_ieee_div_zero 0
		.amdhsa_exception_fp_ieee_overflow 0
		.amdhsa_exception_fp_ieee_underflow 0
		.amdhsa_exception_fp_ieee_inexact 0
		.amdhsa_exception_int_div_zero 0
	.end_amdhsa_kernel
	.section	.text._ZN7rocprim17ROCPRIM_400000_NS6detail17trampoline_kernelINS0_14default_configENS1_20scan_config_selectorIiEEZZNS1_9scan_implILNS1_25lookback_scan_determinismE0ELb0ELb0ES3_N6thrust23THRUST_200600_302600_NS6detail15normal_iteratorINS9_10device_ptrIiEEEESE_iNS9_4plusIvEEiEEDaPvRmT3_T4_T5_mT6_P12ihipStream_tbENKUlT_T0_E_clISt17integral_constantIbLb1EEST_IbLb0EEEEDaSP_SQ_EUlSP_E0_NS1_11comp_targetILNS1_3genE10ELNS1_11target_archE1200ELNS1_3gpuE4ELNS1_3repE0EEENS1_30default_config_static_selectorELNS0_4arch9wavefront6targetE0EEEvT1_,"axG",@progbits,_ZN7rocprim17ROCPRIM_400000_NS6detail17trampoline_kernelINS0_14default_configENS1_20scan_config_selectorIiEEZZNS1_9scan_implILNS1_25lookback_scan_determinismE0ELb0ELb0ES3_N6thrust23THRUST_200600_302600_NS6detail15normal_iteratorINS9_10device_ptrIiEEEESE_iNS9_4plusIvEEiEEDaPvRmT3_T4_T5_mT6_P12ihipStream_tbENKUlT_T0_E_clISt17integral_constantIbLb1EEST_IbLb0EEEEDaSP_SQ_EUlSP_E0_NS1_11comp_targetILNS1_3genE10ELNS1_11target_archE1200ELNS1_3gpuE4ELNS1_3repE0EEENS1_30default_config_static_selectorELNS0_4arch9wavefront6targetE0EEEvT1_,comdat
.Lfunc_end62:
	.size	_ZN7rocprim17ROCPRIM_400000_NS6detail17trampoline_kernelINS0_14default_configENS1_20scan_config_selectorIiEEZZNS1_9scan_implILNS1_25lookback_scan_determinismE0ELb0ELb0ES3_N6thrust23THRUST_200600_302600_NS6detail15normal_iteratorINS9_10device_ptrIiEEEESE_iNS9_4plusIvEEiEEDaPvRmT3_T4_T5_mT6_P12ihipStream_tbENKUlT_T0_E_clISt17integral_constantIbLb1EEST_IbLb0EEEEDaSP_SQ_EUlSP_E0_NS1_11comp_targetILNS1_3genE10ELNS1_11target_archE1200ELNS1_3gpuE4ELNS1_3repE0EEENS1_30default_config_static_selectorELNS0_4arch9wavefront6targetE0EEEvT1_, .Lfunc_end62-_ZN7rocprim17ROCPRIM_400000_NS6detail17trampoline_kernelINS0_14default_configENS1_20scan_config_selectorIiEEZZNS1_9scan_implILNS1_25lookback_scan_determinismE0ELb0ELb0ES3_N6thrust23THRUST_200600_302600_NS6detail15normal_iteratorINS9_10device_ptrIiEEEESE_iNS9_4plusIvEEiEEDaPvRmT3_T4_T5_mT6_P12ihipStream_tbENKUlT_T0_E_clISt17integral_constantIbLb1EEST_IbLb0EEEEDaSP_SQ_EUlSP_E0_NS1_11comp_targetILNS1_3genE10ELNS1_11target_archE1200ELNS1_3gpuE4ELNS1_3repE0EEENS1_30default_config_static_selectorELNS0_4arch9wavefront6targetE0EEEvT1_
                                        ; -- End function
	.set _ZN7rocprim17ROCPRIM_400000_NS6detail17trampoline_kernelINS0_14default_configENS1_20scan_config_selectorIiEEZZNS1_9scan_implILNS1_25lookback_scan_determinismE0ELb0ELb0ES3_N6thrust23THRUST_200600_302600_NS6detail15normal_iteratorINS9_10device_ptrIiEEEESE_iNS9_4plusIvEEiEEDaPvRmT3_T4_T5_mT6_P12ihipStream_tbENKUlT_T0_E_clISt17integral_constantIbLb1EEST_IbLb0EEEEDaSP_SQ_EUlSP_E0_NS1_11comp_targetILNS1_3genE10ELNS1_11target_archE1200ELNS1_3gpuE4ELNS1_3repE0EEENS1_30default_config_static_selectorELNS0_4arch9wavefront6targetE0EEEvT1_.num_vgpr, 0
	.set _ZN7rocprim17ROCPRIM_400000_NS6detail17trampoline_kernelINS0_14default_configENS1_20scan_config_selectorIiEEZZNS1_9scan_implILNS1_25lookback_scan_determinismE0ELb0ELb0ES3_N6thrust23THRUST_200600_302600_NS6detail15normal_iteratorINS9_10device_ptrIiEEEESE_iNS9_4plusIvEEiEEDaPvRmT3_T4_T5_mT6_P12ihipStream_tbENKUlT_T0_E_clISt17integral_constantIbLb1EEST_IbLb0EEEEDaSP_SQ_EUlSP_E0_NS1_11comp_targetILNS1_3genE10ELNS1_11target_archE1200ELNS1_3gpuE4ELNS1_3repE0EEENS1_30default_config_static_selectorELNS0_4arch9wavefront6targetE0EEEvT1_.num_agpr, 0
	.set _ZN7rocprim17ROCPRIM_400000_NS6detail17trampoline_kernelINS0_14default_configENS1_20scan_config_selectorIiEEZZNS1_9scan_implILNS1_25lookback_scan_determinismE0ELb0ELb0ES3_N6thrust23THRUST_200600_302600_NS6detail15normal_iteratorINS9_10device_ptrIiEEEESE_iNS9_4plusIvEEiEEDaPvRmT3_T4_T5_mT6_P12ihipStream_tbENKUlT_T0_E_clISt17integral_constantIbLb1EEST_IbLb0EEEEDaSP_SQ_EUlSP_E0_NS1_11comp_targetILNS1_3genE10ELNS1_11target_archE1200ELNS1_3gpuE4ELNS1_3repE0EEENS1_30default_config_static_selectorELNS0_4arch9wavefront6targetE0EEEvT1_.numbered_sgpr, 0
	.set _ZN7rocprim17ROCPRIM_400000_NS6detail17trampoline_kernelINS0_14default_configENS1_20scan_config_selectorIiEEZZNS1_9scan_implILNS1_25lookback_scan_determinismE0ELb0ELb0ES3_N6thrust23THRUST_200600_302600_NS6detail15normal_iteratorINS9_10device_ptrIiEEEESE_iNS9_4plusIvEEiEEDaPvRmT3_T4_T5_mT6_P12ihipStream_tbENKUlT_T0_E_clISt17integral_constantIbLb1EEST_IbLb0EEEEDaSP_SQ_EUlSP_E0_NS1_11comp_targetILNS1_3genE10ELNS1_11target_archE1200ELNS1_3gpuE4ELNS1_3repE0EEENS1_30default_config_static_selectorELNS0_4arch9wavefront6targetE0EEEvT1_.num_named_barrier, 0
	.set _ZN7rocprim17ROCPRIM_400000_NS6detail17trampoline_kernelINS0_14default_configENS1_20scan_config_selectorIiEEZZNS1_9scan_implILNS1_25lookback_scan_determinismE0ELb0ELb0ES3_N6thrust23THRUST_200600_302600_NS6detail15normal_iteratorINS9_10device_ptrIiEEEESE_iNS9_4plusIvEEiEEDaPvRmT3_T4_T5_mT6_P12ihipStream_tbENKUlT_T0_E_clISt17integral_constantIbLb1EEST_IbLb0EEEEDaSP_SQ_EUlSP_E0_NS1_11comp_targetILNS1_3genE10ELNS1_11target_archE1200ELNS1_3gpuE4ELNS1_3repE0EEENS1_30default_config_static_selectorELNS0_4arch9wavefront6targetE0EEEvT1_.private_seg_size, 0
	.set _ZN7rocprim17ROCPRIM_400000_NS6detail17trampoline_kernelINS0_14default_configENS1_20scan_config_selectorIiEEZZNS1_9scan_implILNS1_25lookback_scan_determinismE0ELb0ELb0ES3_N6thrust23THRUST_200600_302600_NS6detail15normal_iteratorINS9_10device_ptrIiEEEESE_iNS9_4plusIvEEiEEDaPvRmT3_T4_T5_mT6_P12ihipStream_tbENKUlT_T0_E_clISt17integral_constantIbLb1EEST_IbLb0EEEEDaSP_SQ_EUlSP_E0_NS1_11comp_targetILNS1_3genE10ELNS1_11target_archE1200ELNS1_3gpuE4ELNS1_3repE0EEENS1_30default_config_static_selectorELNS0_4arch9wavefront6targetE0EEEvT1_.uses_vcc, 0
	.set _ZN7rocprim17ROCPRIM_400000_NS6detail17trampoline_kernelINS0_14default_configENS1_20scan_config_selectorIiEEZZNS1_9scan_implILNS1_25lookback_scan_determinismE0ELb0ELb0ES3_N6thrust23THRUST_200600_302600_NS6detail15normal_iteratorINS9_10device_ptrIiEEEESE_iNS9_4plusIvEEiEEDaPvRmT3_T4_T5_mT6_P12ihipStream_tbENKUlT_T0_E_clISt17integral_constantIbLb1EEST_IbLb0EEEEDaSP_SQ_EUlSP_E0_NS1_11comp_targetILNS1_3genE10ELNS1_11target_archE1200ELNS1_3gpuE4ELNS1_3repE0EEENS1_30default_config_static_selectorELNS0_4arch9wavefront6targetE0EEEvT1_.uses_flat_scratch, 0
	.set _ZN7rocprim17ROCPRIM_400000_NS6detail17trampoline_kernelINS0_14default_configENS1_20scan_config_selectorIiEEZZNS1_9scan_implILNS1_25lookback_scan_determinismE0ELb0ELb0ES3_N6thrust23THRUST_200600_302600_NS6detail15normal_iteratorINS9_10device_ptrIiEEEESE_iNS9_4plusIvEEiEEDaPvRmT3_T4_T5_mT6_P12ihipStream_tbENKUlT_T0_E_clISt17integral_constantIbLb1EEST_IbLb0EEEEDaSP_SQ_EUlSP_E0_NS1_11comp_targetILNS1_3genE10ELNS1_11target_archE1200ELNS1_3gpuE4ELNS1_3repE0EEENS1_30default_config_static_selectorELNS0_4arch9wavefront6targetE0EEEvT1_.has_dyn_sized_stack, 0
	.set _ZN7rocprim17ROCPRIM_400000_NS6detail17trampoline_kernelINS0_14default_configENS1_20scan_config_selectorIiEEZZNS1_9scan_implILNS1_25lookback_scan_determinismE0ELb0ELb0ES3_N6thrust23THRUST_200600_302600_NS6detail15normal_iteratorINS9_10device_ptrIiEEEESE_iNS9_4plusIvEEiEEDaPvRmT3_T4_T5_mT6_P12ihipStream_tbENKUlT_T0_E_clISt17integral_constantIbLb1EEST_IbLb0EEEEDaSP_SQ_EUlSP_E0_NS1_11comp_targetILNS1_3genE10ELNS1_11target_archE1200ELNS1_3gpuE4ELNS1_3repE0EEENS1_30default_config_static_selectorELNS0_4arch9wavefront6targetE0EEEvT1_.has_recursion, 0
	.set _ZN7rocprim17ROCPRIM_400000_NS6detail17trampoline_kernelINS0_14default_configENS1_20scan_config_selectorIiEEZZNS1_9scan_implILNS1_25lookback_scan_determinismE0ELb0ELb0ES3_N6thrust23THRUST_200600_302600_NS6detail15normal_iteratorINS9_10device_ptrIiEEEESE_iNS9_4plusIvEEiEEDaPvRmT3_T4_T5_mT6_P12ihipStream_tbENKUlT_T0_E_clISt17integral_constantIbLb1EEST_IbLb0EEEEDaSP_SQ_EUlSP_E0_NS1_11comp_targetILNS1_3genE10ELNS1_11target_archE1200ELNS1_3gpuE4ELNS1_3repE0EEENS1_30default_config_static_selectorELNS0_4arch9wavefront6targetE0EEEvT1_.has_indirect_call, 0
	.section	.AMDGPU.csdata,"",@progbits
; Kernel info:
; codeLenInByte = 0
; TotalNumSgprs: 0
; NumVgprs: 0
; ScratchSize: 0
; MemoryBound: 0
; FloatMode: 240
; IeeeMode: 1
; LDSByteSize: 0 bytes/workgroup (compile time only)
; SGPRBlocks: 0
; VGPRBlocks: 0
; NumSGPRsForWavesPerEU: 1
; NumVGPRsForWavesPerEU: 1
; NamedBarCnt: 0
; Occupancy: 16
; WaveLimiterHint : 0
; COMPUTE_PGM_RSRC2:SCRATCH_EN: 0
; COMPUTE_PGM_RSRC2:USER_SGPR: 2
; COMPUTE_PGM_RSRC2:TRAP_HANDLER: 0
; COMPUTE_PGM_RSRC2:TGID_X_EN: 1
; COMPUTE_PGM_RSRC2:TGID_Y_EN: 0
; COMPUTE_PGM_RSRC2:TGID_Z_EN: 0
; COMPUTE_PGM_RSRC2:TIDIG_COMP_CNT: 0
	.section	.text._ZN7rocprim17ROCPRIM_400000_NS6detail17trampoline_kernelINS0_14default_configENS1_20scan_config_selectorIiEEZZNS1_9scan_implILNS1_25lookback_scan_determinismE0ELb0ELb0ES3_N6thrust23THRUST_200600_302600_NS6detail15normal_iteratorINS9_10device_ptrIiEEEESE_iNS9_4plusIvEEiEEDaPvRmT3_T4_T5_mT6_P12ihipStream_tbENKUlT_T0_E_clISt17integral_constantIbLb1EEST_IbLb0EEEEDaSP_SQ_EUlSP_E0_NS1_11comp_targetILNS1_3genE9ELNS1_11target_archE1100ELNS1_3gpuE3ELNS1_3repE0EEENS1_30default_config_static_selectorELNS0_4arch9wavefront6targetE0EEEvT1_,"axG",@progbits,_ZN7rocprim17ROCPRIM_400000_NS6detail17trampoline_kernelINS0_14default_configENS1_20scan_config_selectorIiEEZZNS1_9scan_implILNS1_25lookback_scan_determinismE0ELb0ELb0ES3_N6thrust23THRUST_200600_302600_NS6detail15normal_iteratorINS9_10device_ptrIiEEEESE_iNS9_4plusIvEEiEEDaPvRmT3_T4_T5_mT6_P12ihipStream_tbENKUlT_T0_E_clISt17integral_constantIbLb1EEST_IbLb0EEEEDaSP_SQ_EUlSP_E0_NS1_11comp_targetILNS1_3genE9ELNS1_11target_archE1100ELNS1_3gpuE3ELNS1_3repE0EEENS1_30default_config_static_selectorELNS0_4arch9wavefront6targetE0EEEvT1_,comdat
	.protected	_ZN7rocprim17ROCPRIM_400000_NS6detail17trampoline_kernelINS0_14default_configENS1_20scan_config_selectorIiEEZZNS1_9scan_implILNS1_25lookback_scan_determinismE0ELb0ELb0ES3_N6thrust23THRUST_200600_302600_NS6detail15normal_iteratorINS9_10device_ptrIiEEEESE_iNS9_4plusIvEEiEEDaPvRmT3_T4_T5_mT6_P12ihipStream_tbENKUlT_T0_E_clISt17integral_constantIbLb1EEST_IbLb0EEEEDaSP_SQ_EUlSP_E0_NS1_11comp_targetILNS1_3genE9ELNS1_11target_archE1100ELNS1_3gpuE3ELNS1_3repE0EEENS1_30default_config_static_selectorELNS0_4arch9wavefront6targetE0EEEvT1_ ; -- Begin function _ZN7rocprim17ROCPRIM_400000_NS6detail17trampoline_kernelINS0_14default_configENS1_20scan_config_selectorIiEEZZNS1_9scan_implILNS1_25lookback_scan_determinismE0ELb0ELb0ES3_N6thrust23THRUST_200600_302600_NS6detail15normal_iteratorINS9_10device_ptrIiEEEESE_iNS9_4plusIvEEiEEDaPvRmT3_T4_T5_mT6_P12ihipStream_tbENKUlT_T0_E_clISt17integral_constantIbLb1EEST_IbLb0EEEEDaSP_SQ_EUlSP_E0_NS1_11comp_targetILNS1_3genE9ELNS1_11target_archE1100ELNS1_3gpuE3ELNS1_3repE0EEENS1_30default_config_static_selectorELNS0_4arch9wavefront6targetE0EEEvT1_
	.globl	_ZN7rocprim17ROCPRIM_400000_NS6detail17trampoline_kernelINS0_14default_configENS1_20scan_config_selectorIiEEZZNS1_9scan_implILNS1_25lookback_scan_determinismE0ELb0ELb0ES3_N6thrust23THRUST_200600_302600_NS6detail15normal_iteratorINS9_10device_ptrIiEEEESE_iNS9_4plusIvEEiEEDaPvRmT3_T4_T5_mT6_P12ihipStream_tbENKUlT_T0_E_clISt17integral_constantIbLb1EEST_IbLb0EEEEDaSP_SQ_EUlSP_E0_NS1_11comp_targetILNS1_3genE9ELNS1_11target_archE1100ELNS1_3gpuE3ELNS1_3repE0EEENS1_30default_config_static_selectorELNS0_4arch9wavefront6targetE0EEEvT1_
	.p2align	8
	.type	_ZN7rocprim17ROCPRIM_400000_NS6detail17trampoline_kernelINS0_14default_configENS1_20scan_config_selectorIiEEZZNS1_9scan_implILNS1_25lookback_scan_determinismE0ELb0ELb0ES3_N6thrust23THRUST_200600_302600_NS6detail15normal_iteratorINS9_10device_ptrIiEEEESE_iNS9_4plusIvEEiEEDaPvRmT3_T4_T5_mT6_P12ihipStream_tbENKUlT_T0_E_clISt17integral_constantIbLb1EEST_IbLb0EEEEDaSP_SQ_EUlSP_E0_NS1_11comp_targetILNS1_3genE9ELNS1_11target_archE1100ELNS1_3gpuE3ELNS1_3repE0EEENS1_30default_config_static_selectorELNS0_4arch9wavefront6targetE0EEEvT1_,@function
_ZN7rocprim17ROCPRIM_400000_NS6detail17trampoline_kernelINS0_14default_configENS1_20scan_config_selectorIiEEZZNS1_9scan_implILNS1_25lookback_scan_determinismE0ELb0ELb0ES3_N6thrust23THRUST_200600_302600_NS6detail15normal_iteratorINS9_10device_ptrIiEEEESE_iNS9_4plusIvEEiEEDaPvRmT3_T4_T5_mT6_P12ihipStream_tbENKUlT_T0_E_clISt17integral_constantIbLb1EEST_IbLb0EEEEDaSP_SQ_EUlSP_E0_NS1_11comp_targetILNS1_3genE9ELNS1_11target_archE1100ELNS1_3gpuE3ELNS1_3repE0EEENS1_30default_config_static_selectorELNS0_4arch9wavefront6targetE0EEEvT1_: ; @_ZN7rocprim17ROCPRIM_400000_NS6detail17trampoline_kernelINS0_14default_configENS1_20scan_config_selectorIiEEZZNS1_9scan_implILNS1_25lookback_scan_determinismE0ELb0ELb0ES3_N6thrust23THRUST_200600_302600_NS6detail15normal_iteratorINS9_10device_ptrIiEEEESE_iNS9_4plusIvEEiEEDaPvRmT3_T4_T5_mT6_P12ihipStream_tbENKUlT_T0_E_clISt17integral_constantIbLb1EEST_IbLb0EEEEDaSP_SQ_EUlSP_E0_NS1_11comp_targetILNS1_3genE9ELNS1_11target_archE1100ELNS1_3gpuE3ELNS1_3repE0EEENS1_30default_config_static_selectorELNS0_4arch9wavefront6targetE0EEEvT1_
; %bb.0:
	.section	.rodata,"a",@progbits
	.p2align	6, 0x0
	.amdhsa_kernel _ZN7rocprim17ROCPRIM_400000_NS6detail17trampoline_kernelINS0_14default_configENS1_20scan_config_selectorIiEEZZNS1_9scan_implILNS1_25lookback_scan_determinismE0ELb0ELb0ES3_N6thrust23THRUST_200600_302600_NS6detail15normal_iteratorINS9_10device_ptrIiEEEESE_iNS9_4plusIvEEiEEDaPvRmT3_T4_T5_mT6_P12ihipStream_tbENKUlT_T0_E_clISt17integral_constantIbLb1EEST_IbLb0EEEEDaSP_SQ_EUlSP_E0_NS1_11comp_targetILNS1_3genE9ELNS1_11target_archE1100ELNS1_3gpuE3ELNS1_3repE0EEENS1_30default_config_static_selectorELNS0_4arch9wavefront6targetE0EEEvT1_
		.amdhsa_group_segment_fixed_size 0
		.amdhsa_private_segment_fixed_size 0
		.amdhsa_kernarg_size 32
		.amdhsa_user_sgpr_count 2
		.amdhsa_user_sgpr_dispatch_ptr 0
		.amdhsa_user_sgpr_queue_ptr 0
		.amdhsa_user_sgpr_kernarg_segment_ptr 1
		.amdhsa_user_sgpr_dispatch_id 0
		.amdhsa_user_sgpr_kernarg_preload_length 0
		.amdhsa_user_sgpr_kernarg_preload_offset 0
		.amdhsa_user_sgpr_private_segment_size 0
		.amdhsa_wavefront_size32 1
		.amdhsa_uses_dynamic_stack 0
		.amdhsa_enable_private_segment 0
		.amdhsa_system_sgpr_workgroup_id_x 1
		.amdhsa_system_sgpr_workgroup_id_y 0
		.amdhsa_system_sgpr_workgroup_id_z 0
		.amdhsa_system_sgpr_workgroup_info 0
		.amdhsa_system_vgpr_workitem_id 0
		.amdhsa_next_free_vgpr 1
		.amdhsa_next_free_sgpr 1
		.amdhsa_named_barrier_count 0
		.amdhsa_reserve_vcc 0
		.amdhsa_float_round_mode_32 0
		.amdhsa_float_round_mode_16_64 0
		.amdhsa_float_denorm_mode_32 3
		.amdhsa_float_denorm_mode_16_64 3
		.amdhsa_fp16_overflow 0
		.amdhsa_memory_ordered 1
		.amdhsa_forward_progress 1
		.amdhsa_inst_pref_size 0
		.amdhsa_round_robin_scheduling 0
		.amdhsa_exception_fp_ieee_invalid_op 0
		.amdhsa_exception_fp_denorm_src 0
		.amdhsa_exception_fp_ieee_div_zero 0
		.amdhsa_exception_fp_ieee_overflow 0
		.amdhsa_exception_fp_ieee_underflow 0
		.amdhsa_exception_fp_ieee_inexact 0
		.amdhsa_exception_int_div_zero 0
	.end_amdhsa_kernel
	.section	.text._ZN7rocprim17ROCPRIM_400000_NS6detail17trampoline_kernelINS0_14default_configENS1_20scan_config_selectorIiEEZZNS1_9scan_implILNS1_25lookback_scan_determinismE0ELb0ELb0ES3_N6thrust23THRUST_200600_302600_NS6detail15normal_iteratorINS9_10device_ptrIiEEEESE_iNS9_4plusIvEEiEEDaPvRmT3_T4_T5_mT6_P12ihipStream_tbENKUlT_T0_E_clISt17integral_constantIbLb1EEST_IbLb0EEEEDaSP_SQ_EUlSP_E0_NS1_11comp_targetILNS1_3genE9ELNS1_11target_archE1100ELNS1_3gpuE3ELNS1_3repE0EEENS1_30default_config_static_selectorELNS0_4arch9wavefront6targetE0EEEvT1_,"axG",@progbits,_ZN7rocprim17ROCPRIM_400000_NS6detail17trampoline_kernelINS0_14default_configENS1_20scan_config_selectorIiEEZZNS1_9scan_implILNS1_25lookback_scan_determinismE0ELb0ELb0ES3_N6thrust23THRUST_200600_302600_NS6detail15normal_iteratorINS9_10device_ptrIiEEEESE_iNS9_4plusIvEEiEEDaPvRmT3_T4_T5_mT6_P12ihipStream_tbENKUlT_T0_E_clISt17integral_constantIbLb1EEST_IbLb0EEEEDaSP_SQ_EUlSP_E0_NS1_11comp_targetILNS1_3genE9ELNS1_11target_archE1100ELNS1_3gpuE3ELNS1_3repE0EEENS1_30default_config_static_selectorELNS0_4arch9wavefront6targetE0EEEvT1_,comdat
.Lfunc_end63:
	.size	_ZN7rocprim17ROCPRIM_400000_NS6detail17trampoline_kernelINS0_14default_configENS1_20scan_config_selectorIiEEZZNS1_9scan_implILNS1_25lookback_scan_determinismE0ELb0ELb0ES3_N6thrust23THRUST_200600_302600_NS6detail15normal_iteratorINS9_10device_ptrIiEEEESE_iNS9_4plusIvEEiEEDaPvRmT3_T4_T5_mT6_P12ihipStream_tbENKUlT_T0_E_clISt17integral_constantIbLb1EEST_IbLb0EEEEDaSP_SQ_EUlSP_E0_NS1_11comp_targetILNS1_3genE9ELNS1_11target_archE1100ELNS1_3gpuE3ELNS1_3repE0EEENS1_30default_config_static_selectorELNS0_4arch9wavefront6targetE0EEEvT1_, .Lfunc_end63-_ZN7rocprim17ROCPRIM_400000_NS6detail17trampoline_kernelINS0_14default_configENS1_20scan_config_selectorIiEEZZNS1_9scan_implILNS1_25lookback_scan_determinismE0ELb0ELb0ES3_N6thrust23THRUST_200600_302600_NS6detail15normal_iteratorINS9_10device_ptrIiEEEESE_iNS9_4plusIvEEiEEDaPvRmT3_T4_T5_mT6_P12ihipStream_tbENKUlT_T0_E_clISt17integral_constantIbLb1EEST_IbLb0EEEEDaSP_SQ_EUlSP_E0_NS1_11comp_targetILNS1_3genE9ELNS1_11target_archE1100ELNS1_3gpuE3ELNS1_3repE0EEENS1_30default_config_static_selectorELNS0_4arch9wavefront6targetE0EEEvT1_
                                        ; -- End function
	.set _ZN7rocprim17ROCPRIM_400000_NS6detail17trampoline_kernelINS0_14default_configENS1_20scan_config_selectorIiEEZZNS1_9scan_implILNS1_25lookback_scan_determinismE0ELb0ELb0ES3_N6thrust23THRUST_200600_302600_NS6detail15normal_iteratorINS9_10device_ptrIiEEEESE_iNS9_4plusIvEEiEEDaPvRmT3_T4_T5_mT6_P12ihipStream_tbENKUlT_T0_E_clISt17integral_constantIbLb1EEST_IbLb0EEEEDaSP_SQ_EUlSP_E0_NS1_11comp_targetILNS1_3genE9ELNS1_11target_archE1100ELNS1_3gpuE3ELNS1_3repE0EEENS1_30default_config_static_selectorELNS0_4arch9wavefront6targetE0EEEvT1_.num_vgpr, 0
	.set _ZN7rocprim17ROCPRIM_400000_NS6detail17trampoline_kernelINS0_14default_configENS1_20scan_config_selectorIiEEZZNS1_9scan_implILNS1_25lookback_scan_determinismE0ELb0ELb0ES3_N6thrust23THRUST_200600_302600_NS6detail15normal_iteratorINS9_10device_ptrIiEEEESE_iNS9_4plusIvEEiEEDaPvRmT3_T4_T5_mT6_P12ihipStream_tbENKUlT_T0_E_clISt17integral_constantIbLb1EEST_IbLb0EEEEDaSP_SQ_EUlSP_E0_NS1_11comp_targetILNS1_3genE9ELNS1_11target_archE1100ELNS1_3gpuE3ELNS1_3repE0EEENS1_30default_config_static_selectorELNS0_4arch9wavefront6targetE0EEEvT1_.num_agpr, 0
	.set _ZN7rocprim17ROCPRIM_400000_NS6detail17trampoline_kernelINS0_14default_configENS1_20scan_config_selectorIiEEZZNS1_9scan_implILNS1_25lookback_scan_determinismE0ELb0ELb0ES3_N6thrust23THRUST_200600_302600_NS6detail15normal_iteratorINS9_10device_ptrIiEEEESE_iNS9_4plusIvEEiEEDaPvRmT3_T4_T5_mT6_P12ihipStream_tbENKUlT_T0_E_clISt17integral_constantIbLb1EEST_IbLb0EEEEDaSP_SQ_EUlSP_E0_NS1_11comp_targetILNS1_3genE9ELNS1_11target_archE1100ELNS1_3gpuE3ELNS1_3repE0EEENS1_30default_config_static_selectorELNS0_4arch9wavefront6targetE0EEEvT1_.numbered_sgpr, 0
	.set _ZN7rocprim17ROCPRIM_400000_NS6detail17trampoline_kernelINS0_14default_configENS1_20scan_config_selectorIiEEZZNS1_9scan_implILNS1_25lookback_scan_determinismE0ELb0ELb0ES3_N6thrust23THRUST_200600_302600_NS6detail15normal_iteratorINS9_10device_ptrIiEEEESE_iNS9_4plusIvEEiEEDaPvRmT3_T4_T5_mT6_P12ihipStream_tbENKUlT_T0_E_clISt17integral_constantIbLb1EEST_IbLb0EEEEDaSP_SQ_EUlSP_E0_NS1_11comp_targetILNS1_3genE9ELNS1_11target_archE1100ELNS1_3gpuE3ELNS1_3repE0EEENS1_30default_config_static_selectorELNS0_4arch9wavefront6targetE0EEEvT1_.num_named_barrier, 0
	.set _ZN7rocprim17ROCPRIM_400000_NS6detail17trampoline_kernelINS0_14default_configENS1_20scan_config_selectorIiEEZZNS1_9scan_implILNS1_25lookback_scan_determinismE0ELb0ELb0ES3_N6thrust23THRUST_200600_302600_NS6detail15normal_iteratorINS9_10device_ptrIiEEEESE_iNS9_4plusIvEEiEEDaPvRmT3_T4_T5_mT6_P12ihipStream_tbENKUlT_T0_E_clISt17integral_constantIbLb1EEST_IbLb0EEEEDaSP_SQ_EUlSP_E0_NS1_11comp_targetILNS1_3genE9ELNS1_11target_archE1100ELNS1_3gpuE3ELNS1_3repE0EEENS1_30default_config_static_selectorELNS0_4arch9wavefront6targetE0EEEvT1_.private_seg_size, 0
	.set _ZN7rocprim17ROCPRIM_400000_NS6detail17trampoline_kernelINS0_14default_configENS1_20scan_config_selectorIiEEZZNS1_9scan_implILNS1_25lookback_scan_determinismE0ELb0ELb0ES3_N6thrust23THRUST_200600_302600_NS6detail15normal_iteratorINS9_10device_ptrIiEEEESE_iNS9_4plusIvEEiEEDaPvRmT3_T4_T5_mT6_P12ihipStream_tbENKUlT_T0_E_clISt17integral_constantIbLb1EEST_IbLb0EEEEDaSP_SQ_EUlSP_E0_NS1_11comp_targetILNS1_3genE9ELNS1_11target_archE1100ELNS1_3gpuE3ELNS1_3repE0EEENS1_30default_config_static_selectorELNS0_4arch9wavefront6targetE0EEEvT1_.uses_vcc, 0
	.set _ZN7rocprim17ROCPRIM_400000_NS6detail17trampoline_kernelINS0_14default_configENS1_20scan_config_selectorIiEEZZNS1_9scan_implILNS1_25lookback_scan_determinismE0ELb0ELb0ES3_N6thrust23THRUST_200600_302600_NS6detail15normal_iteratorINS9_10device_ptrIiEEEESE_iNS9_4plusIvEEiEEDaPvRmT3_T4_T5_mT6_P12ihipStream_tbENKUlT_T0_E_clISt17integral_constantIbLb1EEST_IbLb0EEEEDaSP_SQ_EUlSP_E0_NS1_11comp_targetILNS1_3genE9ELNS1_11target_archE1100ELNS1_3gpuE3ELNS1_3repE0EEENS1_30default_config_static_selectorELNS0_4arch9wavefront6targetE0EEEvT1_.uses_flat_scratch, 0
	.set _ZN7rocprim17ROCPRIM_400000_NS6detail17trampoline_kernelINS0_14default_configENS1_20scan_config_selectorIiEEZZNS1_9scan_implILNS1_25lookback_scan_determinismE0ELb0ELb0ES3_N6thrust23THRUST_200600_302600_NS6detail15normal_iteratorINS9_10device_ptrIiEEEESE_iNS9_4plusIvEEiEEDaPvRmT3_T4_T5_mT6_P12ihipStream_tbENKUlT_T0_E_clISt17integral_constantIbLb1EEST_IbLb0EEEEDaSP_SQ_EUlSP_E0_NS1_11comp_targetILNS1_3genE9ELNS1_11target_archE1100ELNS1_3gpuE3ELNS1_3repE0EEENS1_30default_config_static_selectorELNS0_4arch9wavefront6targetE0EEEvT1_.has_dyn_sized_stack, 0
	.set _ZN7rocprim17ROCPRIM_400000_NS6detail17trampoline_kernelINS0_14default_configENS1_20scan_config_selectorIiEEZZNS1_9scan_implILNS1_25lookback_scan_determinismE0ELb0ELb0ES3_N6thrust23THRUST_200600_302600_NS6detail15normal_iteratorINS9_10device_ptrIiEEEESE_iNS9_4plusIvEEiEEDaPvRmT3_T4_T5_mT6_P12ihipStream_tbENKUlT_T0_E_clISt17integral_constantIbLb1EEST_IbLb0EEEEDaSP_SQ_EUlSP_E0_NS1_11comp_targetILNS1_3genE9ELNS1_11target_archE1100ELNS1_3gpuE3ELNS1_3repE0EEENS1_30default_config_static_selectorELNS0_4arch9wavefront6targetE0EEEvT1_.has_recursion, 0
	.set _ZN7rocprim17ROCPRIM_400000_NS6detail17trampoline_kernelINS0_14default_configENS1_20scan_config_selectorIiEEZZNS1_9scan_implILNS1_25lookback_scan_determinismE0ELb0ELb0ES3_N6thrust23THRUST_200600_302600_NS6detail15normal_iteratorINS9_10device_ptrIiEEEESE_iNS9_4plusIvEEiEEDaPvRmT3_T4_T5_mT6_P12ihipStream_tbENKUlT_T0_E_clISt17integral_constantIbLb1EEST_IbLb0EEEEDaSP_SQ_EUlSP_E0_NS1_11comp_targetILNS1_3genE9ELNS1_11target_archE1100ELNS1_3gpuE3ELNS1_3repE0EEENS1_30default_config_static_selectorELNS0_4arch9wavefront6targetE0EEEvT1_.has_indirect_call, 0
	.section	.AMDGPU.csdata,"",@progbits
; Kernel info:
; codeLenInByte = 0
; TotalNumSgprs: 0
; NumVgprs: 0
; ScratchSize: 0
; MemoryBound: 0
; FloatMode: 240
; IeeeMode: 1
; LDSByteSize: 0 bytes/workgroup (compile time only)
; SGPRBlocks: 0
; VGPRBlocks: 0
; NumSGPRsForWavesPerEU: 1
; NumVGPRsForWavesPerEU: 1
; NamedBarCnt: 0
; Occupancy: 16
; WaveLimiterHint : 0
; COMPUTE_PGM_RSRC2:SCRATCH_EN: 0
; COMPUTE_PGM_RSRC2:USER_SGPR: 2
; COMPUTE_PGM_RSRC2:TRAP_HANDLER: 0
; COMPUTE_PGM_RSRC2:TGID_X_EN: 1
; COMPUTE_PGM_RSRC2:TGID_Y_EN: 0
; COMPUTE_PGM_RSRC2:TGID_Z_EN: 0
; COMPUTE_PGM_RSRC2:TIDIG_COMP_CNT: 0
	.section	.text._ZN7rocprim17ROCPRIM_400000_NS6detail17trampoline_kernelINS0_14default_configENS1_20scan_config_selectorIiEEZZNS1_9scan_implILNS1_25lookback_scan_determinismE0ELb0ELb0ES3_N6thrust23THRUST_200600_302600_NS6detail15normal_iteratorINS9_10device_ptrIiEEEESE_iNS9_4plusIvEEiEEDaPvRmT3_T4_T5_mT6_P12ihipStream_tbENKUlT_T0_E_clISt17integral_constantIbLb1EEST_IbLb0EEEEDaSP_SQ_EUlSP_E0_NS1_11comp_targetILNS1_3genE8ELNS1_11target_archE1030ELNS1_3gpuE2ELNS1_3repE0EEENS1_30default_config_static_selectorELNS0_4arch9wavefront6targetE0EEEvT1_,"axG",@progbits,_ZN7rocprim17ROCPRIM_400000_NS6detail17trampoline_kernelINS0_14default_configENS1_20scan_config_selectorIiEEZZNS1_9scan_implILNS1_25lookback_scan_determinismE0ELb0ELb0ES3_N6thrust23THRUST_200600_302600_NS6detail15normal_iteratorINS9_10device_ptrIiEEEESE_iNS9_4plusIvEEiEEDaPvRmT3_T4_T5_mT6_P12ihipStream_tbENKUlT_T0_E_clISt17integral_constantIbLb1EEST_IbLb0EEEEDaSP_SQ_EUlSP_E0_NS1_11comp_targetILNS1_3genE8ELNS1_11target_archE1030ELNS1_3gpuE2ELNS1_3repE0EEENS1_30default_config_static_selectorELNS0_4arch9wavefront6targetE0EEEvT1_,comdat
	.protected	_ZN7rocprim17ROCPRIM_400000_NS6detail17trampoline_kernelINS0_14default_configENS1_20scan_config_selectorIiEEZZNS1_9scan_implILNS1_25lookback_scan_determinismE0ELb0ELb0ES3_N6thrust23THRUST_200600_302600_NS6detail15normal_iteratorINS9_10device_ptrIiEEEESE_iNS9_4plusIvEEiEEDaPvRmT3_T4_T5_mT6_P12ihipStream_tbENKUlT_T0_E_clISt17integral_constantIbLb1EEST_IbLb0EEEEDaSP_SQ_EUlSP_E0_NS1_11comp_targetILNS1_3genE8ELNS1_11target_archE1030ELNS1_3gpuE2ELNS1_3repE0EEENS1_30default_config_static_selectorELNS0_4arch9wavefront6targetE0EEEvT1_ ; -- Begin function _ZN7rocprim17ROCPRIM_400000_NS6detail17trampoline_kernelINS0_14default_configENS1_20scan_config_selectorIiEEZZNS1_9scan_implILNS1_25lookback_scan_determinismE0ELb0ELb0ES3_N6thrust23THRUST_200600_302600_NS6detail15normal_iteratorINS9_10device_ptrIiEEEESE_iNS9_4plusIvEEiEEDaPvRmT3_T4_T5_mT6_P12ihipStream_tbENKUlT_T0_E_clISt17integral_constantIbLb1EEST_IbLb0EEEEDaSP_SQ_EUlSP_E0_NS1_11comp_targetILNS1_3genE8ELNS1_11target_archE1030ELNS1_3gpuE2ELNS1_3repE0EEENS1_30default_config_static_selectorELNS0_4arch9wavefront6targetE0EEEvT1_
	.globl	_ZN7rocprim17ROCPRIM_400000_NS6detail17trampoline_kernelINS0_14default_configENS1_20scan_config_selectorIiEEZZNS1_9scan_implILNS1_25lookback_scan_determinismE0ELb0ELb0ES3_N6thrust23THRUST_200600_302600_NS6detail15normal_iteratorINS9_10device_ptrIiEEEESE_iNS9_4plusIvEEiEEDaPvRmT3_T4_T5_mT6_P12ihipStream_tbENKUlT_T0_E_clISt17integral_constantIbLb1EEST_IbLb0EEEEDaSP_SQ_EUlSP_E0_NS1_11comp_targetILNS1_3genE8ELNS1_11target_archE1030ELNS1_3gpuE2ELNS1_3repE0EEENS1_30default_config_static_selectorELNS0_4arch9wavefront6targetE0EEEvT1_
	.p2align	8
	.type	_ZN7rocprim17ROCPRIM_400000_NS6detail17trampoline_kernelINS0_14default_configENS1_20scan_config_selectorIiEEZZNS1_9scan_implILNS1_25lookback_scan_determinismE0ELb0ELb0ES3_N6thrust23THRUST_200600_302600_NS6detail15normal_iteratorINS9_10device_ptrIiEEEESE_iNS9_4plusIvEEiEEDaPvRmT3_T4_T5_mT6_P12ihipStream_tbENKUlT_T0_E_clISt17integral_constantIbLb1EEST_IbLb0EEEEDaSP_SQ_EUlSP_E0_NS1_11comp_targetILNS1_3genE8ELNS1_11target_archE1030ELNS1_3gpuE2ELNS1_3repE0EEENS1_30default_config_static_selectorELNS0_4arch9wavefront6targetE0EEEvT1_,@function
_ZN7rocprim17ROCPRIM_400000_NS6detail17trampoline_kernelINS0_14default_configENS1_20scan_config_selectorIiEEZZNS1_9scan_implILNS1_25lookback_scan_determinismE0ELb0ELb0ES3_N6thrust23THRUST_200600_302600_NS6detail15normal_iteratorINS9_10device_ptrIiEEEESE_iNS9_4plusIvEEiEEDaPvRmT3_T4_T5_mT6_P12ihipStream_tbENKUlT_T0_E_clISt17integral_constantIbLb1EEST_IbLb0EEEEDaSP_SQ_EUlSP_E0_NS1_11comp_targetILNS1_3genE8ELNS1_11target_archE1030ELNS1_3gpuE2ELNS1_3repE0EEENS1_30default_config_static_selectorELNS0_4arch9wavefront6targetE0EEEvT1_: ; @_ZN7rocprim17ROCPRIM_400000_NS6detail17trampoline_kernelINS0_14default_configENS1_20scan_config_selectorIiEEZZNS1_9scan_implILNS1_25lookback_scan_determinismE0ELb0ELb0ES3_N6thrust23THRUST_200600_302600_NS6detail15normal_iteratorINS9_10device_ptrIiEEEESE_iNS9_4plusIvEEiEEDaPvRmT3_T4_T5_mT6_P12ihipStream_tbENKUlT_T0_E_clISt17integral_constantIbLb1EEST_IbLb0EEEEDaSP_SQ_EUlSP_E0_NS1_11comp_targetILNS1_3genE8ELNS1_11target_archE1030ELNS1_3gpuE2ELNS1_3repE0EEENS1_30default_config_static_selectorELNS0_4arch9wavefront6targetE0EEEvT1_
; %bb.0:
	.section	.rodata,"a",@progbits
	.p2align	6, 0x0
	.amdhsa_kernel _ZN7rocprim17ROCPRIM_400000_NS6detail17trampoline_kernelINS0_14default_configENS1_20scan_config_selectorIiEEZZNS1_9scan_implILNS1_25lookback_scan_determinismE0ELb0ELb0ES3_N6thrust23THRUST_200600_302600_NS6detail15normal_iteratorINS9_10device_ptrIiEEEESE_iNS9_4plusIvEEiEEDaPvRmT3_T4_T5_mT6_P12ihipStream_tbENKUlT_T0_E_clISt17integral_constantIbLb1EEST_IbLb0EEEEDaSP_SQ_EUlSP_E0_NS1_11comp_targetILNS1_3genE8ELNS1_11target_archE1030ELNS1_3gpuE2ELNS1_3repE0EEENS1_30default_config_static_selectorELNS0_4arch9wavefront6targetE0EEEvT1_
		.amdhsa_group_segment_fixed_size 0
		.amdhsa_private_segment_fixed_size 0
		.amdhsa_kernarg_size 32
		.amdhsa_user_sgpr_count 2
		.amdhsa_user_sgpr_dispatch_ptr 0
		.amdhsa_user_sgpr_queue_ptr 0
		.amdhsa_user_sgpr_kernarg_segment_ptr 1
		.amdhsa_user_sgpr_dispatch_id 0
		.amdhsa_user_sgpr_kernarg_preload_length 0
		.amdhsa_user_sgpr_kernarg_preload_offset 0
		.amdhsa_user_sgpr_private_segment_size 0
		.amdhsa_wavefront_size32 1
		.amdhsa_uses_dynamic_stack 0
		.amdhsa_enable_private_segment 0
		.amdhsa_system_sgpr_workgroup_id_x 1
		.amdhsa_system_sgpr_workgroup_id_y 0
		.amdhsa_system_sgpr_workgroup_id_z 0
		.amdhsa_system_sgpr_workgroup_info 0
		.amdhsa_system_vgpr_workitem_id 0
		.amdhsa_next_free_vgpr 1
		.amdhsa_next_free_sgpr 1
		.amdhsa_named_barrier_count 0
		.amdhsa_reserve_vcc 0
		.amdhsa_float_round_mode_32 0
		.amdhsa_float_round_mode_16_64 0
		.amdhsa_float_denorm_mode_32 3
		.amdhsa_float_denorm_mode_16_64 3
		.amdhsa_fp16_overflow 0
		.amdhsa_memory_ordered 1
		.amdhsa_forward_progress 1
		.amdhsa_inst_pref_size 0
		.amdhsa_round_robin_scheduling 0
		.amdhsa_exception_fp_ieee_invalid_op 0
		.amdhsa_exception_fp_denorm_src 0
		.amdhsa_exception_fp_ieee_div_zero 0
		.amdhsa_exception_fp_ieee_overflow 0
		.amdhsa_exception_fp_ieee_underflow 0
		.amdhsa_exception_fp_ieee_inexact 0
		.amdhsa_exception_int_div_zero 0
	.end_amdhsa_kernel
	.section	.text._ZN7rocprim17ROCPRIM_400000_NS6detail17trampoline_kernelINS0_14default_configENS1_20scan_config_selectorIiEEZZNS1_9scan_implILNS1_25lookback_scan_determinismE0ELb0ELb0ES3_N6thrust23THRUST_200600_302600_NS6detail15normal_iteratorINS9_10device_ptrIiEEEESE_iNS9_4plusIvEEiEEDaPvRmT3_T4_T5_mT6_P12ihipStream_tbENKUlT_T0_E_clISt17integral_constantIbLb1EEST_IbLb0EEEEDaSP_SQ_EUlSP_E0_NS1_11comp_targetILNS1_3genE8ELNS1_11target_archE1030ELNS1_3gpuE2ELNS1_3repE0EEENS1_30default_config_static_selectorELNS0_4arch9wavefront6targetE0EEEvT1_,"axG",@progbits,_ZN7rocprim17ROCPRIM_400000_NS6detail17trampoline_kernelINS0_14default_configENS1_20scan_config_selectorIiEEZZNS1_9scan_implILNS1_25lookback_scan_determinismE0ELb0ELb0ES3_N6thrust23THRUST_200600_302600_NS6detail15normal_iteratorINS9_10device_ptrIiEEEESE_iNS9_4plusIvEEiEEDaPvRmT3_T4_T5_mT6_P12ihipStream_tbENKUlT_T0_E_clISt17integral_constantIbLb1EEST_IbLb0EEEEDaSP_SQ_EUlSP_E0_NS1_11comp_targetILNS1_3genE8ELNS1_11target_archE1030ELNS1_3gpuE2ELNS1_3repE0EEENS1_30default_config_static_selectorELNS0_4arch9wavefront6targetE0EEEvT1_,comdat
.Lfunc_end64:
	.size	_ZN7rocprim17ROCPRIM_400000_NS6detail17trampoline_kernelINS0_14default_configENS1_20scan_config_selectorIiEEZZNS1_9scan_implILNS1_25lookback_scan_determinismE0ELb0ELb0ES3_N6thrust23THRUST_200600_302600_NS6detail15normal_iteratorINS9_10device_ptrIiEEEESE_iNS9_4plusIvEEiEEDaPvRmT3_T4_T5_mT6_P12ihipStream_tbENKUlT_T0_E_clISt17integral_constantIbLb1EEST_IbLb0EEEEDaSP_SQ_EUlSP_E0_NS1_11comp_targetILNS1_3genE8ELNS1_11target_archE1030ELNS1_3gpuE2ELNS1_3repE0EEENS1_30default_config_static_selectorELNS0_4arch9wavefront6targetE0EEEvT1_, .Lfunc_end64-_ZN7rocprim17ROCPRIM_400000_NS6detail17trampoline_kernelINS0_14default_configENS1_20scan_config_selectorIiEEZZNS1_9scan_implILNS1_25lookback_scan_determinismE0ELb0ELb0ES3_N6thrust23THRUST_200600_302600_NS6detail15normal_iteratorINS9_10device_ptrIiEEEESE_iNS9_4plusIvEEiEEDaPvRmT3_T4_T5_mT6_P12ihipStream_tbENKUlT_T0_E_clISt17integral_constantIbLb1EEST_IbLb0EEEEDaSP_SQ_EUlSP_E0_NS1_11comp_targetILNS1_3genE8ELNS1_11target_archE1030ELNS1_3gpuE2ELNS1_3repE0EEENS1_30default_config_static_selectorELNS0_4arch9wavefront6targetE0EEEvT1_
                                        ; -- End function
	.set _ZN7rocprim17ROCPRIM_400000_NS6detail17trampoline_kernelINS0_14default_configENS1_20scan_config_selectorIiEEZZNS1_9scan_implILNS1_25lookback_scan_determinismE0ELb0ELb0ES3_N6thrust23THRUST_200600_302600_NS6detail15normal_iteratorINS9_10device_ptrIiEEEESE_iNS9_4plusIvEEiEEDaPvRmT3_T4_T5_mT6_P12ihipStream_tbENKUlT_T0_E_clISt17integral_constantIbLb1EEST_IbLb0EEEEDaSP_SQ_EUlSP_E0_NS1_11comp_targetILNS1_3genE8ELNS1_11target_archE1030ELNS1_3gpuE2ELNS1_3repE0EEENS1_30default_config_static_selectorELNS0_4arch9wavefront6targetE0EEEvT1_.num_vgpr, 0
	.set _ZN7rocprim17ROCPRIM_400000_NS6detail17trampoline_kernelINS0_14default_configENS1_20scan_config_selectorIiEEZZNS1_9scan_implILNS1_25lookback_scan_determinismE0ELb0ELb0ES3_N6thrust23THRUST_200600_302600_NS6detail15normal_iteratorINS9_10device_ptrIiEEEESE_iNS9_4plusIvEEiEEDaPvRmT3_T4_T5_mT6_P12ihipStream_tbENKUlT_T0_E_clISt17integral_constantIbLb1EEST_IbLb0EEEEDaSP_SQ_EUlSP_E0_NS1_11comp_targetILNS1_3genE8ELNS1_11target_archE1030ELNS1_3gpuE2ELNS1_3repE0EEENS1_30default_config_static_selectorELNS0_4arch9wavefront6targetE0EEEvT1_.num_agpr, 0
	.set _ZN7rocprim17ROCPRIM_400000_NS6detail17trampoline_kernelINS0_14default_configENS1_20scan_config_selectorIiEEZZNS1_9scan_implILNS1_25lookback_scan_determinismE0ELb0ELb0ES3_N6thrust23THRUST_200600_302600_NS6detail15normal_iteratorINS9_10device_ptrIiEEEESE_iNS9_4plusIvEEiEEDaPvRmT3_T4_T5_mT6_P12ihipStream_tbENKUlT_T0_E_clISt17integral_constantIbLb1EEST_IbLb0EEEEDaSP_SQ_EUlSP_E0_NS1_11comp_targetILNS1_3genE8ELNS1_11target_archE1030ELNS1_3gpuE2ELNS1_3repE0EEENS1_30default_config_static_selectorELNS0_4arch9wavefront6targetE0EEEvT1_.numbered_sgpr, 0
	.set _ZN7rocprim17ROCPRIM_400000_NS6detail17trampoline_kernelINS0_14default_configENS1_20scan_config_selectorIiEEZZNS1_9scan_implILNS1_25lookback_scan_determinismE0ELb0ELb0ES3_N6thrust23THRUST_200600_302600_NS6detail15normal_iteratorINS9_10device_ptrIiEEEESE_iNS9_4plusIvEEiEEDaPvRmT3_T4_T5_mT6_P12ihipStream_tbENKUlT_T0_E_clISt17integral_constantIbLb1EEST_IbLb0EEEEDaSP_SQ_EUlSP_E0_NS1_11comp_targetILNS1_3genE8ELNS1_11target_archE1030ELNS1_3gpuE2ELNS1_3repE0EEENS1_30default_config_static_selectorELNS0_4arch9wavefront6targetE0EEEvT1_.num_named_barrier, 0
	.set _ZN7rocprim17ROCPRIM_400000_NS6detail17trampoline_kernelINS0_14default_configENS1_20scan_config_selectorIiEEZZNS1_9scan_implILNS1_25lookback_scan_determinismE0ELb0ELb0ES3_N6thrust23THRUST_200600_302600_NS6detail15normal_iteratorINS9_10device_ptrIiEEEESE_iNS9_4plusIvEEiEEDaPvRmT3_T4_T5_mT6_P12ihipStream_tbENKUlT_T0_E_clISt17integral_constantIbLb1EEST_IbLb0EEEEDaSP_SQ_EUlSP_E0_NS1_11comp_targetILNS1_3genE8ELNS1_11target_archE1030ELNS1_3gpuE2ELNS1_3repE0EEENS1_30default_config_static_selectorELNS0_4arch9wavefront6targetE0EEEvT1_.private_seg_size, 0
	.set _ZN7rocprim17ROCPRIM_400000_NS6detail17trampoline_kernelINS0_14default_configENS1_20scan_config_selectorIiEEZZNS1_9scan_implILNS1_25lookback_scan_determinismE0ELb0ELb0ES3_N6thrust23THRUST_200600_302600_NS6detail15normal_iteratorINS9_10device_ptrIiEEEESE_iNS9_4plusIvEEiEEDaPvRmT3_T4_T5_mT6_P12ihipStream_tbENKUlT_T0_E_clISt17integral_constantIbLb1EEST_IbLb0EEEEDaSP_SQ_EUlSP_E0_NS1_11comp_targetILNS1_3genE8ELNS1_11target_archE1030ELNS1_3gpuE2ELNS1_3repE0EEENS1_30default_config_static_selectorELNS0_4arch9wavefront6targetE0EEEvT1_.uses_vcc, 0
	.set _ZN7rocprim17ROCPRIM_400000_NS6detail17trampoline_kernelINS0_14default_configENS1_20scan_config_selectorIiEEZZNS1_9scan_implILNS1_25lookback_scan_determinismE0ELb0ELb0ES3_N6thrust23THRUST_200600_302600_NS6detail15normal_iteratorINS9_10device_ptrIiEEEESE_iNS9_4plusIvEEiEEDaPvRmT3_T4_T5_mT6_P12ihipStream_tbENKUlT_T0_E_clISt17integral_constantIbLb1EEST_IbLb0EEEEDaSP_SQ_EUlSP_E0_NS1_11comp_targetILNS1_3genE8ELNS1_11target_archE1030ELNS1_3gpuE2ELNS1_3repE0EEENS1_30default_config_static_selectorELNS0_4arch9wavefront6targetE0EEEvT1_.uses_flat_scratch, 0
	.set _ZN7rocprim17ROCPRIM_400000_NS6detail17trampoline_kernelINS0_14default_configENS1_20scan_config_selectorIiEEZZNS1_9scan_implILNS1_25lookback_scan_determinismE0ELb0ELb0ES3_N6thrust23THRUST_200600_302600_NS6detail15normal_iteratorINS9_10device_ptrIiEEEESE_iNS9_4plusIvEEiEEDaPvRmT3_T4_T5_mT6_P12ihipStream_tbENKUlT_T0_E_clISt17integral_constantIbLb1EEST_IbLb0EEEEDaSP_SQ_EUlSP_E0_NS1_11comp_targetILNS1_3genE8ELNS1_11target_archE1030ELNS1_3gpuE2ELNS1_3repE0EEENS1_30default_config_static_selectorELNS0_4arch9wavefront6targetE0EEEvT1_.has_dyn_sized_stack, 0
	.set _ZN7rocprim17ROCPRIM_400000_NS6detail17trampoline_kernelINS0_14default_configENS1_20scan_config_selectorIiEEZZNS1_9scan_implILNS1_25lookback_scan_determinismE0ELb0ELb0ES3_N6thrust23THRUST_200600_302600_NS6detail15normal_iteratorINS9_10device_ptrIiEEEESE_iNS9_4plusIvEEiEEDaPvRmT3_T4_T5_mT6_P12ihipStream_tbENKUlT_T0_E_clISt17integral_constantIbLb1EEST_IbLb0EEEEDaSP_SQ_EUlSP_E0_NS1_11comp_targetILNS1_3genE8ELNS1_11target_archE1030ELNS1_3gpuE2ELNS1_3repE0EEENS1_30default_config_static_selectorELNS0_4arch9wavefront6targetE0EEEvT1_.has_recursion, 0
	.set _ZN7rocprim17ROCPRIM_400000_NS6detail17trampoline_kernelINS0_14default_configENS1_20scan_config_selectorIiEEZZNS1_9scan_implILNS1_25lookback_scan_determinismE0ELb0ELb0ES3_N6thrust23THRUST_200600_302600_NS6detail15normal_iteratorINS9_10device_ptrIiEEEESE_iNS9_4plusIvEEiEEDaPvRmT3_T4_T5_mT6_P12ihipStream_tbENKUlT_T0_E_clISt17integral_constantIbLb1EEST_IbLb0EEEEDaSP_SQ_EUlSP_E0_NS1_11comp_targetILNS1_3genE8ELNS1_11target_archE1030ELNS1_3gpuE2ELNS1_3repE0EEENS1_30default_config_static_selectorELNS0_4arch9wavefront6targetE0EEEvT1_.has_indirect_call, 0
	.section	.AMDGPU.csdata,"",@progbits
; Kernel info:
; codeLenInByte = 0
; TotalNumSgprs: 0
; NumVgprs: 0
; ScratchSize: 0
; MemoryBound: 0
; FloatMode: 240
; IeeeMode: 1
; LDSByteSize: 0 bytes/workgroup (compile time only)
; SGPRBlocks: 0
; VGPRBlocks: 0
; NumSGPRsForWavesPerEU: 1
; NumVGPRsForWavesPerEU: 1
; NamedBarCnt: 0
; Occupancy: 16
; WaveLimiterHint : 0
; COMPUTE_PGM_RSRC2:SCRATCH_EN: 0
; COMPUTE_PGM_RSRC2:USER_SGPR: 2
; COMPUTE_PGM_RSRC2:TRAP_HANDLER: 0
; COMPUTE_PGM_RSRC2:TGID_X_EN: 1
; COMPUTE_PGM_RSRC2:TGID_Y_EN: 0
; COMPUTE_PGM_RSRC2:TGID_Z_EN: 0
; COMPUTE_PGM_RSRC2:TIDIG_COMP_CNT: 0
	.section	.text._ZN7rocprim17ROCPRIM_400000_NS6detail31init_lookback_scan_state_kernelINS1_19lookback_scan_stateIiLb0ELb1EEENS1_16block_id_wrapperIjLb1EEEEEvT_jT0_jPNS7_10value_typeE,"axG",@progbits,_ZN7rocprim17ROCPRIM_400000_NS6detail31init_lookback_scan_state_kernelINS1_19lookback_scan_stateIiLb0ELb1EEENS1_16block_id_wrapperIjLb1EEEEEvT_jT0_jPNS7_10value_typeE,comdat
	.protected	_ZN7rocprim17ROCPRIM_400000_NS6detail31init_lookback_scan_state_kernelINS1_19lookback_scan_stateIiLb0ELb1EEENS1_16block_id_wrapperIjLb1EEEEEvT_jT0_jPNS7_10value_typeE ; -- Begin function _ZN7rocprim17ROCPRIM_400000_NS6detail31init_lookback_scan_state_kernelINS1_19lookback_scan_stateIiLb0ELb1EEENS1_16block_id_wrapperIjLb1EEEEEvT_jT0_jPNS7_10value_typeE
	.globl	_ZN7rocprim17ROCPRIM_400000_NS6detail31init_lookback_scan_state_kernelINS1_19lookback_scan_stateIiLb0ELb1EEENS1_16block_id_wrapperIjLb1EEEEEvT_jT0_jPNS7_10value_typeE
	.p2align	8
	.type	_ZN7rocprim17ROCPRIM_400000_NS6detail31init_lookback_scan_state_kernelINS1_19lookback_scan_stateIiLb0ELb1EEENS1_16block_id_wrapperIjLb1EEEEEvT_jT0_jPNS7_10value_typeE,@function
_ZN7rocprim17ROCPRIM_400000_NS6detail31init_lookback_scan_state_kernelINS1_19lookback_scan_stateIiLb0ELb1EEENS1_16block_id_wrapperIjLb1EEEEEvT_jT0_jPNS7_10value_typeE: ; @_ZN7rocprim17ROCPRIM_400000_NS6detail31init_lookback_scan_state_kernelINS1_19lookback_scan_stateIiLb0ELb1EEENS1_16block_id_wrapperIjLb1EEEEEvT_jT0_jPNS7_10value_typeE
; %bb.0:
	s_clause 0x2
	s_load_b32 s7, s[0:1], 0x34
	s_load_b96 s[4:6], s[0:1], 0x0
	s_load_b64 s[2:3], s[0:1], 0x20
	s_bfe_u32 s8, ttmp6, 0x4000c
	s_and_b32 s9, ttmp6, 15
	s_add_co_i32 s8, s8, 1
	s_getreg_b32 s10, hwreg(HW_REG_IB_STS2, 6, 4)
	s_mul_i32 s8, ttmp9, s8
	s_delay_alu instid0(SALU_CYCLE_1)
	s_add_co_i32 s9, s9, s8
	s_wait_kmcnt 0x0
	s_and_b32 s7, s7, 0xffff
	s_cmp_eq_u32 s10, 0
	s_cselect_b32 s8, ttmp9, s9
	s_cmp_eq_u64 s[2:3], 0
	v_mad_u32 v4, s8, s7, v0
	s_cbranch_scc1 .LBB65_7
; %bb.1:
	s_load_b32 s8, s[0:1], 0x18
	s_wait_kmcnt 0x0
	s_cmp_lt_u32 s8, s6
	s_cselect_b32 s7, s8, 0
	s_delay_alu instid0(VALU_DEP_1) | instid1(SALU_CYCLE_1)
	v_cmp_eq_u32_e32 vcc_lo, s7, v4
	s_and_saveexec_b32 s7, vcc_lo
	s_cbranch_execz .LBB65_6
; %bb.2:
	s_add_co_i32 s8, s8, 32
	s_delay_alu instid0(SALU_CYCLE_1) | instskip(SKIP_3) | instid1(VALU_DEP_1)
	v_dual_mov_b32 v2, 0 :: v_dual_mov_b32 v0, s8
	global_load_b64 v[0:1], v0, s[4:5] scale_offset scope:SCOPE_DEV
	s_wait_loadcnt 0x0
	v_and_b32_e32 v3, 0xff, v1
	v_cmp_ne_u64_e32 vcc_lo, 0, v[2:3]
	s_cbranch_vccnz .LBB65_5
; %bb.3:
	s_mov_b32 s9, 0
	s_delay_alu instid0(SALU_CYCLE_1) | instskip(NEXT) | instid1(SALU_CYCLE_1)
	s_lshl_b64 s[8:9], s[8:9], 3
	s_add_nc_u64 s[8:9], s[4:5], s[8:9]
.LBB65_4:                               ; =>This Inner Loop Header: Depth=1
	global_load_b64 v[0:1], v2, s[8:9] scope:SCOPE_DEV
	s_wait_loadcnt 0x0
	v_and_b32_e32 v3, 0xff, v1
	s_delay_alu instid0(VALU_DEP_1)
	v_cmp_eq_u64_e32 vcc_lo, 0, v[2:3]
	s_cbranch_vccnz .LBB65_4
.LBB65_5:
	v_mov_b32_e32 v1, 0
	global_store_b32 v1, v0, s[2:3]
.LBB65_6:
	s_wait_xcnt 0x0
	s_or_b32 exec_lo, exec_lo, s7
.LBB65_7:
	s_delay_alu instid0(SALU_CYCLE_1) | instskip(NEXT) | instid1(VALU_DEP_1)
	s_mov_b32 s2, exec_lo
	v_cmpx_eq_u32_e32 0, v4
	s_cbranch_execz .LBB65_9
; %bb.8:
	s_load_b64 s[0:1], s[0:1], 0x10
	v_mov_b32_e32 v0, 0
	s_wait_kmcnt 0x0
	global_store_b32 v0, v0, s[0:1]
.LBB65_9:
	s_wait_xcnt 0x0
	s_or_b32 exec_lo, exec_lo, s2
	s_delay_alu instid0(SALU_CYCLE_1)
	s_mov_b32 s0, exec_lo
	v_cmpx_gt_u32_e64 s6, v4
	s_cbranch_execz .LBB65_11
; %bb.10:
	v_mov_b64_e32 v[0:1], 0
	v_add_nc_u32_e32 v2, 32, v4
	global_store_b64 v2, v[0:1], s[4:5] scale_offset
.LBB65_11:
	s_wait_xcnt 0x0
	s_or_b32 exec_lo, exec_lo, s0
	s_delay_alu instid0(SALU_CYCLE_1)
	s_mov_b32 s0, exec_lo
	v_cmpx_gt_u32_e32 32, v4
	s_cbranch_execz .LBB65_13
; %bb.12:
	v_mov_b64_e32 v[0:1], 0xff00000000
	global_store_b64 v4, v[0:1], s[4:5] scale_offset
.LBB65_13:
	s_endpgm
	.section	.rodata,"a",@progbits
	.p2align	6, 0x0
	.amdhsa_kernel _ZN7rocprim17ROCPRIM_400000_NS6detail31init_lookback_scan_state_kernelINS1_19lookback_scan_stateIiLb0ELb1EEENS1_16block_id_wrapperIjLb1EEEEEvT_jT0_jPNS7_10value_typeE
		.amdhsa_group_segment_fixed_size 0
		.amdhsa_private_segment_fixed_size 0
		.amdhsa_kernarg_size 296
		.amdhsa_user_sgpr_count 2
		.amdhsa_user_sgpr_dispatch_ptr 0
		.amdhsa_user_sgpr_queue_ptr 0
		.amdhsa_user_sgpr_kernarg_segment_ptr 1
		.amdhsa_user_sgpr_dispatch_id 0
		.amdhsa_user_sgpr_kernarg_preload_length 0
		.amdhsa_user_sgpr_kernarg_preload_offset 0
		.amdhsa_user_sgpr_private_segment_size 0
		.amdhsa_wavefront_size32 1
		.amdhsa_uses_dynamic_stack 0
		.amdhsa_enable_private_segment 0
		.amdhsa_system_sgpr_workgroup_id_x 1
		.amdhsa_system_sgpr_workgroup_id_y 0
		.amdhsa_system_sgpr_workgroup_id_z 0
		.amdhsa_system_sgpr_workgroup_info 0
		.amdhsa_system_vgpr_workitem_id 0
		.amdhsa_next_free_vgpr 5
		.amdhsa_next_free_sgpr 11
		.amdhsa_named_barrier_count 0
		.amdhsa_reserve_vcc 1
		.amdhsa_float_round_mode_32 0
		.amdhsa_float_round_mode_16_64 0
		.amdhsa_float_denorm_mode_32 3
		.amdhsa_float_denorm_mode_16_64 3
		.amdhsa_fp16_overflow 0
		.amdhsa_memory_ordered 1
		.amdhsa_forward_progress 1
		.amdhsa_inst_pref_size 4
		.amdhsa_round_robin_scheduling 0
		.amdhsa_exception_fp_ieee_invalid_op 0
		.amdhsa_exception_fp_denorm_src 0
		.amdhsa_exception_fp_ieee_div_zero 0
		.amdhsa_exception_fp_ieee_overflow 0
		.amdhsa_exception_fp_ieee_underflow 0
		.amdhsa_exception_fp_ieee_inexact 0
		.amdhsa_exception_int_div_zero 0
	.end_amdhsa_kernel
	.section	.text._ZN7rocprim17ROCPRIM_400000_NS6detail31init_lookback_scan_state_kernelINS1_19lookback_scan_stateIiLb0ELb1EEENS1_16block_id_wrapperIjLb1EEEEEvT_jT0_jPNS7_10value_typeE,"axG",@progbits,_ZN7rocprim17ROCPRIM_400000_NS6detail31init_lookback_scan_state_kernelINS1_19lookback_scan_stateIiLb0ELb1EEENS1_16block_id_wrapperIjLb1EEEEEvT_jT0_jPNS7_10value_typeE,comdat
.Lfunc_end65:
	.size	_ZN7rocprim17ROCPRIM_400000_NS6detail31init_lookback_scan_state_kernelINS1_19lookback_scan_stateIiLb0ELb1EEENS1_16block_id_wrapperIjLb1EEEEEvT_jT0_jPNS7_10value_typeE, .Lfunc_end65-_ZN7rocprim17ROCPRIM_400000_NS6detail31init_lookback_scan_state_kernelINS1_19lookback_scan_stateIiLb0ELb1EEENS1_16block_id_wrapperIjLb1EEEEEvT_jT0_jPNS7_10value_typeE
                                        ; -- End function
	.set _ZN7rocprim17ROCPRIM_400000_NS6detail31init_lookback_scan_state_kernelINS1_19lookback_scan_stateIiLb0ELb1EEENS1_16block_id_wrapperIjLb1EEEEEvT_jT0_jPNS7_10value_typeE.num_vgpr, 5
	.set _ZN7rocprim17ROCPRIM_400000_NS6detail31init_lookback_scan_state_kernelINS1_19lookback_scan_stateIiLb0ELb1EEENS1_16block_id_wrapperIjLb1EEEEEvT_jT0_jPNS7_10value_typeE.num_agpr, 0
	.set _ZN7rocprim17ROCPRIM_400000_NS6detail31init_lookback_scan_state_kernelINS1_19lookback_scan_stateIiLb0ELb1EEENS1_16block_id_wrapperIjLb1EEEEEvT_jT0_jPNS7_10value_typeE.numbered_sgpr, 11
	.set _ZN7rocprim17ROCPRIM_400000_NS6detail31init_lookback_scan_state_kernelINS1_19lookback_scan_stateIiLb0ELb1EEENS1_16block_id_wrapperIjLb1EEEEEvT_jT0_jPNS7_10value_typeE.num_named_barrier, 0
	.set _ZN7rocprim17ROCPRIM_400000_NS6detail31init_lookback_scan_state_kernelINS1_19lookback_scan_stateIiLb0ELb1EEENS1_16block_id_wrapperIjLb1EEEEEvT_jT0_jPNS7_10value_typeE.private_seg_size, 0
	.set _ZN7rocprim17ROCPRIM_400000_NS6detail31init_lookback_scan_state_kernelINS1_19lookback_scan_stateIiLb0ELb1EEENS1_16block_id_wrapperIjLb1EEEEEvT_jT0_jPNS7_10value_typeE.uses_vcc, 1
	.set _ZN7rocprim17ROCPRIM_400000_NS6detail31init_lookback_scan_state_kernelINS1_19lookback_scan_stateIiLb0ELb1EEENS1_16block_id_wrapperIjLb1EEEEEvT_jT0_jPNS7_10value_typeE.uses_flat_scratch, 0
	.set _ZN7rocprim17ROCPRIM_400000_NS6detail31init_lookback_scan_state_kernelINS1_19lookback_scan_stateIiLb0ELb1EEENS1_16block_id_wrapperIjLb1EEEEEvT_jT0_jPNS7_10value_typeE.has_dyn_sized_stack, 0
	.set _ZN7rocprim17ROCPRIM_400000_NS6detail31init_lookback_scan_state_kernelINS1_19lookback_scan_stateIiLb0ELb1EEENS1_16block_id_wrapperIjLb1EEEEEvT_jT0_jPNS7_10value_typeE.has_recursion, 0
	.set _ZN7rocprim17ROCPRIM_400000_NS6detail31init_lookback_scan_state_kernelINS1_19lookback_scan_stateIiLb0ELb1EEENS1_16block_id_wrapperIjLb1EEEEEvT_jT0_jPNS7_10value_typeE.has_indirect_call, 0
	.section	.AMDGPU.csdata,"",@progbits
; Kernel info:
; codeLenInByte = 404
; TotalNumSgprs: 13
; NumVgprs: 5
; ScratchSize: 0
; MemoryBound: 0
; FloatMode: 240
; IeeeMode: 1
; LDSByteSize: 0 bytes/workgroup (compile time only)
; SGPRBlocks: 0
; VGPRBlocks: 0
; NumSGPRsForWavesPerEU: 13
; NumVGPRsForWavesPerEU: 5
; NamedBarCnt: 0
; Occupancy: 16
; WaveLimiterHint : 0
; COMPUTE_PGM_RSRC2:SCRATCH_EN: 0
; COMPUTE_PGM_RSRC2:USER_SGPR: 2
; COMPUTE_PGM_RSRC2:TRAP_HANDLER: 0
; COMPUTE_PGM_RSRC2:TGID_X_EN: 1
; COMPUTE_PGM_RSRC2:TGID_Y_EN: 0
; COMPUTE_PGM_RSRC2:TGID_Z_EN: 0
; COMPUTE_PGM_RSRC2:TIDIG_COMP_CNT: 0
	.section	.text._ZN7rocprim17ROCPRIM_400000_NS6detail17trampoline_kernelINS0_14default_configENS1_20scan_config_selectorIiEEZZNS1_9scan_implILNS1_25lookback_scan_determinismE0ELb0ELb0ES3_N6thrust23THRUST_200600_302600_NS6detail15normal_iteratorINS9_10device_ptrIiEEEESE_iNS9_4plusIvEEiEEDaPvRmT3_T4_T5_mT6_P12ihipStream_tbENKUlT_T0_E_clISt17integral_constantIbLb0EEST_IbLb1EEEEDaSP_SQ_EUlSP_E_NS1_11comp_targetILNS1_3genE0ELNS1_11target_archE4294967295ELNS1_3gpuE0ELNS1_3repE0EEENS1_30default_config_static_selectorELNS0_4arch9wavefront6targetE0EEEvT1_,"axG",@progbits,_ZN7rocprim17ROCPRIM_400000_NS6detail17trampoline_kernelINS0_14default_configENS1_20scan_config_selectorIiEEZZNS1_9scan_implILNS1_25lookback_scan_determinismE0ELb0ELb0ES3_N6thrust23THRUST_200600_302600_NS6detail15normal_iteratorINS9_10device_ptrIiEEEESE_iNS9_4plusIvEEiEEDaPvRmT3_T4_T5_mT6_P12ihipStream_tbENKUlT_T0_E_clISt17integral_constantIbLb0EEST_IbLb1EEEEDaSP_SQ_EUlSP_E_NS1_11comp_targetILNS1_3genE0ELNS1_11target_archE4294967295ELNS1_3gpuE0ELNS1_3repE0EEENS1_30default_config_static_selectorELNS0_4arch9wavefront6targetE0EEEvT1_,comdat
	.protected	_ZN7rocprim17ROCPRIM_400000_NS6detail17trampoline_kernelINS0_14default_configENS1_20scan_config_selectorIiEEZZNS1_9scan_implILNS1_25lookback_scan_determinismE0ELb0ELb0ES3_N6thrust23THRUST_200600_302600_NS6detail15normal_iteratorINS9_10device_ptrIiEEEESE_iNS9_4plusIvEEiEEDaPvRmT3_T4_T5_mT6_P12ihipStream_tbENKUlT_T0_E_clISt17integral_constantIbLb0EEST_IbLb1EEEEDaSP_SQ_EUlSP_E_NS1_11comp_targetILNS1_3genE0ELNS1_11target_archE4294967295ELNS1_3gpuE0ELNS1_3repE0EEENS1_30default_config_static_selectorELNS0_4arch9wavefront6targetE0EEEvT1_ ; -- Begin function _ZN7rocprim17ROCPRIM_400000_NS6detail17trampoline_kernelINS0_14default_configENS1_20scan_config_selectorIiEEZZNS1_9scan_implILNS1_25lookback_scan_determinismE0ELb0ELb0ES3_N6thrust23THRUST_200600_302600_NS6detail15normal_iteratorINS9_10device_ptrIiEEEESE_iNS9_4plusIvEEiEEDaPvRmT3_T4_T5_mT6_P12ihipStream_tbENKUlT_T0_E_clISt17integral_constantIbLb0EEST_IbLb1EEEEDaSP_SQ_EUlSP_E_NS1_11comp_targetILNS1_3genE0ELNS1_11target_archE4294967295ELNS1_3gpuE0ELNS1_3repE0EEENS1_30default_config_static_selectorELNS0_4arch9wavefront6targetE0EEEvT1_
	.globl	_ZN7rocprim17ROCPRIM_400000_NS6detail17trampoline_kernelINS0_14default_configENS1_20scan_config_selectorIiEEZZNS1_9scan_implILNS1_25lookback_scan_determinismE0ELb0ELb0ES3_N6thrust23THRUST_200600_302600_NS6detail15normal_iteratorINS9_10device_ptrIiEEEESE_iNS9_4plusIvEEiEEDaPvRmT3_T4_T5_mT6_P12ihipStream_tbENKUlT_T0_E_clISt17integral_constantIbLb0EEST_IbLb1EEEEDaSP_SQ_EUlSP_E_NS1_11comp_targetILNS1_3genE0ELNS1_11target_archE4294967295ELNS1_3gpuE0ELNS1_3repE0EEENS1_30default_config_static_selectorELNS0_4arch9wavefront6targetE0EEEvT1_
	.p2align	8
	.type	_ZN7rocprim17ROCPRIM_400000_NS6detail17trampoline_kernelINS0_14default_configENS1_20scan_config_selectorIiEEZZNS1_9scan_implILNS1_25lookback_scan_determinismE0ELb0ELb0ES3_N6thrust23THRUST_200600_302600_NS6detail15normal_iteratorINS9_10device_ptrIiEEEESE_iNS9_4plusIvEEiEEDaPvRmT3_T4_T5_mT6_P12ihipStream_tbENKUlT_T0_E_clISt17integral_constantIbLb0EEST_IbLb1EEEEDaSP_SQ_EUlSP_E_NS1_11comp_targetILNS1_3genE0ELNS1_11target_archE4294967295ELNS1_3gpuE0ELNS1_3repE0EEENS1_30default_config_static_selectorELNS0_4arch9wavefront6targetE0EEEvT1_,@function
_ZN7rocprim17ROCPRIM_400000_NS6detail17trampoline_kernelINS0_14default_configENS1_20scan_config_selectorIiEEZZNS1_9scan_implILNS1_25lookback_scan_determinismE0ELb0ELb0ES3_N6thrust23THRUST_200600_302600_NS6detail15normal_iteratorINS9_10device_ptrIiEEEESE_iNS9_4plusIvEEiEEDaPvRmT3_T4_T5_mT6_P12ihipStream_tbENKUlT_T0_E_clISt17integral_constantIbLb0EEST_IbLb1EEEEDaSP_SQ_EUlSP_E_NS1_11comp_targetILNS1_3genE0ELNS1_11target_archE4294967295ELNS1_3gpuE0ELNS1_3repE0EEENS1_30default_config_static_selectorELNS0_4arch9wavefront6targetE0EEEvT1_: ; @_ZN7rocprim17ROCPRIM_400000_NS6detail17trampoline_kernelINS0_14default_configENS1_20scan_config_selectorIiEEZZNS1_9scan_implILNS1_25lookback_scan_determinismE0ELb0ELb0ES3_N6thrust23THRUST_200600_302600_NS6detail15normal_iteratorINS9_10device_ptrIiEEEESE_iNS9_4plusIvEEiEEDaPvRmT3_T4_T5_mT6_P12ihipStream_tbENKUlT_T0_E_clISt17integral_constantIbLb0EEST_IbLb1EEEEDaSP_SQ_EUlSP_E_NS1_11comp_targetILNS1_3genE0ELNS1_11target_archE4294967295ELNS1_3gpuE0ELNS1_3repE0EEENS1_30default_config_static_selectorELNS0_4arch9wavefront6targetE0EEEvT1_
; %bb.0:
	s_load_b64 s[24:25], s[0:1], 0x28
	v_cmp_ne_u32_e64 s2, 0, v0
	v_cmp_eq_u32_e64 s3, 0, v0
	s_and_saveexec_b32 s4, s3
	s_cbranch_execz .LBB66_4
; %bb.1:
	s_mov_b32 s6, exec_lo
	s_mov_b32 s5, exec_lo
	v_mbcnt_lo_u32_b32 v1, s6, 0
                                        ; implicit-def: $vgpr2
	s_delay_alu instid0(VALU_DEP_1)
	v_cmpx_eq_u32_e32 0, v1
	s_cbranch_execz .LBB66_3
; %bb.2:
	s_load_b64 s[8:9], s[0:1], 0x58
	s_bcnt1_i32_b32 s6, s6
	s_delay_alu instid0(SALU_CYCLE_1)
	v_dual_mov_b32 v2, 0 :: v_dual_mov_b32 v3, s6
	s_wait_xcnt 0x0
	s_wait_kmcnt 0x0
	global_atomic_add_u32 v2, v2, v3, s[8:9] th:TH_ATOMIC_RETURN scope:SCOPE_DEV
.LBB66_3:
	s_wait_xcnt 0x0
	s_or_b32 exec_lo, exec_lo, s5
	s_wait_loadcnt 0x0
	v_readfirstlane_b32 s5, v2
	s_delay_alu instid0(VALU_DEP_1)
	v_dual_mov_b32 v2, 0 :: v_dual_add_nc_u32 v1, s5, v1
	ds_store_b32 v2, v1
.LBB66_4:
	s_or_b32 exec_lo, exec_lo, s4
	v_dual_mov_b32 v1, 0 :: v_dual_lshlrev_b32 v30, 2, v0
	s_clause 0x2
	s_load_b256 s[16:23], s[0:1], 0x0
	s_load_b32 s4, s[0:1], 0x30
	s_load_b256 s[8:15], s[0:1], 0x38
	s_wait_dscnt 0x0
	s_barrier_signal -1
	s_barrier_wait -1
	ds_load_b32 v18, v1
	s_mov_b32 s7, 0
	s_mov_b32 s26, -1
	s_wait_dscnt 0x0
	s_barrier_signal -1
	s_barrier_wait -1
	s_wait_kmcnt 0x0
	s_lshl_b64 s[18:19], s[18:19], 2
	s_add_co_i32 s0, s4, -1
	s_add_nc_u64 s[4:5], s[16:17], s[18:19]
	s_mul_i32 s6, s0, 0xe00
	s_mov_b32 s17, s7
	v_readfirstlane_b32 s1, v18
	v_cmp_ne_u32_e64 s0, s0, v18
	s_mul_i32 s16, s1, 0xe00
	s_and_b32 vcc_lo, exec_lo, s0
	s_lshl_b64 s[16:17], s[16:17], 2
	s_delay_alu instid0(SALU_CYCLE_1)
	s_add_nc_u64 s[4:5], s[4:5], s[16:17]
	s_cbranch_vccz .LBB66_6
; %bb.5:
	s_clause 0xd
	flat_load_b32 v1, v0, s[4:5] scale_offset
	flat_load_b32 v2, v0, s[4:5] offset:1024 scale_offset
	flat_load_b32 v3, v0, s[4:5] offset:2048 scale_offset
	;; [unrolled: 1-line block ×13, first 2 shown]
	s_mov_b32 s26, s7
	s_wait_loadcnt_dscnt 0xc0c
	ds_store_2addr_stride64_b32 v30, v1, v2 offset1:4
	s_wait_loadcnt_dscnt 0xa0b
	ds_store_2addr_stride64_b32 v30, v3, v4 offset0:8 offset1:12
	s_wait_loadcnt_dscnt 0x80a
	ds_store_2addr_stride64_b32 v30, v5, v6 offset0:16 offset1:20
	s_wait_loadcnt_dscnt 0x609
	ds_store_2addr_stride64_b32 v30, v7, v8 offset0:24 offset1:28
	s_wait_loadcnt_dscnt 0x408
	ds_store_2addr_stride64_b32 v30, v9, v10 offset0:32 offset1:36
	s_wait_loadcnt_dscnt 0x207
	ds_store_2addr_stride64_b32 v30, v11, v12 offset0:40 offset1:44
	s_wait_loadcnt_dscnt 0x6
	ds_store_2addr_stride64_b32 v30, v13, v14 offset0:48 offset1:52
	s_wait_dscnt 0x0
	s_barrier_signal -1
	s_barrier_wait -1
.LBB66_6:
	s_sub_nc_u64 s[6:7], s[22:23], s[6:7]
	s_and_not1_b32 vcc_lo, exec_lo, s26
	v_cmp_gt_u32_e64 s1, s6, v0
	s_cbranch_vccnz .LBB66_36
; %bb.7:
	v_mov_b32_e32 v1, 0
	flat_load_b32 v1, v1, s[4:5]
	s_wait_loadcnt_dscnt 0x0
	v_dual_mov_b32 v2, v1 :: v_dual_mov_b32 v3, v1
	v_dual_mov_b32 v4, v1 :: v_dual_mov_b32 v5, v1
	;; [unrolled: 1-line block ×6, first 2 shown]
	v_mov_b64_e32 v[16:17], v[14:15]
	s_delay_alu instid0(VALU_DEP_2) | instskip(NEXT) | instid1(VALU_DEP_4)
	v_mov_b64_e32 v[14:15], v[12:13]
	v_mov_b64_e32 v[12:13], v[10:11]
	v_mov_b64_e32 v[10:11], v[8:9]
	v_mov_b64_e32 v[8:9], v[6:7]
	v_mov_b64_e32 v[6:7], v[4:5]
	v_mov_b64_e32 v[4:5], v[2:3]
	v_mov_b64_e32 v[2:3], v[0:1]
	s_and_saveexec_b32 s22, s1
	s_cbranch_execz .LBB66_9
; %bb.8:
	flat_load_b32 v19, v0, s[4:5] scale_offset
	v_dual_mov_b32 v2, v1 :: v_dual_mov_b32 v3, v1
	v_dual_mov_b32 v4, v1 :: v_dual_mov_b32 v5, v1
	;; [unrolled: 1-line block ×6, first 2 shown]
	v_mov_b64_e32 v[16:17], v[14:15]
	s_delay_alu instid0(VALU_DEP_2) | instskip(NEXT) | instid1(VALU_DEP_4)
	v_mov_b64_e32 v[14:15], v[12:13]
	v_mov_b64_e32 v[12:13], v[10:11]
	v_mov_b64_e32 v[10:11], v[8:9]
	v_mov_b64_e32 v[8:9], v[6:7]
	v_mov_b64_e32 v[6:7], v[4:5]
	v_mov_b64_e32 v[4:5], v[2:3]
	v_mov_b64_e32 v[2:3], v[0:1]
	s_wait_loadcnt_dscnt 0x0
	v_mov_b32_e32 v1, v19
.LBB66_9:
	s_or_b32 exec_lo, exec_lo, s22
	v_or_b32_e32 v2, 0x100, v0
	s_mov_b32 s1, exec_lo
	s_delay_alu instid0(VALU_DEP_1)
	v_cmpx_gt_u32_e64 s6, v2
	s_cbranch_execz .LBB66_11
; %bb.10:
	flat_load_b32 v3, v0, s[4:5] offset:1024 scale_offset
.LBB66_11:
	s_wait_xcnt 0x0
	s_or_b32 exec_lo, exec_lo, s1
	v_or_b32_e32 v2, 0x200, v0
	s_mov_b32 s1, exec_lo
	s_delay_alu instid0(VALU_DEP_1)
	v_cmpx_gt_u32_e64 s6, v2
	s_cbranch_execz .LBB66_13
; %bb.12:
	flat_load_b32 v4, v0, s[4:5] offset:2048 scale_offset
.LBB66_13:
	s_wait_xcnt 0x0
	;; [unrolled: 10-line block ×13, first 2 shown]
	s_or_b32 exec_lo, exec_lo, s1
	s_wait_loadcnt_dscnt 0x0
	ds_store_2addr_stride64_b32 v30, v1, v3 offset1:4
	ds_store_2addr_stride64_b32 v30, v4, v5 offset0:8 offset1:12
	ds_store_2addr_stride64_b32 v30, v6, v7 offset0:16 offset1:20
	;; [unrolled: 1-line block ×6, first 2 shown]
	s_wait_dscnt 0x0
	s_barrier_signal -1
	s_barrier_wait -1
.LBB66_36:
	v_mul_u32_u24_e32 v1, 56, v0
	v_cmp_ne_u32_e32 vcc_lo, 0, v18
	v_mbcnt_lo_u32_b32 v31, -1, 0
	v_dual_lshrrev_b32 v34, 5, v0 :: v_dual_bitop2_b32 v35, 31, v0 bitop3:0x54
	ds_load_2addr_b64 v[2:5], v1 offset1:1
	ds_load_2addr_b64 v[26:29], v1 offset0:2 offset1:3
	ds_load_2addr_b64 v[22:25], v1 offset0:4 offset1:5
	ds_load_b64 v[32:33], v1 offset:48
	s_wait_dscnt 0x0
	s_barrier_signal -1
	s_barrier_wait -1
	s_cbranch_vccz .LBB66_58
; %bb.37:
	v_dual_add_nc_u32 v6, v3, v2 :: v_dual_bitop2_b32 v7, 15, v31 bitop3:0x40
	s_mov_b32 s1, exec_lo
	s_delay_alu instid0(VALU_DEP_1) | instskip(NEXT) | instid1(VALU_DEP_2)
	v_add3_u32 v6, v6, v4, v5
	v_cmp_ne_u32_e32 vcc_lo, 0, v7
	s_delay_alu instid0(VALU_DEP_2) | instskip(NEXT) | instid1(VALU_DEP_1)
	v_add3_u32 v6, v6, v26, v27
	v_add3_u32 v6, v6, v28, v29
	s_delay_alu instid0(VALU_DEP_1) | instskip(NEXT) | instid1(VALU_DEP_1)
	v_add3_u32 v6, v6, v22, v23
	v_add3_u32 v6, v6, v24, v25
	s_delay_alu instid0(VALU_DEP_1) | instskip(NEXT) | instid1(VALU_DEP_1)
	v_add3_u32 v6, v6, v32, v33
	v_mov_b32_dpp v8, v6 row_shr:1 row_mask:0xf bank_mask:0xf
	s_delay_alu instid0(VALU_DEP_1) | instskip(SKIP_1) | instid1(VALU_DEP_2)
	v_cndmask_b32_e32 v8, 0, v8, vcc_lo
	v_cmp_lt_u32_e32 vcc_lo, 1, v7
	v_add_nc_u32_e32 v6, v8, v6
	s_delay_alu instid0(VALU_DEP_1) | instskip(NEXT) | instid1(VALU_DEP_1)
	v_mov_b32_dpp v8, v6 row_shr:2 row_mask:0xf bank_mask:0xf
	v_cndmask_b32_e32 v8, 0, v8, vcc_lo
	v_cmp_lt_u32_e32 vcc_lo, 3, v7
	s_delay_alu instid0(VALU_DEP_2) | instskip(NEXT) | instid1(VALU_DEP_1)
	v_add_nc_u32_e32 v6, v6, v8
	v_mov_b32_dpp v8, v6 row_shr:4 row_mask:0xf bank_mask:0xf
	s_delay_alu instid0(VALU_DEP_1) | instskip(SKIP_1) | instid1(VALU_DEP_2)
	v_cndmask_b32_e32 v8, 0, v8, vcc_lo
	v_cmp_lt_u32_e32 vcc_lo, 7, v7
	v_add_nc_u32_e32 v6, v6, v8
	s_delay_alu instid0(VALU_DEP_1) | instskip(NEXT) | instid1(VALU_DEP_1)
	v_mov_b32_dpp v8, v6 row_shr:8 row_mask:0xf bank_mask:0xf
	v_cndmask_b32_e32 v7, 0, v8, vcc_lo
	v_bfe_i32 v8, v31, 4, 1
	s_delay_alu instid0(VALU_DEP_2) | instskip(SKIP_3) | instid1(VALU_DEP_1)
	v_add_nc_u32_e32 v6, v6, v7
	ds_swizzle_b32 v7, v6 offset:swizzle(BROADCAST,32,15)
	s_wait_dscnt 0x0
	v_and_b32_e32 v7, v8, v7
	v_add_nc_u32_e32 v6, v6, v7
	v_cmpx_eq_u32_e64 v0, v35
; %bb.38:
	v_lshlrev_b32_e32 v7, 2, v34
	ds_store_b32 v7, v6
; %bb.39:
	s_or_b32 exec_lo, exec_lo, s1
	s_delay_alu instid0(SALU_CYCLE_1)
	s_mov_b32 s1, exec_lo
	s_wait_dscnt 0x0
	s_barrier_signal -1
	s_barrier_wait -1
	v_cmpx_gt_u32_e32 8, v0
	s_cbranch_execz .LBB66_41
; %bb.40:
	ds_load_b32 v7, v30
	s_wait_dscnt 0x0
	v_mov_b32_dpp v9, v7 row_shr:1 row_mask:0xf bank_mask:0xf
	v_and_b32_e32 v8, 7, v31
	s_delay_alu instid0(VALU_DEP_1) | instskip(NEXT) | instid1(VALU_DEP_3)
	v_cmp_ne_u32_e32 vcc_lo, 0, v8
	v_cndmask_b32_e32 v9, 0, v9, vcc_lo
	v_cmp_lt_u32_e32 vcc_lo, 1, v8
	s_delay_alu instid0(VALU_DEP_2) | instskip(NEXT) | instid1(VALU_DEP_1)
	v_add_nc_u32_e32 v7, v9, v7
	v_mov_b32_dpp v9, v7 row_shr:2 row_mask:0xf bank_mask:0xf
	s_delay_alu instid0(VALU_DEP_1) | instskip(SKIP_1) | instid1(VALU_DEP_2)
	v_cndmask_b32_e32 v9, 0, v9, vcc_lo
	v_cmp_lt_u32_e32 vcc_lo, 3, v8
	v_add_nc_u32_e32 v7, v7, v9
	s_delay_alu instid0(VALU_DEP_1) | instskip(NEXT) | instid1(VALU_DEP_1)
	v_mov_b32_dpp v9, v7 row_shr:4 row_mask:0xf bank_mask:0xf
	v_cndmask_b32_e32 v8, 0, v9, vcc_lo
	s_delay_alu instid0(VALU_DEP_1)
	v_add_nc_u32_e32 v7, v7, v8
	ds_store_b32 v30, v7
.LBB66_41:
	s_or_b32 exec_lo, exec_lo, s1
	s_delay_alu instid0(SALU_CYCLE_1)
	s_mov_b32 s4, exec_lo
	v_cmp_gt_u32_e32 vcc_lo, 32, v0
	s_wait_dscnt 0x0
	s_barrier_signal -1
	s_barrier_wait -1
                                        ; implicit-def: $vgpr14
	v_cmpx_lt_u32_e32 31, v0
	s_cbranch_execz .LBB66_43
; %bb.42:
	v_lshl_add_u32 v7, v34, 2, -4
	ds_load_b32 v14, v7
	s_wait_dscnt 0x0
	v_add_nc_u32_e32 v6, v14, v6
.LBB66_43:
	s_or_b32 exec_lo, exec_lo, s4
	v_sub_co_u32 v7, s1, v31, 1
	s_delay_alu instid0(VALU_DEP_1) | instskip(NEXT) | instid1(VALU_DEP_1)
	v_cmp_gt_i32_e64 s4, 0, v7
	v_cndmask_b32_e64 v7, v7, v31, s4
	s_delay_alu instid0(VALU_DEP_1)
	v_lshlrev_b32_e32 v7, 2, v7
	ds_bpermute_b32 v15, v7, v6
	s_and_saveexec_b32 s4, vcc_lo
	s_cbranch_execz .LBB66_63
; %bb.44:
	v_dual_mov_b32 v13, 0 :: v_dual_add_nc_u32 v16, 32, v18
	ds_load_b32 v6, v13 offset:28
	s_and_saveexec_b32 s5, s1
	s_cbranch_execz .LBB66_46
; %bb.45:
	v_mov_b32_e32 v7, 1
	s_wait_dscnt 0x0
	global_store_b64 v16, v[6:7], s[24:25] scale_offset scope:SCOPE_DEV
.LBB66_46:
	s_wait_xcnt 0x0
	s_or_b32 exec_lo, exec_lo, s5
	v_xad_u32 v8, v31, -1, v18
	s_mov_b32 s22, 0
	s_mov_b32 s5, exec_lo
	s_delay_alu instid0(VALU_DEP_1) | instskip(SKIP_4) | instid1(VALU_DEP_1)
	v_add_nc_u32_e32 v12, 32, v8
	global_load_b64 v[10:11], v12, s[24:25] scale_offset scope:SCOPE_DEV
	s_wait_loadcnt 0x0
	v_and_b32_e32 v7, 0xff, v11
	s_wait_xcnt 0x0
	v_cmpx_eq_u16_e32 0, v7
	s_cbranch_execz .LBB66_50
; %bb.47:
	v_lshl_add_u64 v[12:13], v[12:13], 3, s[24:25]
.LBB66_48:                              ; =>This Inner Loop Header: Depth=1
	global_load_b64 v[10:11], v[12:13], off scope:SCOPE_DEV
	s_wait_loadcnt 0x0
	v_and_b32_e32 v7, 0xff, v11
	s_delay_alu instid0(VALU_DEP_1)
	v_cmp_ne_u16_e32 vcc_lo, 0, v7
	s_or_b32 s22, vcc_lo, s22
	s_wait_xcnt 0x0
	s_and_not1_b32 exec_lo, exec_lo, s22
	s_cbranch_execnz .LBB66_48
; %bb.49:
	s_or_b32 exec_lo, exec_lo, s22
.LBB66_50:
	s_delay_alu instid0(SALU_CYCLE_1)
	s_or_b32 exec_lo, exec_lo, s5
	v_cmp_ne_u32_e32 vcc_lo, 31, v31
	v_and_b32_e32 v9, 0xff, v11
	v_lshlrev_b32_e64 v17, v31, -1
	v_lshl_or_b32 v39, v31, 2, 64
	v_add_nc_u32_e32 v19, 2, v31
	v_add_co_ci_u32_e64 v7, null, 0, v31, vcc_lo
	v_cmp_eq_u16_e32 vcc_lo, 2, v9
	v_dual_add_nc_u32 v21, 4, v31 :: v_dual_add_nc_u32 v37, 8, v31
	v_add_nc_u32_e32 v40, 16, v31
	v_and_or_b32 v9, vcc_lo, v17, 0x80000000
	v_cmp_gt_u32_e32 vcc_lo, 30, v31
	s_delay_alu instid0(VALU_DEP_2) | instskip(SKIP_1) | instid1(VALU_DEP_2)
	v_ctz_i32_b32_e32 v9, v9
	v_cndmask_b32_e64 v13, 0, 2, vcc_lo
	v_cmp_lt_u32_e32 vcc_lo, v31, v9
	v_lshlrev_b32_e32 v7, 2, v7
	s_delay_alu instid0(VALU_DEP_3) | instskip(SKIP_4) | instid1(VALU_DEP_2)
	v_add_lshl_u32 v18, v13, v31, 2
	ds_bpermute_b32 v12, v7, v10
	s_wait_dscnt 0x0
	v_cndmask_b32_e32 v12, 0, v12, vcc_lo
	v_cmp_gt_u32_e32 vcc_lo, 28, v31
	v_add_nc_u32_e32 v10, v12, v10
	v_cndmask_b32_e64 v13, 0, 4, vcc_lo
	v_cmp_le_u32_e32 vcc_lo, v19, v9
	ds_bpermute_b32 v12, v18, v10
	v_add_lshl_u32 v20, v13, v31, 2
	s_wait_dscnt 0x0
	v_cndmask_b32_e32 v12, 0, v12, vcc_lo
	v_cmp_gt_u32_e32 vcc_lo, 24, v31
	v_cndmask_b32_e64 v13, 0, 8, vcc_lo
	v_cmp_le_u32_e32 vcc_lo, v21, v9
	s_delay_alu instid0(VALU_DEP_4) | instskip(NEXT) | instid1(VALU_DEP_3)
	v_add_nc_u32_e32 v10, v10, v12
	v_add_lshl_u32 v36, v13, v31, 2
	ds_bpermute_b32 v12, v20, v10
	s_wait_dscnt 0x0
	v_cndmask_b32_e32 v12, 0, v12, vcc_lo
	v_cmp_le_u32_e32 vcc_lo, v37, v9
	s_delay_alu instid0(VALU_DEP_2) | instskip(SKIP_4) | instid1(VALU_DEP_2)
	v_add_nc_u32_e32 v10, v10, v12
	ds_bpermute_b32 v12, v36, v10
	s_wait_dscnt 0x0
	v_cndmask_b32_e32 v12, 0, v12, vcc_lo
	v_cmp_le_u32_e32 vcc_lo, v40, v9
	v_add_nc_u32_e32 v10, v10, v12
	ds_bpermute_b32 v12, v39, v10
	s_wait_dscnt 0x0
	v_cndmask_b32_e32 v9, 0, v12, vcc_lo
	s_delay_alu instid0(VALU_DEP_1)
	v_dual_mov_b32 v9, 0 :: v_dual_add_nc_u32 v10, v10, v9
	s_branch .LBB66_54
.LBB66_51:                              ;   in Loop: Header=BB66_54 Depth=1
	s_or_b32 exec_lo, exec_lo, s22
.LBB66_52:                              ;   in Loop: Header=BB66_54 Depth=1
	s_delay_alu instid0(SALU_CYCLE_1)
	s_or_b32 exec_lo, exec_lo, s5
	v_and_b32_e32 v12, 0xff, v11
	ds_bpermute_b32 v13, v7, v10
	v_subrev_nc_u32_e32 v8, 32, v8
	s_mov_b32 s5, 0
	v_cmp_eq_u16_e32 vcc_lo, 2, v12
	v_and_or_b32 v12, vcc_lo, v17, 0x80000000
	s_delay_alu instid0(VALU_DEP_1) | instskip(NEXT) | instid1(VALU_DEP_1)
	v_ctz_i32_b32_e32 v12, v12
	v_cmp_lt_u32_e32 vcc_lo, v31, v12
	s_wait_dscnt 0x0
	v_cndmask_b32_e32 v13, 0, v13, vcc_lo
	v_cmp_le_u32_e32 vcc_lo, v19, v12
	s_delay_alu instid0(VALU_DEP_2) | instskip(SKIP_4) | instid1(VALU_DEP_2)
	v_add_nc_u32_e32 v10, v13, v10
	ds_bpermute_b32 v13, v18, v10
	s_wait_dscnt 0x0
	v_cndmask_b32_e32 v13, 0, v13, vcc_lo
	v_cmp_le_u32_e32 vcc_lo, v21, v12
	v_add_nc_u32_e32 v10, v10, v13
	ds_bpermute_b32 v13, v20, v10
	s_wait_dscnt 0x0
	v_cndmask_b32_e32 v13, 0, v13, vcc_lo
	v_cmp_le_u32_e32 vcc_lo, v37, v12
	s_delay_alu instid0(VALU_DEP_2) | instskip(SKIP_4) | instid1(VALU_DEP_2)
	v_add_nc_u32_e32 v10, v10, v13
	ds_bpermute_b32 v13, v36, v10
	s_wait_dscnt 0x0
	v_cndmask_b32_e32 v13, 0, v13, vcc_lo
	v_cmp_le_u32_e32 vcc_lo, v40, v12
	v_add_nc_u32_e32 v10, v10, v13
	ds_bpermute_b32 v13, v39, v10
	s_wait_dscnt 0x0
	v_cndmask_b32_e32 v12, 0, v13, vcc_lo
	s_delay_alu instid0(VALU_DEP_1)
	v_add3_u32 v10, v12, v38, v10
.LBB66_53:                              ;   in Loop: Header=BB66_54 Depth=1
	s_and_b32 vcc_lo, exec_lo, s5
	s_cbranch_vccnz .LBB66_59
.LBB66_54:                              ; =>This Loop Header: Depth=1
                                        ;     Child Loop BB66_57 Depth 2
	v_and_b32_e32 v11, 0xff, v11
	s_delay_alu instid0(VALU_DEP_2) | instskip(SKIP_1) | instid1(VALU_DEP_2)
	v_mov_b32_e32 v38, v10
	s_mov_b32 s5, -1
                                        ; implicit-def: $vgpr10
	v_cmp_ne_u16_e32 vcc_lo, 2, v11
                                        ; implicit-def: $vgpr11
	s_cmp_lg_u32 vcc_lo, exec_lo
	s_cbranch_scc1 .LBB66_53
; %bb.55:                               ;   in Loop: Header=BB66_54 Depth=1
	global_load_b64 v[10:11], v8, s[24:25] scale_offset scope:SCOPE_DEV
	s_mov_b32 s5, exec_lo
	s_wait_loadcnt 0x0
	v_and_b32_e32 v12, 0xff, v11
	s_wait_xcnt 0x0
	s_delay_alu instid0(VALU_DEP_1)
	v_cmpx_eq_u16_e32 0, v12
	s_cbranch_execz .LBB66_52
; %bb.56:                               ;   in Loop: Header=BB66_54 Depth=1
	v_lshl_add_u64 v[12:13], v[8:9], 3, s[24:25]
	s_mov_b32 s22, 0
.LBB66_57:                              ;   Parent Loop BB66_54 Depth=1
                                        ; =>  This Inner Loop Header: Depth=2
	global_load_b64 v[10:11], v[12:13], off scope:SCOPE_DEV
	s_wait_loadcnt 0x0
	v_and_b32_e32 v41, 0xff, v11
	s_delay_alu instid0(VALU_DEP_1)
	v_cmp_ne_u16_e32 vcc_lo, 0, v41
	s_or_b32 s22, vcc_lo, s22
	s_wait_xcnt 0x0
	s_and_not1_b32 exec_lo, exec_lo, s22
	s_cbranch_execnz .LBB66_57
	s_branch .LBB66_51
.LBB66_58:
                                        ; implicit-def: $vgpr6_vgpr7_vgpr8_vgpr9_vgpr10_vgpr11_vgpr12_vgpr13_vgpr14_vgpr15_vgpr16_vgpr17_vgpr18_vgpr19_vgpr20_vgpr21
	s_cbranch_execnz .LBB66_64
	s_branch .LBB66_77
.LBB66_59:
	s_and_saveexec_b32 s5, s1
	s_cbranch_execz .LBB66_61
; %bb.60:
	v_dual_mov_b32 v7, 2 :: v_dual_add_nc_u32 v6, v38, v6
	global_store_b64 v16, v[6:7], s[24:25] scale_offset scope:SCOPE_DEV
.LBB66_61:
	s_wait_xcnt 0x0
	s_or_b32 exec_lo, exec_lo, s5
	s_delay_alu instid0(SALU_CYCLE_1)
	s_and_b32 exec_lo, exec_lo, s3
; %bb.62:
	v_mov_b32_e32 v6, 0
	ds_store_b32 v6, v38 offset:28
.LBB66_63:
	s_or_b32 exec_lo, exec_lo, s4
	s_wait_dscnt 0x0
	v_dual_mov_b32 v6, 0 :: v_dual_cndmask_b32 v7, v15, v14, s1
	s_wait_storecnt 0x0
	s_barrier_signal -1
	s_barrier_wait -1
	ds_load_b32 v6, v6 offset:28
	v_cndmask_b32_e64 v7, v7, 0, s3
	s_wait_dscnt 0x0
	s_delay_alu instid0(VALU_DEP_1) | instskip(NEXT) | instid1(VALU_DEP_1)
	v_add3_u32 v6, v7, v2, v6
	v_add_nc_u32_e32 v7, v6, v3
	s_delay_alu instid0(VALU_DEP_1) | instskip(NEXT) | instid1(VALU_DEP_1)
	v_add_nc_u32_e32 v8, v7, v4
	v_add_nc_u32_e32 v9, v8, v5
	s_delay_alu instid0(VALU_DEP_1) | instskip(NEXT) | instid1(VALU_DEP_1)
	v_add_nc_u32_e32 v10, v9, v26
	v_add_nc_u32_e32 v11, v10, v27
	s_delay_alu instid0(VALU_DEP_1) | instskip(NEXT) | instid1(VALU_DEP_1)
	v_add_nc_u32_e32 v12, v11, v28
	v_add_nc_u32_e32 v13, v12, v29
	s_delay_alu instid0(VALU_DEP_1) | instskip(NEXT) | instid1(VALU_DEP_1)
	v_add_nc_u32_e32 v14, v13, v22
	v_add_nc_u32_e32 v15, v14, v23
	s_delay_alu instid0(VALU_DEP_1) | instskip(NEXT) | instid1(VALU_DEP_1)
	v_add_nc_u32_e32 v16, v15, v24
	v_add_nc_u32_e32 v17, v16, v25
	s_delay_alu instid0(VALU_DEP_1) | instskip(NEXT) | instid1(VALU_DEP_1)
	v_add_nc_u32_e32 v18, v17, v32
	v_add_nc_u32_e32 v19, v18, v33
	s_branch .LBB66_77
.LBB66_64:
	s_cmp_lg_u64 s[12:13], 0
	s_cselect_b32 s1, -1, 0
	s_delay_alu instid0(SALU_CYCLE_1) | instskip(NEXT) | instid1(SALU_CYCLE_1)
	s_and_b32 s3, s3, s1
	s_and_saveexec_b32 s1, s3
	s_cbranch_execz .LBB66_66
; %bb.65:
	v_mov_b32_e32 v6, 0
	global_load_b32 v6, v6, s[8:9]
	s_wait_loadcnt 0x0
	v_add_nc_u32_e32 v2, v6, v2
.LBB66_66:
	s_or_b32 exec_lo, exec_lo, s1
	s_delay_alu instid0(VALU_DEP_1) | instskip(SKIP_1) | instid1(VALU_DEP_1)
	v_add_nc_u32_e32 v16, v3, v2
	s_mov_b32 s1, exec_lo
	v_dual_add_nc_u32 v17, v16, v4 :: v_dual_bitop2_b32 v19, 15, v31 bitop3:0x40
	s_delay_alu instid0(VALU_DEP_1) | instskip(NEXT) | instid1(VALU_DEP_2)
	v_cmp_ne_u32_e32 vcc_lo, 0, v19
	v_add_nc_u32_e32 v18, v17, v5
	s_delay_alu instid0(VALU_DEP_1) | instskip(NEXT) | instid1(VALU_DEP_1)
	v_add_nc_u32_e32 v6, v18, v26
	v_add_nc_u32_e32 v7, v6, v27
	s_delay_alu instid0(VALU_DEP_1) | instskip(NEXT) | instid1(VALU_DEP_1)
	v_add_nc_u32_e32 v8, v7, v28
	;; [unrolled: 3-line block ×5, first 2 shown]
	v_add_nc_u32_e32 v15, v14, v33
	s_delay_alu instid0(VALU_DEP_1) | instskip(NEXT) | instid1(VALU_DEP_1)
	v_mov_b32_dpp v20, v15 row_shr:1 row_mask:0xf bank_mask:0xf
	v_cndmask_b32_e32 v20, 0, v20, vcc_lo
	v_cmp_lt_u32_e32 vcc_lo, 1, v19
	s_delay_alu instid0(VALU_DEP_2) | instskip(NEXT) | instid1(VALU_DEP_1)
	v_add_nc_u32_e32 v20, v15, v20
	v_mov_b32_dpp v21, v20 row_shr:2 row_mask:0xf bank_mask:0xf
	s_delay_alu instid0(VALU_DEP_1) | instskip(SKIP_1) | instid1(VALU_DEP_2)
	v_cndmask_b32_e32 v21, 0, v21, vcc_lo
	v_cmp_lt_u32_e32 vcc_lo, 3, v19
	v_add_nc_u32_e32 v20, v20, v21
	s_delay_alu instid0(VALU_DEP_1) | instskip(NEXT) | instid1(VALU_DEP_1)
	v_mov_b32_dpp v21, v20 row_shr:4 row_mask:0xf bank_mask:0xf
	v_cndmask_b32_e32 v21, 0, v21, vcc_lo
	v_cmp_lt_u32_e32 vcc_lo, 7, v19
	s_delay_alu instid0(VALU_DEP_2) | instskip(NEXT) | instid1(VALU_DEP_1)
	v_add_nc_u32_e32 v20, v20, v21
	v_mov_b32_dpp v21, v20 row_shr:8 row_mask:0xf bank_mask:0xf
	s_delay_alu instid0(VALU_DEP_1) | instskip(SKIP_1) | instid1(VALU_DEP_2)
	v_cndmask_b32_e32 v19, 0, v21, vcc_lo
	v_bfe_i32 v21, v31, 4, 1
	v_add_nc_u32_e32 v19, v20, v19
	ds_swizzle_b32 v20, v19 offset:swizzle(BROADCAST,32,15)
	s_wait_dscnt 0x0
	v_and_b32_e32 v20, v21, v20
	s_delay_alu instid0(VALU_DEP_1)
	v_add_nc_u32_e32 v19, v19, v20
	v_cmpx_eq_u32_e64 v0, v35
; %bb.67:
	v_lshlrev_b32_e32 v20, 2, v34
	ds_store_b32 v20, v19
; %bb.68:
	s_or_b32 exec_lo, exec_lo, s1
	s_delay_alu instid0(SALU_CYCLE_1)
	s_mov_b32 s1, exec_lo
	s_wait_dscnt 0x0
	s_barrier_signal -1
	s_barrier_wait -1
	v_cmpx_gt_u32_e32 8, v0
	s_cbranch_execz .LBB66_70
; %bb.69:
	v_mad_i32_i24 v20, 0xffffffcc, v0, v1
	ds_load_b32 v21, v20
	s_wait_dscnt 0x0
	v_mov_b32_dpp v36, v21 row_shr:1 row_mask:0xf bank_mask:0xf
	v_and_b32_e32 v35, 7, v31
	s_delay_alu instid0(VALU_DEP_1) | instskip(NEXT) | instid1(VALU_DEP_3)
	v_cmp_ne_u32_e32 vcc_lo, 0, v35
	v_cndmask_b32_e32 v36, 0, v36, vcc_lo
	v_cmp_lt_u32_e32 vcc_lo, 1, v35
	s_delay_alu instid0(VALU_DEP_2) | instskip(NEXT) | instid1(VALU_DEP_1)
	v_add_nc_u32_e32 v21, v36, v21
	v_mov_b32_dpp v36, v21 row_shr:2 row_mask:0xf bank_mask:0xf
	s_delay_alu instid0(VALU_DEP_1) | instskip(SKIP_1) | instid1(VALU_DEP_2)
	v_cndmask_b32_e32 v36, 0, v36, vcc_lo
	v_cmp_lt_u32_e32 vcc_lo, 3, v35
	v_add_nc_u32_e32 v21, v21, v36
	s_delay_alu instid0(VALU_DEP_1) | instskip(NEXT) | instid1(VALU_DEP_1)
	v_mov_b32_dpp v36, v21 row_shr:4 row_mask:0xf bank_mask:0xf
	v_cndmask_b32_e32 v35, 0, v36, vcc_lo
	s_delay_alu instid0(VALU_DEP_1)
	v_add_nc_u32_e32 v21, v21, v35
	ds_store_b32 v20, v21
.LBB66_70:
	s_or_b32 exec_lo, exec_lo, s1
	s_delay_alu instid0(SALU_CYCLE_1)
	s_mov_b32 s1, exec_lo
	s_wait_dscnt 0x0
	s_barrier_signal -1
	s_barrier_wait -1
                                        ; implicit-def: $vgpr20
	v_cmpx_lt_u32_e32 31, v0
	s_cbranch_execz .LBB66_72
; %bb.71:
	v_lshl_add_u32 v20, v34, 2, -4
	ds_load_b32 v20, v20
	s_wait_dscnt 0x0
	v_add_nc_u32_e32 v19, v20, v19
.LBB66_72:
	s_or_b32 exec_lo, exec_lo, s1
	v_add_nc_u32_e32 v21, -1, v31
	s_delay_alu instid0(VALU_DEP_1) | instskip(SKIP_1) | instid1(VALU_DEP_1)
	v_cmp_gt_i32_e32 vcc_lo, 0, v21
	v_cndmask_b32_e32 v21, v21, v31, vcc_lo
	v_lshlrev_b32_e32 v21, 2, v21
	ds_bpermute_b32 v19, v21, v19
	s_and_saveexec_b32 s1, s2
	s_cbranch_execz .LBB66_74
; %bb.73:
	v_cmp_eq_u32_e32 vcc_lo, 0, v31
	;;#ASMSTART
	;;#ASMEND
	s_wait_dscnt 0x0
	v_cndmask_b32_e32 v6, v19, v20, vcc_lo
	s_delay_alu instid0(VALU_DEP_1) | instskip(NEXT) | instid1(VALU_DEP_1)
	v_add_nc_u32_e32 v2, v6, v2
	v_add_nc_u32_e32 v16, v2, v3
	s_delay_alu instid0(VALU_DEP_1) | instskip(NEXT) | instid1(VALU_DEP_1)
	v_add_nc_u32_e32 v17, v16, v4
	v_add_nc_u32_e32 v18, v17, v5
	s_delay_alu instid0(VALU_DEP_1) | instskip(NEXT) | instid1(VALU_DEP_1)
	v_add_nc_u32_e32 v6, v18, v26
	v_add_nc_u32_e32 v7, v6, v27
	s_delay_alu instid0(VALU_DEP_1) | instskip(NEXT) | instid1(VALU_DEP_1)
	v_add_nc_u32_e32 v8, v7, v28
	v_add_nc_u32_e32 v9, v8, v29
	s_delay_alu instid0(VALU_DEP_1) | instskip(NEXT) | instid1(VALU_DEP_1)
	v_add_nc_u32_e32 v10, v9, v22
	v_add_nc_u32_e32 v11, v10, v23
	s_delay_alu instid0(VALU_DEP_1) | instskip(NEXT) | instid1(VALU_DEP_1)
	v_add_nc_u32_e32 v12, v11, v24
	v_add_nc_u32_e32 v13, v12, v25
	s_delay_alu instid0(VALU_DEP_1) | instskip(NEXT) | instid1(VALU_DEP_1)
	v_add_nc_u32_e32 v14, v13, v32
	v_add_nc_u32_e32 v15, v14, v33
.LBB66_74:
	s_or_b32 exec_lo, exec_lo, s1
	s_delay_alu instid0(SALU_CYCLE_1)
	s_mov_b32 s1, exec_lo
	v_cmpx_eq_u32_e32 0xff, v0
	s_cbranch_execz .LBB66_76
; %bb.75:
	v_dual_mov_b32 v3, 0 :: v_dual_mov_b32 v5, 2
	v_mov_b32_e32 v4, v15
	global_store_b64 v3, v[4:5], s[24:25] offset:256 scope:SCOPE_DEV
.LBB66_76:
	s_wait_xcnt 0x0
	s_or_b32 exec_lo, exec_lo, s1
	v_dual_mov_b32 v3, v16 :: v_dual_mov_b32 v4, v17
	v_mov_b32_e32 v5, v18
	s_wait_dscnt 0x0
	v_mov_b64_e32 v[20:21], v[16:17]
	v_mov_b64_e32 v[18:19], v[14:15]
	v_mov_b64_e32 v[16:17], v[12:13]
	v_mov_b64_e32 v[14:15], v[10:11]
	v_mov_b64_e32 v[12:13], v[8:9]
	v_mov_b64_e32 v[10:11], v[6:7]
	v_mov_b64_e32 v[8:9], v[4:5]
	v_mov_b64_e32 v[6:7], v[2:3]
.LBB66_77:
	s_add_nc_u64 s[2:3], s[20:21], s[18:19]
	s_and_b32 vcc_lo, exec_lo, s0
	s_add_nc_u64 s[2:3], s[2:3], s[16:17]
	s_mov_b32 s0, -1
	s_wait_storecnt 0x0
	s_barrier_signal -1
	s_barrier_wait -1
	s_cbranch_vccz .LBB66_79
; %bb.78:
	ds_store_2addr_b64 v1, v[6:7], v[8:9] offset1:1
	ds_store_2addr_b64 v1, v[10:11], v[12:13] offset0:2 offset1:3
	ds_store_2addr_b64 v1, v[14:15], v[16:17] offset0:4 offset1:5
	ds_store_b64 v1, v[18:19] offset:48
	s_wait_dscnt 0x0
	s_barrier_signal -1
	s_barrier_wait -1
	ds_load_2addr_stride64_b32 v[2:3], v30 offset1:4
	ds_load_2addr_stride64_b32 v[4:5], v30 offset0:8 offset1:12
	ds_load_2addr_stride64_b32 v[20:21], v30 offset0:16 offset1:20
	;; [unrolled: 1-line block ×6, first 2 shown]
	s_mov_b32 s0, 0
	s_wait_dscnt 0x6
	s_clause 0x1
	flat_store_b32 v0, v2, s[2:3] scale_offset
	flat_store_b32 v0, v3, s[2:3] offset:1024 scale_offset
	s_wait_dscnt 0x7
	s_clause 0x1
	flat_store_b32 v0, v4, s[2:3] offset:2048 scale_offset
	flat_store_b32 v0, v5, s[2:3] offset:3072 scale_offset
	s_wait_dscnt 0x8
	s_clause 0x1
	flat_store_b32 v0, v20, s[2:3] offset:4096 scale_offset
	;; [unrolled: 4-line block ×6, first 2 shown]
	flat_store_b32 v0, v29, s[2:3] offset:13312 scale_offset
.LBB66_79:
	s_and_not1_b32 vcc_lo, exec_lo, s0
	s_cbranch_vccnz .LBB66_159
; %bb.80:
	ds_store_2addr_b64 v1, v[6:7], v[8:9] offset1:1
	ds_store_2addr_b64 v1, v[10:11], v[12:13] offset0:2 offset1:3
	ds_store_2addr_b64 v1, v[14:15], v[16:17] offset0:4 offset1:5
	ds_store_b64 v1, v[18:19] offset:48
	s_wait_storecnt_dscnt 0x0
	s_barrier_signal -1
	s_barrier_wait -1
	s_wait_xcnt 0xa
	ds_load_2addr_stride64_b32 v[4:5], v30 offset1:4
	ds_load_2addr_stride64_b32 v[6:7], v30 offset0:8 offset1:12
	ds_load_2addr_stride64_b32 v[8:9], v30 offset0:16 offset1:20
	;; [unrolled: 1-line block ×6, first 2 shown]
	v_mov_b32_e32 v31, 0
	s_mov_b32 s0, exec_lo
	s_delay_alu instid0(VALU_DEP_1)
	v_add_nc_u64_e32 v[16:17], s[2:3], v[30:31]
	s_wait_xcnt 0x0
	v_cmpx_gt_u32_e64 s6, v0
	s_cbranch_execz .LBB66_82
; %bb.81:
	s_wait_dscnt 0x6
	flat_store_b32 v[16:17], v4
.LBB66_82:
	s_wait_xcnt 0x0
	s_or_b32 exec_lo, exec_lo, s0
	v_or_b32_e32 v1, 0x100, v0
	s_mov_b32 s0, exec_lo
	s_delay_alu instid0(VALU_DEP_1)
	v_cmpx_gt_u32_e64 s6, v1
	s_cbranch_execz .LBB66_84
; %bb.83:
	s_wait_dscnt 0x6
	flat_store_b32 v[16:17], v5 offset:1024
.LBB66_84:
	s_wait_xcnt 0x0
	s_or_b32 exec_lo, exec_lo, s0
	v_or_b32_e32 v1, 0x200, v0
	s_mov_b32 s0, exec_lo
	s_delay_alu instid0(VALU_DEP_1)
	v_cmpx_gt_u32_e64 s6, v1
	s_cbranch_execz .LBB66_86
; %bb.85:
	s_wait_dscnt 0x5
	flat_store_b32 v[16:17], v6 offset:2048
.LBB66_86:
	;; [unrolled: 11-line block ×13, first 2 shown]
	s_wait_xcnt 0x0
	s_or_b32 exec_lo, exec_lo, s0
	v_cmp_lt_u64_e64 s0, s[14:15], 2
	s_and_b32 vcc_lo, exec_lo, s0
	s_cbranch_vccnz .LBB66_159
; %bb.109:
	s_add_nc_u64 s[0:1], s[6:7], -1
	s_mov_b64 s[4:5], 0xffffffff
	s_lshr_b64 s[2:3], s[0:1], 1
	s_lshr_b32 s6, s1, 1
	s_and_b64 s[2:3], s[2:3], s[4:5]
	s_mov_b32 s7, 0
	s_mul_u64 s[4:5], s[2:3], 0x24924925
	s_mul_u64 s[8:9], s[6:7], 0x24924925
	s_mov_b32 s4, s5
	s_mov_b32 s5, s7
	s_mul_u64 s[2:3], s[2:3], 0x49249249
	s_add_nc_u64 s[4:5], s[8:9], s[4:5]
	s_mov_b32 s9, s7
	s_mov_b32 s8, s5
	;; [unrolled: 1-line block ×3, first 2 shown]
	v_mov_b32_e32 v1, v31
	s_add_nc_u64 s[2:3], s[2:3], s[4:5]
	s_mul_u64 s[4:5], s[6:7], 0x49249249
	s_mov_b32 s2, s3
	s_mov_b32 s3, s7
	s_delay_alu instid0(SALU_CYCLE_1) | instskip(NEXT) | instid1(SALU_CYCLE_1)
	s_add_nc_u64 s[2:3], s[8:9], s[2:3]
	s_add_nc_u64 s[2:3], s[4:5], s[2:3]
	s_delay_alu instid0(SALU_CYCLE_1) | instskip(NEXT) | instid1(SALU_CYCLE_1)
	s_lshr_b64 s[2:3], s[2:3], 1
	v_cmp_eq_u64_e32 vcc_lo, s[2:3], v[0:1]
	s_and_saveexec_b32 s2, vcc_lo
	s_cbranch_execz .LBB66_159
; %bb.110:
	v_mul_hi_u32_u24_e32 v1, 14, v0
	v_mul_u32_u24_e32 v0, 14, v0
	s_delay_alu instid0(VALU_DEP_1) | instskip(SKIP_1) | instid1(VALU_DEP_1)
	v_sub_nc_u64_e32 v[0:1], s[0:1], v[0:1]
	s_mov_b32 s0, exec_lo
	v_cmpx_lt_i64_e32 6, v[0:1]
	s_xor_b32 s0, exec_lo, s0
	s_cbranch_execz .LBB66_136
; %bb.111:
	s_mov_b32 s1, exec_lo
	v_cmpx_lt_i64_e32 9, v[0:1]
	s_xor_b32 s1, exec_lo, s1
	s_cbranch_execz .LBB66_125
; %bb.112:
	;; [unrolled: 5-line block ×4, first 2 shown]
	v_mov_b32_e32 v0, 0
	s_wait_dscnt 0x0
	global_store_b32 v0, v15, s[10:11]
                                        ; implicit-def: $vgpr14_vgpr15
.LBB66_115:
	s_wait_xcnt 0x0
	s_and_not1_saveexec_b32 s3, s3
	s_cbranch_execz .LBB66_117
; %bb.116:
	v_mov_b32_e32 v0, 0
	s_wait_dscnt 0x0
	global_store_b32 v0, v14, s[10:11]
.LBB66_117:
	s_wait_xcnt 0x0
	s_or_b32 exec_lo, exec_lo, s3
                                        ; implicit-def: $vgpr10_vgpr11
                                        ; implicit-def: $vgpr0_vgpr1
.LBB66_118:
	s_and_not1_saveexec_b32 s2, s2
	s_cbranch_execz .LBB66_124
; %bb.119:
	s_mov_b32 s3, exec_lo
	v_cmpx_lt_i64_e32 10, v[0:1]
	s_xor_b32 s3, exec_lo, s3
	s_cbranch_execz .LBB66_121
; %bb.120:
	v_mov_b32_e32 v0, 0
	s_wait_dscnt 0x1
	global_store_b32 v0, v11, s[10:11]
                                        ; implicit-def: $vgpr10_vgpr11
.LBB66_121:
	s_wait_xcnt 0x0
	s_and_not1_saveexec_b32 s3, s3
	s_cbranch_execz .LBB66_123
; %bb.122:
	v_mov_b32_e32 v0, 0
	s_wait_dscnt 0x1
	global_store_b32 v0, v10, s[10:11]
.LBB66_123:
	s_wait_xcnt 0x0
	s_or_b32 exec_lo, exec_lo, s3
.LBB66_124:
	s_delay_alu instid0(SALU_CYCLE_1)
	s_or_b32 exec_lo, exec_lo, s2
                                        ; implicit-def: $vgpr2_vgpr3
                                        ; implicit-def: $vgpr0_vgpr1
                                        ; implicit-def: $vgpr12_vgpr13
.LBB66_125:
	s_and_not1_saveexec_b32 s1, s1
	s_cbranch_execz .LBB66_135
; %bb.126:
	s_mov_b32 s2, exec_lo
	v_cmpx_lt_i64_e32 7, v[0:1]
	s_xor_b32 s2, exec_lo, s2
	s_cbranch_execz .LBB66_132
; %bb.127:
	s_mov_b32 s3, exec_lo
	v_cmpx_lt_i64_e32 8, v[0:1]
	s_xor_b32 s3, exec_lo, s3
	s_cbranch_execz .LBB66_129
; %bb.128:
	v_mov_b32_e32 v0, 0
	s_wait_dscnt 0x2
	global_store_b32 v0, v13, s[10:11]
                                        ; implicit-def: $vgpr12_vgpr13
.LBB66_129:
	s_wait_xcnt 0x0
	s_and_not1_saveexec_b32 s3, s3
	s_cbranch_execz .LBB66_131
; %bb.130:
	v_mov_b32_e32 v0, 0
	s_wait_dscnt 0x2
	global_store_b32 v0, v12, s[10:11]
.LBB66_131:
	s_wait_xcnt 0x0
	s_or_b32 exec_lo, exec_lo, s3
                                        ; implicit-def: $vgpr2_vgpr3
.LBB66_132:
	s_and_not1_saveexec_b32 s2, s2
	s_cbranch_execz .LBB66_134
; %bb.133:
	v_mov_b32_e32 v0, 0
	s_wait_dscnt 0x3
	global_store_b32 v0, v3, s[10:11]
.LBB66_134:
	s_wait_xcnt 0x0
	s_or_b32 exec_lo, exec_lo, s2
.LBB66_135:
	s_delay_alu instid0(SALU_CYCLE_1)
	s_or_b32 exec_lo, exec_lo, s1
                                        ; implicit-def: $vgpr0_vgpr1
                                        ; implicit-def: $vgpr8_vgpr9
                                        ; implicit-def: $vgpr4_vgpr5
                                        ; implicit-def: $vgpr6_vgpr7
                                        ; implicit-def: $vgpr2_vgpr3
.LBB66_136:
	s_and_not1_saveexec_b32 s0, s0
	s_cbranch_execz .LBB66_159
; %bb.137:
	s_mov_b32 s0, exec_lo
	v_cmpx_lt_i64_e32 3, v[0:1]
	s_xor_b32 s0, exec_lo, s0
	s_cbranch_execz .LBB66_147
; %bb.138:
	s_mov_b32 s1, exec_lo
	v_cmpx_lt_i64_e32 4, v[0:1]
	s_xor_b32 s1, exec_lo, s1
	;; [unrolled: 5-line block ×3, first 2 shown]
	s_cbranch_execz .LBB66_141
; %bb.140:
	v_mov_b32_e32 v0, 0
                                        ; implicit-def: $vgpr8_vgpr9
	s_wait_dscnt 0x3
	global_store_b32 v0, v2, s[10:11]
.LBB66_141:
	s_wait_xcnt 0x0
	s_and_not1_saveexec_b32 s2, s2
	s_cbranch_execz .LBB66_143
; %bb.142:
	v_mov_b32_e32 v0, 0
	s_wait_dscnt 0x4
	global_store_b32 v0, v9, s[10:11]
.LBB66_143:
	s_wait_xcnt 0x0
	s_or_b32 exec_lo, exec_lo, s2
                                        ; implicit-def: $vgpr8_vgpr9
.LBB66_144:
	s_and_not1_saveexec_b32 s1, s1
	s_cbranch_execz .LBB66_146
; %bb.145:
	v_mov_b32_e32 v0, 0
	s_wait_dscnt 0x4
	global_store_b32 v0, v8, s[10:11]
.LBB66_146:
	s_wait_xcnt 0x0
	s_or_b32 exec_lo, exec_lo, s1
                                        ; implicit-def: $vgpr0_vgpr1
                                        ; implicit-def: $vgpr4_vgpr5
                                        ; implicit-def: $vgpr6_vgpr7
.LBB66_147:
	s_and_not1_saveexec_b32 s0, s0
	s_cbranch_execz .LBB66_159
; %bb.148:
	s_mov_b32 s0, exec_lo
	v_cmpx_lt_i64_e32 1, v[0:1]
	s_xor_b32 s0, exec_lo, s0
	s_cbranch_execz .LBB66_154
; %bb.149:
	s_mov_b32 s1, exec_lo
	v_cmpx_lt_i64_e32 2, v[0:1]
	s_xor_b32 s1, exec_lo, s1
	s_cbranch_execz .LBB66_151
; %bb.150:
	v_mov_b32_e32 v0, 0
	s_wait_dscnt 0x5
	global_store_b32 v0, v7, s[10:11]
                                        ; implicit-def: $vgpr6_vgpr7
.LBB66_151:
	s_wait_xcnt 0x0
	s_and_not1_saveexec_b32 s1, s1
	s_cbranch_execz .LBB66_153
; %bb.152:
	v_mov_b32_e32 v0, 0
	s_wait_dscnt 0x5
	global_store_b32 v0, v6, s[10:11]
.LBB66_153:
	s_wait_xcnt 0x0
	s_or_b32 exec_lo, exec_lo, s1
                                        ; implicit-def: $vgpr4_vgpr5
                                        ; implicit-def: $vgpr0_vgpr1
.LBB66_154:
	s_and_not1_saveexec_b32 s0, s0
	s_cbranch_execz .LBB66_159
; %bb.155:
	s_mov_b32 s0, exec_lo
	v_cmpx_ne_u64_e32 1, v[0:1]
	s_xor_b32 s0, exec_lo, s0
	s_cbranch_execz .LBB66_157
; %bb.156:
	v_mov_b32_e32 v0, 0
	s_wait_dscnt 0x6
	global_store_b32 v0, v4, s[10:11]
                                        ; implicit-def: $vgpr4_vgpr5
.LBB66_157:
	s_wait_xcnt 0x0
	s_and_not1_saveexec_b32 s0, s0
	s_cbranch_execz .LBB66_159
; %bb.158:
	v_mov_b32_e32 v0, 0
	s_wait_dscnt 0x6
	global_store_b32 v0, v5, s[10:11]
.LBB66_159:
	s_endpgm
	.section	.rodata,"a",@progbits
	.p2align	6, 0x0
	.amdhsa_kernel _ZN7rocprim17ROCPRIM_400000_NS6detail17trampoline_kernelINS0_14default_configENS1_20scan_config_selectorIiEEZZNS1_9scan_implILNS1_25lookback_scan_determinismE0ELb0ELb0ES3_N6thrust23THRUST_200600_302600_NS6detail15normal_iteratorINS9_10device_ptrIiEEEESE_iNS9_4plusIvEEiEEDaPvRmT3_T4_T5_mT6_P12ihipStream_tbENKUlT_T0_E_clISt17integral_constantIbLb0EEST_IbLb1EEEEDaSP_SQ_EUlSP_E_NS1_11comp_targetILNS1_3genE0ELNS1_11target_archE4294967295ELNS1_3gpuE0ELNS1_3repE0EEENS1_30default_config_static_selectorELNS0_4arch9wavefront6targetE0EEEvT1_
		.amdhsa_group_segment_fixed_size 14336
		.amdhsa_private_segment_fixed_size 0
		.amdhsa_kernarg_size 96
		.amdhsa_user_sgpr_count 2
		.amdhsa_user_sgpr_dispatch_ptr 0
		.amdhsa_user_sgpr_queue_ptr 0
		.amdhsa_user_sgpr_kernarg_segment_ptr 1
		.amdhsa_user_sgpr_dispatch_id 0
		.amdhsa_user_sgpr_kernarg_preload_length 0
		.amdhsa_user_sgpr_kernarg_preload_offset 0
		.amdhsa_user_sgpr_private_segment_size 0
		.amdhsa_wavefront_size32 1
		.amdhsa_uses_dynamic_stack 0
		.amdhsa_enable_private_segment 0
		.amdhsa_system_sgpr_workgroup_id_x 1
		.amdhsa_system_sgpr_workgroup_id_y 0
		.amdhsa_system_sgpr_workgroup_id_z 0
		.amdhsa_system_sgpr_workgroup_info 0
		.amdhsa_system_vgpr_workitem_id 0
		.amdhsa_next_free_vgpr 42
		.amdhsa_next_free_sgpr 27
		.amdhsa_named_barrier_count 0
		.amdhsa_reserve_vcc 1
		.amdhsa_float_round_mode_32 0
		.amdhsa_float_round_mode_16_64 0
		.amdhsa_float_denorm_mode_32 3
		.amdhsa_float_denorm_mode_16_64 3
		.amdhsa_fp16_overflow 0
		.amdhsa_memory_ordered 1
		.amdhsa_forward_progress 1
		.amdhsa_inst_pref_size 46
		.amdhsa_round_robin_scheduling 0
		.amdhsa_exception_fp_ieee_invalid_op 0
		.amdhsa_exception_fp_denorm_src 0
		.amdhsa_exception_fp_ieee_div_zero 0
		.amdhsa_exception_fp_ieee_overflow 0
		.amdhsa_exception_fp_ieee_underflow 0
		.amdhsa_exception_fp_ieee_inexact 0
		.amdhsa_exception_int_div_zero 0
	.end_amdhsa_kernel
	.section	.text._ZN7rocprim17ROCPRIM_400000_NS6detail17trampoline_kernelINS0_14default_configENS1_20scan_config_selectorIiEEZZNS1_9scan_implILNS1_25lookback_scan_determinismE0ELb0ELb0ES3_N6thrust23THRUST_200600_302600_NS6detail15normal_iteratorINS9_10device_ptrIiEEEESE_iNS9_4plusIvEEiEEDaPvRmT3_T4_T5_mT6_P12ihipStream_tbENKUlT_T0_E_clISt17integral_constantIbLb0EEST_IbLb1EEEEDaSP_SQ_EUlSP_E_NS1_11comp_targetILNS1_3genE0ELNS1_11target_archE4294967295ELNS1_3gpuE0ELNS1_3repE0EEENS1_30default_config_static_selectorELNS0_4arch9wavefront6targetE0EEEvT1_,"axG",@progbits,_ZN7rocprim17ROCPRIM_400000_NS6detail17trampoline_kernelINS0_14default_configENS1_20scan_config_selectorIiEEZZNS1_9scan_implILNS1_25lookback_scan_determinismE0ELb0ELb0ES3_N6thrust23THRUST_200600_302600_NS6detail15normal_iteratorINS9_10device_ptrIiEEEESE_iNS9_4plusIvEEiEEDaPvRmT3_T4_T5_mT6_P12ihipStream_tbENKUlT_T0_E_clISt17integral_constantIbLb0EEST_IbLb1EEEEDaSP_SQ_EUlSP_E_NS1_11comp_targetILNS1_3genE0ELNS1_11target_archE4294967295ELNS1_3gpuE0ELNS1_3repE0EEENS1_30default_config_static_selectorELNS0_4arch9wavefront6targetE0EEEvT1_,comdat
.Lfunc_end66:
	.size	_ZN7rocprim17ROCPRIM_400000_NS6detail17trampoline_kernelINS0_14default_configENS1_20scan_config_selectorIiEEZZNS1_9scan_implILNS1_25lookback_scan_determinismE0ELb0ELb0ES3_N6thrust23THRUST_200600_302600_NS6detail15normal_iteratorINS9_10device_ptrIiEEEESE_iNS9_4plusIvEEiEEDaPvRmT3_T4_T5_mT6_P12ihipStream_tbENKUlT_T0_E_clISt17integral_constantIbLb0EEST_IbLb1EEEEDaSP_SQ_EUlSP_E_NS1_11comp_targetILNS1_3genE0ELNS1_11target_archE4294967295ELNS1_3gpuE0ELNS1_3repE0EEENS1_30default_config_static_selectorELNS0_4arch9wavefront6targetE0EEEvT1_, .Lfunc_end66-_ZN7rocprim17ROCPRIM_400000_NS6detail17trampoline_kernelINS0_14default_configENS1_20scan_config_selectorIiEEZZNS1_9scan_implILNS1_25lookback_scan_determinismE0ELb0ELb0ES3_N6thrust23THRUST_200600_302600_NS6detail15normal_iteratorINS9_10device_ptrIiEEEESE_iNS9_4plusIvEEiEEDaPvRmT3_T4_T5_mT6_P12ihipStream_tbENKUlT_T0_E_clISt17integral_constantIbLb0EEST_IbLb1EEEEDaSP_SQ_EUlSP_E_NS1_11comp_targetILNS1_3genE0ELNS1_11target_archE4294967295ELNS1_3gpuE0ELNS1_3repE0EEENS1_30default_config_static_selectorELNS0_4arch9wavefront6targetE0EEEvT1_
                                        ; -- End function
	.set _ZN7rocprim17ROCPRIM_400000_NS6detail17trampoline_kernelINS0_14default_configENS1_20scan_config_selectorIiEEZZNS1_9scan_implILNS1_25lookback_scan_determinismE0ELb0ELb0ES3_N6thrust23THRUST_200600_302600_NS6detail15normal_iteratorINS9_10device_ptrIiEEEESE_iNS9_4plusIvEEiEEDaPvRmT3_T4_T5_mT6_P12ihipStream_tbENKUlT_T0_E_clISt17integral_constantIbLb0EEST_IbLb1EEEEDaSP_SQ_EUlSP_E_NS1_11comp_targetILNS1_3genE0ELNS1_11target_archE4294967295ELNS1_3gpuE0ELNS1_3repE0EEENS1_30default_config_static_selectorELNS0_4arch9wavefront6targetE0EEEvT1_.num_vgpr, 42
	.set _ZN7rocprim17ROCPRIM_400000_NS6detail17trampoline_kernelINS0_14default_configENS1_20scan_config_selectorIiEEZZNS1_9scan_implILNS1_25lookback_scan_determinismE0ELb0ELb0ES3_N6thrust23THRUST_200600_302600_NS6detail15normal_iteratorINS9_10device_ptrIiEEEESE_iNS9_4plusIvEEiEEDaPvRmT3_T4_T5_mT6_P12ihipStream_tbENKUlT_T0_E_clISt17integral_constantIbLb0EEST_IbLb1EEEEDaSP_SQ_EUlSP_E_NS1_11comp_targetILNS1_3genE0ELNS1_11target_archE4294967295ELNS1_3gpuE0ELNS1_3repE0EEENS1_30default_config_static_selectorELNS0_4arch9wavefront6targetE0EEEvT1_.num_agpr, 0
	.set _ZN7rocprim17ROCPRIM_400000_NS6detail17trampoline_kernelINS0_14default_configENS1_20scan_config_selectorIiEEZZNS1_9scan_implILNS1_25lookback_scan_determinismE0ELb0ELb0ES3_N6thrust23THRUST_200600_302600_NS6detail15normal_iteratorINS9_10device_ptrIiEEEESE_iNS9_4plusIvEEiEEDaPvRmT3_T4_T5_mT6_P12ihipStream_tbENKUlT_T0_E_clISt17integral_constantIbLb0EEST_IbLb1EEEEDaSP_SQ_EUlSP_E_NS1_11comp_targetILNS1_3genE0ELNS1_11target_archE4294967295ELNS1_3gpuE0ELNS1_3repE0EEENS1_30default_config_static_selectorELNS0_4arch9wavefront6targetE0EEEvT1_.numbered_sgpr, 27
	.set _ZN7rocprim17ROCPRIM_400000_NS6detail17trampoline_kernelINS0_14default_configENS1_20scan_config_selectorIiEEZZNS1_9scan_implILNS1_25lookback_scan_determinismE0ELb0ELb0ES3_N6thrust23THRUST_200600_302600_NS6detail15normal_iteratorINS9_10device_ptrIiEEEESE_iNS9_4plusIvEEiEEDaPvRmT3_T4_T5_mT6_P12ihipStream_tbENKUlT_T0_E_clISt17integral_constantIbLb0EEST_IbLb1EEEEDaSP_SQ_EUlSP_E_NS1_11comp_targetILNS1_3genE0ELNS1_11target_archE4294967295ELNS1_3gpuE0ELNS1_3repE0EEENS1_30default_config_static_selectorELNS0_4arch9wavefront6targetE0EEEvT1_.num_named_barrier, 0
	.set _ZN7rocprim17ROCPRIM_400000_NS6detail17trampoline_kernelINS0_14default_configENS1_20scan_config_selectorIiEEZZNS1_9scan_implILNS1_25lookback_scan_determinismE0ELb0ELb0ES3_N6thrust23THRUST_200600_302600_NS6detail15normal_iteratorINS9_10device_ptrIiEEEESE_iNS9_4plusIvEEiEEDaPvRmT3_T4_T5_mT6_P12ihipStream_tbENKUlT_T0_E_clISt17integral_constantIbLb0EEST_IbLb1EEEEDaSP_SQ_EUlSP_E_NS1_11comp_targetILNS1_3genE0ELNS1_11target_archE4294967295ELNS1_3gpuE0ELNS1_3repE0EEENS1_30default_config_static_selectorELNS0_4arch9wavefront6targetE0EEEvT1_.private_seg_size, 0
	.set _ZN7rocprim17ROCPRIM_400000_NS6detail17trampoline_kernelINS0_14default_configENS1_20scan_config_selectorIiEEZZNS1_9scan_implILNS1_25lookback_scan_determinismE0ELb0ELb0ES3_N6thrust23THRUST_200600_302600_NS6detail15normal_iteratorINS9_10device_ptrIiEEEESE_iNS9_4plusIvEEiEEDaPvRmT3_T4_T5_mT6_P12ihipStream_tbENKUlT_T0_E_clISt17integral_constantIbLb0EEST_IbLb1EEEEDaSP_SQ_EUlSP_E_NS1_11comp_targetILNS1_3genE0ELNS1_11target_archE4294967295ELNS1_3gpuE0ELNS1_3repE0EEENS1_30default_config_static_selectorELNS0_4arch9wavefront6targetE0EEEvT1_.uses_vcc, 1
	.set _ZN7rocprim17ROCPRIM_400000_NS6detail17trampoline_kernelINS0_14default_configENS1_20scan_config_selectorIiEEZZNS1_9scan_implILNS1_25lookback_scan_determinismE0ELb0ELb0ES3_N6thrust23THRUST_200600_302600_NS6detail15normal_iteratorINS9_10device_ptrIiEEEESE_iNS9_4plusIvEEiEEDaPvRmT3_T4_T5_mT6_P12ihipStream_tbENKUlT_T0_E_clISt17integral_constantIbLb0EEST_IbLb1EEEEDaSP_SQ_EUlSP_E_NS1_11comp_targetILNS1_3genE0ELNS1_11target_archE4294967295ELNS1_3gpuE0ELNS1_3repE0EEENS1_30default_config_static_selectorELNS0_4arch9wavefront6targetE0EEEvT1_.uses_flat_scratch, 1
	.set _ZN7rocprim17ROCPRIM_400000_NS6detail17trampoline_kernelINS0_14default_configENS1_20scan_config_selectorIiEEZZNS1_9scan_implILNS1_25lookback_scan_determinismE0ELb0ELb0ES3_N6thrust23THRUST_200600_302600_NS6detail15normal_iteratorINS9_10device_ptrIiEEEESE_iNS9_4plusIvEEiEEDaPvRmT3_T4_T5_mT6_P12ihipStream_tbENKUlT_T0_E_clISt17integral_constantIbLb0EEST_IbLb1EEEEDaSP_SQ_EUlSP_E_NS1_11comp_targetILNS1_3genE0ELNS1_11target_archE4294967295ELNS1_3gpuE0ELNS1_3repE0EEENS1_30default_config_static_selectorELNS0_4arch9wavefront6targetE0EEEvT1_.has_dyn_sized_stack, 0
	.set _ZN7rocprim17ROCPRIM_400000_NS6detail17trampoline_kernelINS0_14default_configENS1_20scan_config_selectorIiEEZZNS1_9scan_implILNS1_25lookback_scan_determinismE0ELb0ELb0ES3_N6thrust23THRUST_200600_302600_NS6detail15normal_iteratorINS9_10device_ptrIiEEEESE_iNS9_4plusIvEEiEEDaPvRmT3_T4_T5_mT6_P12ihipStream_tbENKUlT_T0_E_clISt17integral_constantIbLb0EEST_IbLb1EEEEDaSP_SQ_EUlSP_E_NS1_11comp_targetILNS1_3genE0ELNS1_11target_archE4294967295ELNS1_3gpuE0ELNS1_3repE0EEENS1_30default_config_static_selectorELNS0_4arch9wavefront6targetE0EEEvT1_.has_recursion, 0
	.set _ZN7rocprim17ROCPRIM_400000_NS6detail17trampoline_kernelINS0_14default_configENS1_20scan_config_selectorIiEEZZNS1_9scan_implILNS1_25lookback_scan_determinismE0ELb0ELb0ES3_N6thrust23THRUST_200600_302600_NS6detail15normal_iteratorINS9_10device_ptrIiEEEESE_iNS9_4plusIvEEiEEDaPvRmT3_T4_T5_mT6_P12ihipStream_tbENKUlT_T0_E_clISt17integral_constantIbLb0EEST_IbLb1EEEEDaSP_SQ_EUlSP_E_NS1_11comp_targetILNS1_3genE0ELNS1_11target_archE4294967295ELNS1_3gpuE0ELNS1_3repE0EEENS1_30default_config_static_selectorELNS0_4arch9wavefront6targetE0EEEvT1_.has_indirect_call, 0
	.section	.AMDGPU.csdata,"",@progbits
; Kernel info:
; codeLenInByte = 5876
; TotalNumSgprs: 29
; NumVgprs: 42
; ScratchSize: 0
; MemoryBound: 0
; FloatMode: 240
; IeeeMode: 1
; LDSByteSize: 14336 bytes/workgroup (compile time only)
; SGPRBlocks: 0
; VGPRBlocks: 2
; NumSGPRsForWavesPerEU: 29
; NumVGPRsForWavesPerEU: 42
; NamedBarCnt: 0
; Occupancy: 16
; WaveLimiterHint : 1
; COMPUTE_PGM_RSRC2:SCRATCH_EN: 0
; COMPUTE_PGM_RSRC2:USER_SGPR: 2
; COMPUTE_PGM_RSRC2:TRAP_HANDLER: 0
; COMPUTE_PGM_RSRC2:TGID_X_EN: 1
; COMPUTE_PGM_RSRC2:TGID_Y_EN: 0
; COMPUTE_PGM_RSRC2:TGID_Z_EN: 0
; COMPUTE_PGM_RSRC2:TIDIG_COMP_CNT: 0
	.section	.text._ZN7rocprim17ROCPRIM_400000_NS6detail17trampoline_kernelINS0_14default_configENS1_20scan_config_selectorIiEEZZNS1_9scan_implILNS1_25lookback_scan_determinismE0ELb0ELb0ES3_N6thrust23THRUST_200600_302600_NS6detail15normal_iteratorINS9_10device_ptrIiEEEESE_iNS9_4plusIvEEiEEDaPvRmT3_T4_T5_mT6_P12ihipStream_tbENKUlT_T0_E_clISt17integral_constantIbLb0EEST_IbLb1EEEEDaSP_SQ_EUlSP_E_NS1_11comp_targetILNS1_3genE5ELNS1_11target_archE942ELNS1_3gpuE9ELNS1_3repE0EEENS1_30default_config_static_selectorELNS0_4arch9wavefront6targetE0EEEvT1_,"axG",@progbits,_ZN7rocprim17ROCPRIM_400000_NS6detail17trampoline_kernelINS0_14default_configENS1_20scan_config_selectorIiEEZZNS1_9scan_implILNS1_25lookback_scan_determinismE0ELb0ELb0ES3_N6thrust23THRUST_200600_302600_NS6detail15normal_iteratorINS9_10device_ptrIiEEEESE_iNS9_4plusIvEEiEEDaPvRmT3_T4_T5_mT6_P12ihipStream_tbENKUlT_T0_E_clISt17integral_constantIbLb0EEST_IbLb1EEEEDaSP_SQ_EUlSP_E_NS1_11comp_targetILNS1_3genE5ELNS1_11target_archE942ELNS1_3gpuE9ELNS1_3repE0EEENS1_30default_config_static_selectorELNS0_4arch9wavefront6targetE0EEEvT1_,comdat
	.protected	_ZN7rocprim17ROCPRIM_400000_NS6detail17trampoline_kernelINS0_14default_configENS1_20scan_config_selectorIiEEZZNS1_9scan_implILNS1_25lookback_scan_determinismE0ELb0ELb0ES3_N6thrust23THRUST_200600_302600_NS6detail15normal_iteratorINS9_10device_ptrIiEEEESE_iNS9_4plusIvEEiEEDaPvRmT3_T4_T5_mT6_P12ihipStream_tbENKUlT_T0_E_clISt17integral_constantIbLb0EEST_IbLb1EEEEDaSP_SQ_EUlSP_E_NS1_11comp_targetILNS1_3genE5ELNS1_11target_archE942ELNS1_3gpuE9ELNS1_3repE0EEENS1_30default_config_static_selectorELNS0_4arch9wavefront6targetE0EEEvT1_ ; -- Begin function _ZN7rocprim17ROCPRIM_400000_NS6detail17trampoline_kernelINS0_14default_configENS1_20scan_config_selectorIiEEZZNS1_9scan_implILNS1_25lookback_scan_determinismE0ELb0ELb0ES3_N6thrust23THRUST_200600_302600_NS6detail15normal_iteratorINS9_10device_ptrIiEEEESE_iNS9_4plusIvEEiEEDaPvRmT3_T4_T5_mT6_P12ihipStream_tbENKUlT_T0_E_clISt17integral_constantIbLb0EEST_IbLb1EEEEDaSP_SQ_EUlSP_E_NS1_11comp_targetILNS1_3genE5ELNS1_11target_archE942ELNS1_3gpuE9ELNS1_3repE0EEENS1_30default_config_static_selectorELNS0_4arch9wavefront6targetE0EEEvT1_
	.globl	_ZN7rocprim17ROCPRIM_400000_NS6detail17trampoline_kernelINS0_14default_configENS1_20scan_config_selectorIiEEZZNS1_9scan_implILNS1_25lookback_scan_determinismE0ELb0ELb0ES3_N6thrust23THRUST_200600_302600_NS6detail15normal_iteratorINS9_10device_ptrIiEEEESE_iNS9_4plusIvEEiEEDaPvRmT3_T4_T5_mT6_P12ihipStream_tbENKUlT_T0_E_clISt17integral_constantIbLb0EEST_IbLb1EEEEDaSP_SQ_EUlSP_E_NS1_11comp_targetILNS1_3genE5ELNS1_11target_archE942ELNS1_3gpuE9ELNS1_3repE0EEENS1_30default_config_static_selectorELNS0_4arch9wavefront6targetE0EEEvT1_
	.p2align	8
	.type	_ZN7rocprim17ROCPRIM_400000_NS6detail17trampoline_kernelINS0_14default_configENS1_20scan_config_selectorIiEEZZNS1_9scan_implILNS1_25lookback_scan_determinismE0ELb0ELb0ES3_N6thrust23THRUST_200600_302600_NS6detail15normal_iteratorINS9_10device_ptrIiEEEESE_iNS9_4plusIvEEiEEDaPvRmT3_T4_T5_mT6_P12ihipStream_tbENKUlT_T0_E_clISt17integral_constantIbLb0EEST_IbLb1EEEEDaSP_SQ_EUlSP_E_NS1_11comp_targetILNS1_3genE5ELNS1_11target_archE942ELNS1_3gpuE9ELNS1_3repE0EEENS1_30default_config_static_selectorELNS0_4arch9wavefront6targetE0EEEvT1_,@function
_ZN7rocprim17ROCPRIM_400000_NS6detail17trampoline_kernelINS0_14default_configENS1_20scan_config_selectorIiEEZZNS1_9scan_implILNS1_25lookback_scan_determinismE0ELb0ELb0ES3_N6thrust23THRUST_200600_302600_NS6detail15normal_iteratorINS9_10device_ptrIiEEEESE_iNS9_4plusIvEEiEEDaPvRmT3_T4_T5_mT6_P12ihipStream_tbENKUlT_T0_E_clISt17integral_constantIbLb0EEST_IbLb1EEEEDaSP_SQ_EUlSP_E_NS1_11comp_targetILNS1_3genE5ELNS1_11target_archE942ELNS1_3gpuE9ELNS1_3repE0EEENS1_30default_config_static_selectorELNS0_4arch9wavefront6targetE0EEEvT1_: ; @_ZN7rocprim17ROCPRIM_400000_NS6detail17trampoline_kernelINS0_14default_configENS1_20scan_config_selectorIiEEZZNS1_9scan_implILNS1_25lookback_scan_determinismE0ELb0ELb0ES3_N6thrust23THRUST_200600_302600_NS6detail15normal_iteratorINS9_10device_ptrIiEEEESE_iNS9_4plusIvEEiEEDaPvRmT3_T4_T5_mT6_P12ihipStream_tbENKUlT_T0_E_clISt17integral_constantIbLb0EEST_IbLb1EEEEDaSP_SQ_EUlSP_E_NS1_11comp_targetILNS1_3genE5ELNS1_11target_archE942ELNS1_3gpuE9ELNS1_3repE0EEENS1_30default_config_static_selectorELNS0_4arch9wavefront6targetE0EEEvT1_
; %bb.0:
	.section	.rodata,"a",@progbits
	.p2align	6, 0x0
	.amdhsa_kernel _ZN7rocprim17ROCPRIM_400000_NS6detail17trampoline_kernelINS0_14default_configENS1_20scan_config_selectorIiEEZZNS1_9scan_implILNS1_25lookback_scan_determinismE0ELb0ELb0ES3_N6thrust23THRUST_200600_302600_NS6detail15normal_iteratorINS9_10device_ptrIiEEEESE_iNS9_4plusIvEEiEEDaPvRmT3_T4_T5_mT6_P12ihipStream_tbENKUlT_T0_E_clISt17integral_constantIbLb0EEST_IbLb1EEEEDaSP_SQ_EUlSP_E_NS1_11comp_targetILNS1_3genE5ELNS1_11target_archE942ELNS1_3gpuE9ELNS1_3repE0EEENS1_30default_config_static_selectorELNS0_4arch9wavefront6targetE0EEEvT1_
		.amdhsa_group_segment_fixed_size 0
		.amdhsa_private_segment_fixed_size 0
		.amdhsa_kernarg_size 96
		.amdhsa_user_sgpr_count 2
		.amdhsa_user_sgpr_dispatch_ptr 0
		.amdhsa_user_sgpr_queue_ptr 0
		.amdhsa_user_sgpr_kernarg_segment_ptr 1
		.amdhsa_user_sgpr_dispatch_id 0
		.amdhsa_user_sgpr_kernarg_preload_length 0
		.amdhsa_user_sgpr_kernarg_preload_offset 0
		.amdhsa_user_sgpr_private_segment_size 0
		.amdhsa_wavefront_size32 1
		.amdhsa_uses_dynamic_stack 0
		.amdhsa_enable_private_segment 0
		.amdhsa_system_sgpr_workgroup_id_x 1
		.amdhsa_system_sgpr_workgroup_id_y 0
		.amdhsa_system_sgpr_workgroup_id_z 0
		.amdhsa_system_sgpr_workgroup_info 0
		.amdhsa_system_vgpr_workitem_id 0
		.amdhsa_next_free_vgpr 1
		.amdhsa_next_free_sgpr 1
		.amdhsa_named_barrier_count 0
		.amdhsa_reserve_vcc 0
		.amdhsa_float_round_mode_32 0
		.amdhsa_float_round_mode_16_64 0
		.amdhsa_float_denorm_mode_32 3
		.amdhsa_float_denorm_mode_16_64 3
		.amdhsa_fp16_overflow 0
		.amdhsa_memory_ordered 1
		.amdhsa_forward_progress 1
		.amdhsa_inst_pref_size 0
		.amdhsa_round_robin_scheduling 0
		.amdhsa_exception_fp_ieee_invalid_op 0
		.amdhsa_exception_fp_denorm_src 0
		.amdhsa_exception_fp_ieee_div_zero 0
		.amdhsa_exception_fp_ieee_overflow 0
		.amdhsa_exception_fp_ieee_underflow 0
		.amdhsa_exception_fp_ieee_inexact 0
		.amdhsa_exception_int_div_zero 0
	.end_amdhsa_kernel
	.section	.text._ZN7rocprim17ROCPRIM_400000_NS6detail17trampoline_kernelINS0_14default_configENS1_20scan_config_selectorIiEEZZNS1_9scan_implILNS1_25lookback_scan_determinismE0ELb0ELb0ES3_N6thrust23THRUST_200600_302600_NS6detail15normal_iteratorINS9_10device_ptrIiEEEESE_iNS9_4plusIvEEiEEDaPvRmT3_T4_T5_mT6_P12ihipStream_tbENKUlT_T0_E_clISt17integral_constantIbLb0EEST_IbLb1EEEEDaSP_SQ_EUlSP_E_NS1_11comp_targetILNS1_3genE5ELNS1_11target_archE942ELNS1_3gpuE9ELNS1_3repE0EEENS1_30default_config_static_selectorELNS0_4arch9wavefront6targetE0EEEvT1_,"axG",@progbits,_ZN7rocprim17ROCPRIM_400000_NS6detail17trampoline_kernelINS0_14default_configENS1_20scan_config_selectorIiEEZZNS1_9scan_implILNS1_25lookback_scan_determinismE0ELb0ELb0ES3_N6thrust23THRUST_200600_302600_NS6detail15normal_iteratorINS9_10device_ptrIiEEEESE_iNS9_4plusIvEEiEEDaPvRmT3_T4_T5_mT6_P12ihipStream_tbENKUlT_T0_E_clISt17integral_constantIbLb0EEST_IbLb1EEEEDaSP_SQ_EUlSP_E_NS1_11comp_targetILNS1_3genE5ELNS1_11target_archE942ELNS1_3gpuE9ELNS1_3repE0EEENS1_30default_config_static_selectorELNS0_4arch9wavefront6targetE0EEEvT1_,comdat
.Lfunc_end67:
	.size	_ZN7rocprim17ROCPRIM_400000_NS6detail17trampoline_kernelINS0_14default_configENS1_20scan_config_selectorIiEEZZNS1_9scan_implILNS1_25lookback_scan_determinismE0ELb0ELb0ES3_N6thrust23THRUST_200600_302600_NS6detail15normal_iteratorINS9_10device_ptrIiEEEESE_iNS9_4plusIvEEiEEDaPvRmT3_T4_T5_mT6_P12ihipStream_tbENKUlT_T0_E_clISt17integral_constantIbLb0EEST_IbLb1EEEEDaSP_SQ_EUlSP_E_NS1_11comp_targetILNS1_3genE5ELNS1_11target_archE942ELNS1_3gpuE9ELNS1_3repE0EEENS1_30default_config_static_selectorELNS0_4arch9wavefront6targetE0EEEvT1_, .Lfunc_end67-_ZN7rocprim17ROCPRIM_400000_NS6detail17trampoline_kernelINS0_14default_configENS1_20scan_config_selectorIiEEZZNS1_9scan_implILNS1_25lookback_scan_determinismE0ELb0ELb0ES3_N6thrust23THRUST_200600_302600_NS6detail15normal_iteratorINS9_10device_ptrIiEEEESE_iNS9_4plusIvEEiEEDaPvRmT3_T4_T5_mT6_P12ihipStream_tbENKUlT_T0_E_clISt17integral_constantIbLb0EEST_IbLb1EEEEDaSP_SQ_EUlSP_E_NS1_11comp_targetILNS1_3genE5ELNS1_11target_archE942ELNS1_3gpuE9ELNS1_3repE0EEENS1_30default_config_static_selectorELNS0_4arch9wavefront6targetE0EEEvT1_
                                        ; -- End function
	.set _ZN7rocprim17ROCPRIM_400000_NS6detail17trampoline_kernelINS0_14default_configENS1_20scan_config_selectorIiEEZZNS1_9scan_implILNS1_25lookback_scan_determinismE0ELb0ELb0ES3_N6thrust23THRUST_200600_302600_NS6detail15normal_iteratorINS9_10device_ptrIiEEEESE_iNS9_4plusIvEEiEEDaPvRmT3_T4_T5_mT6_P12ihipStream_tbENKUlT_T0_E_clISt17integral_constantIbLb0EEST_IbLb1EEEEDaSP_SQ_EUlSP_E_NS1_11comp_targetILNS1_3genE5ELNS1_11target_archE942ELNS1_3gpuE9ELNS1_3repE0EEENS1_30default_config_static_selectorELNS0_4arch9wavefront6targetE0EEEvT1_.num_vgpr, 0
	.set _ZN7rocprim17ROCPRIM_400000_NS6detail17trampoline_kernelINS0_14default_configENS1_20scan_config_selectorIiEEZZNS1_9scan_implILNS1_25lookback_scan_determinismE0ELb0ELb0ES3_N6thrust23THRUST_200600_302600_NS6detail15normal_iteratorINS9_10device_ptrIiEEEESE_iNS9_4plusIvEEiEEDaPvRmT3_T4_T5_mT6_P12ihipStream_tbENKUlT_T0_E_clISt17integral_constantIbLb0EEST_IbLb1EEEEDaSP_SQ_EUlSP_E_NS1_11comp_targetILNS1_3genE5ELNS1_11target_archE942ELNS1_3gpuE9ELNS1_3repE0EEENS1_30default_config_static_selectorELNS0_4arch9wavefront6targetE0EEEvT1_.num_agpr, 0
	.set _ZN7rocprim17ROCPRIM_400000_NS6detail17trampoline_kernelINS0_14default_configENS1_20scan_config_selectorIiEEZZNS1_9scan_implILNS1_25lookback_scan_determinismE0ELb0ELb0ES3_N6thrust23THRUST_200600_302600_NS6detail15normal_iteratorINS9_10device_ptrIiEEEESE_iNS9_4plusIvEEiEEDaPvRmT3_T4_T5_mT6_P12ihipStream_tbENKUlT_T0_E_clISt17integral_constantIbLb0EEST_IbLb1EEEEDaSP_SQ_EUlSP_E_NS1_11comp_targetILNS1_3genE5ELNS1_11target_archE942ELNS1_3gpuE9ELNS1_3repE0EEENS1_30default_config_static_selectorELNS0_4arch9wavefront6targetE0EEEvT1_.numbered_sgpr, 0
	.set _ZN7rocprim17ROCPRIM_400000_NS6detail17trampoline_kernelINS0_14default_configENS1_20scan_config_selectorIiEEZZNS1_9scan_implILNS1_25lookback_scan_determinismE0ELb0ELb0ES3_N6thrust23THRUST_200600_302600_NS6detail15normal_iteratorINS9_10device_ptrIiEEEESE_iNS9_4plusIvEEiEEDaPvRmT3_T4_T5_mT6_P12ihipStream_tbENKUlT_T0_E_clISt17integral_constantIbLb0EEST_IbLb1EEEEDaSP_SQ_EUlSP_E_NS1_11comp_targetILNS1_3genE5ELNS1_11target_archE942ELNS1_3gpuE9ELNS1_3repE0EEENS1_30default_config_static_selectorELNS0_4arch9wavefront6targetE0EEEvT1_.num_named_barrier, 0
	.set _ZN7rocprim17ROCPRIM_400000_NS6detail17trampoline_kernelINS0_14default_configENS1_20scan_config_selectorIiEEZZNS1_9scan_implILNS1_25lookback_scan_determinismE0ELb0ELb0ES3_N6thrust23THRUST_200600_302600_NS6detail15normal_iteratorINS9_10device_ptrIiEEEESE_iNS9_4plusIvEEiEEDaPvRmT3_T4_T5_mT6_P12ihipStream_tbENKUlT_T0_E_clISt17integral_constantIbLb0EEST_IbLb1EEEEDaSP_SQ_EUlSP_E_NS1_11comp_targetILNS1_3genE5ELNS1_11target_archE942ELNS1_3gpuE9ELNS1_3repE0EEENS1_30default_config_static_selectorELNS0_4arch9wavefront6targetE0EEEvT1_.private_seg_size, 0
	.set _ZN7rocprim17ROCPRIM_400000_NS6detail17trampoline_kernelINS0_14default_configENS1_20scan_config_selectorIiEEZZNS1_9scan_implILNS1_25lookback_scan_determinismE0ELb0ELb0ES3_N6thrust23THRUST_200600_302600_NS6detail15normal_iteratorINS9_10device_ptrIiEEEESE_iNS9_4plusIvEEiEEDaPvRmT3_T4_T5_mT6_P12ihipStream_tbENKUlT_T0_E_clISt17integral_constantIbLb0EEST_IbLb1EEEEDaSP_SQ_EUlSP_E_NS1_11comp_targetILNS1_3genE5ELNS1_11target_archE942ELNS1_3gpuE9ELNS1_3repE0EEENS1_30default_config_static_selectorELNS0_4arch9wavefront6targetE0EEEvT1_.uses_vcc, 0
	.set _ZN7rocprim17ROCPRIM_400000_NS6detail17trampoline_kernelINS0_14default_configENS1_20scan_config_selectorIiEEZZNS1_9scan_implILNS1_25lookback_scan_determinismE0ELb0ELb0ES3_N6thrust23THRUST_200600_302600_NS6detail15normal_iteratorINS9_10device_ptrIiEEEESE_iNS9_4plusIvEEiEEDaPvRmT3_T4_T5_mT6_P12ihipStream_tbENKUlT_T0_E_clISt17integral_constantIbLb0EEST_IbLb1EEEEDaSP_SQ_EUlSP_E_NS1_11comp_targetILNS1_3genE5ELNS1_11target_archE942ELNS1_3gpuE9ELNS1_3repE0EEENS1_30default_config_static_selectorELNS0_4arch9wavefront6targetE0EEEvT1_.uses_flat_scratch, 0
	.set _ZN7rocprim17ROCPRIM_400000_NS6detail17trampoline_kernelINS0_14default_configENS1_20scan_config_selectorIiEEZZNS1_9scan_implILNS1_25lookback_scan_determinismE0ELb0ELb0ES3_N6thrust23THRUST_200600_302600_NS6detail15normal_iteratorINS9_10device_ptrIiEEEESE_iNS9_4plusIvEEiEEDaPvRmT3_T4_T5_mT6_P12ihipStream_tbENKUlT_T0_E_clISt17integral_constantIbLb0EEST_IbLb1EEEEDaSP_SQ_EUlSP_E_NS1_11comp_targetILNS1_3genE5ELNS1_11target_archE942ELNS1_3gpuE9ELNS1_3repE0EEENS1_30default_config_static_selectorELNS0_4arch9wavefront6targetE0EEEvT1_.has_dyn_sized_stack, 0
	.set _ZN7rocprim17ROCPRIM_400000_NS6detail17trampoline_kernelINS0_14default_configENS1_20scan_config_selectorIiEEZZNS1_9scan_implILNS1_25lookback_scan_determinismE0ELb0ELb0ES3_N6thrust23THRUST_200600_302600_NS6detail15normal_iteratorINS9_10device_ptrIiEEEESE_iNS9_4plusIvEEiEEDaPvRmT3_T4_T5_mT6_P12ihipStream_tbENKUlT_T0_E_clISt17integral_constantIbLb0EEST_IbLb1EEEEDaSP_SQ_EUlSP_E_NS1_11comp_targetILNS1_3genE5ELNS1_11target_archE942ELNS1_3gpuE9ELNS1_3repE0EEENS1_30default_config_static_selectorELNS0_4arch9wavefront6targetE0EEEvT1_.has_recursion, 0
	.set _ZN7rocprim17ROCPRIM_400000_NS6detail17trampoline_kernelINS0_14default_configENS1_20scan_config_selectorIiEEZZNS1_9scan_implILNS1_25lookback_scan_determinismE0ELb0ELb0ES3_N6thrust23THRUST_200600_302600_NS6detail15normal_iteratorINS9_10device_ptrIiEEEESE_iNS9_4plusIvEEiEEDaPvRmT3_T4_T5_mT6_P12ihipStream_tbENKUlT_T0_E_clISt17integral_constantIbLb0EEST_IbLb1EEEEDaSP_SQ_EUlSP_E_NS1_11comp_targetILNS1_3genE5ELNS1_11target_archE942ELNS1_3gpuE9ELNS1_3repE0EEENS1_30default_config_static_selectorELNS0_4arch9wavefront6targetE0EEEvT1_.has_indirect_call, 0
	.section	.AMDGPU.csdata,"",@progbits
; Kernel info:
; codeLenInByte = 0
; TotalNumSgprs: 0
; NumVgprs: 0
; ScratchSize: 0
; MemoryBound: 0
; FloatMode: 240
; IeeeMode: 1
; LDSByteSize: 0 bytes/workgroup (compile time only)
; SGPRBlocks: 0
; VGPRBlocks: 0
; NumSGPRsForWavesPerEU: 1
; NumVGPRsForWavesPerEU: 1
; NamedBarCnt: 0
; Occupancy: 16
; WaveLimiterHint : 0
; COMPUTE_PGM_RSRC2:SCRATCH_EN: 0
; COMPUTE_PGM_RSRC2:USER_SGPR: 2
; COMPUTE_PGM_RSRC2:TRAP_HANDLER: 0
; COMPUTE_PGM_RSRC2:TGID_X_EN: 1
; COMPUTE_PGM_RSRC2:TGID_Y_EN: 0
; COMPUTE_PGM_RSRC2:TGID_Z_EN: 0
; COMPUTE_PGM_RSRC2:TIDIG_COMP_CNT: 0
	.section	.text._ZN7rocprim17ROCPRIM_400000_NS6detail17trampoline_kernelINS0_14default_configENS1_20scan_config_selectorIiEEZZNS1_9scan_implILNS1_25lookback_scan_determinismE0ELb0ELb0ES3_N6thrust23THRUST_200600_302600_NS6detail15normal_iteratorINS9_10device_ptrIiEEEESE_iNS9_4plusIvEEiEEDaPvRmT3_T4_T5_mT6_P12ihipStream_tbENKUlT_T0_E_clISt17integral_constantIbLb0EEST_IbLb1EEEEDaSP_SQ_EUlSP_E_NS1_11comp_targetILNS1_3genE4ELNS1_11target_archE910ELNS1_3gpuE8ELNS1_3repE0EEENS1_30default_config_static_selectorELNS0_4arch9wavefront6targetE0EEEvT1_,"axG",@progbits,_ZN7rocprim17ROCPRIM_400000_NS6detail17trampoline_kernelINS0_14default_configENS1_20scan_config_selectorIiEEZZNS1_9scan_implILNS1_25lookback_scan_determinismE0ELb0ELb0ES3_N6thrust23THRUST_200600_302600_NS6detail15normal_iteratorINS9_10device_ptrIiEEEESE_iNS9_4plusIvEEiEEDaPvRmT3_T4_T5_mT6_P12ihipStream_tbENKUlT_T0_E_clISt17integral_constantIbLb0EEST_IbLb1EEEEDaSP_SQ_EUlSP_E_NS1_11comp_targetILNS1_3genE4ELNS1_11target_archE910ELNS1_3gpuE8ELNS1_3repE0EEENS1_30default_config_static_selectorELNS0_4arch9wavefront6targetE0EEEvT1_,comdat
	.protected	_ZN7rocprim17ROCPRIM_400000_NS6detail17trampoline_kernelINS0_14default_configENS1_20scan_config_selectorIiEEZZNS1_9scan_implILNS1_25lookback_scan_determinismE0ELb0ELb0ES3_N6thrust23THRUST_200600_302600_NS6detail15normal_iteratorINS9_10device_ptrIiEEEESE_iNS9_4plusIvEEiEEDaPvRmT3_T4_T5_mT6_P12ihipStream_tbENKUlT_T0_E_clISt17integral_constantIbLb0EEST_IbLb1EEEEDaSP_SQ_EUlSP_E_NS1_11comp_targetILNS1_3genE4ELNS1_11target_archE910ELNS1_3gpuE8ELNS1_3repE0EEENS1_30default_config_static_selectorELNS0_4arch9wavefront6targetE0EEEvT1_ ; -- Begin function _ZN7rocprim17ROCPRIM_400000_NS6detail17trampoline_kernelINS0_14default_configENS1_20scan_config_selectorIiEEZZNS1_9scan_implILNS1_25lookback_scan_determinismE0ELb0ELb0ES3_N6thrust23THRUST_200600_302600_NS6detail15normal_iteratorINS9_10device_ptrIiEEEESE_iNS9_4plusIvEEiEEDaPvRmT3_T4_T5_mT6_P12ihipStream_tbENKUlT_T0_E_clISt17integral_constantIbLb0EEST_IbLb1EEEEDaSP_SQ_EUlSP_E_NS1_11comp_targetILNS1_3genE4ELNS1_11target_archE910ELNS1_3gpuE8ELNS1_3repE0EEENS1_30default_config_static_selectorELNS0_4arch9wavefront6targetE0EEEvT1_
	.globl	_ZN7rocprim17ROCPRIM_400000_NS6detail17trampoline_kernelINS0_14default_configENS1_20scan_config_selectorIiEEZZNS1_9scan_implILNS1_25lookback_scan_determinismE0ELb0ELb0ES3_N6thrust23THRUST_200600_302600_NS6detail15normal_iteratorINS9_10device_ptrIiEEEESE_iNS9_4plusIvEEiEEDaPvRmT3_T4_T5_mT6_P12ihipStream_tbENKUlT_T0_E_clISt17integral_constantIbLb0EEST_IbLb1EEEEDaSP_SQ_EUlSP_E_NS1_11comp_targetILNS1_3genE4ELNS1_11target_archE910ELNS1_3gpuE8ELNS1_3repE0EEENS1_30default_config_static_selectorELNS0_4arch9wavefront6targetE0EEEvT1_
	.p2align	8
	.type	_ZN7rocprim17ROCPRIM_400000_NS6detail17trampoline_kernelINS0_14default_configENS1_20scan_config_selectorIiEEZZNS1_9scan_implILNS1_25lookback_scan_determinismE0ELb0ELb0ES3_N6thrust23THRUST_200600_302600_NS6detail15normal_iteratorINS9_10device_ptrIiEEEESE_iNS9_4plusIvEEiEEDaPvRmT3_T4_T5_mT6_P12ihipStream_tbENKUlT_T0_E_clISt17integral_constantIbLb0EEST_IbLb1EEEEDaSP_SQ_EUlSP_E_NS1_11comp_targetILNS1_3genE4ELNS1_11target_archE910ELNS1_3gpuE8ELNS1_3repE0EEENS1_30default_config_static_selectorELNS0_4arch9wavefront6targetE0EEEvT1_,@function
_ZN7rocprim17ROCPRIM_400000_NS6detail17trampoline_kernelINS0_14default_configENS1_20scan_config_selectorIiEEZZNS1_9scan_implILNS1_25lookback_scan_determinismE0ELb0ELb0ES3_N6thrust23THRUST_200600_302600_NS6detail15normal_iteratorINS9_10device_ptrIiEEEESE_iNS9_4plusIvEEiEEDaPvRmT3_T4_T5_mT6_P12ihipStream_tbENKUlT_T0_E_clISt17integral_constantIbLb0EEST_IbLb1EEEEDaSP_SQ_EUlSP_E_NS1_11comp_targetILNS1_3genE4ELNS1_11target_archE910ELNS1_3gpuE8ELNS1_3repE0EEENS1_30default_config_static_selectorELNS0_4arch9wavefront6targetE0EEEvT1_: ; @_ZN7rocprim17ROCPRIM_400000_NS6detail17trampoline_kernelINS0_14default_configENS1_20scan_config_selectorIiEEZZNS1_9scan_implILNS1_25lookback_scan_determinismE0ELb0ELb0ES3_N6thrust23THRUST_200600_302600_NS6detail15normal_iteratorINS9_10device_ptrIiEEEESE_iNS9_4plusIvEEiEEDaPvRmT3_T4_T5_mT6_P12ihipStream_tbENKUlT_T0_E_clISt17integral_constantIbLb0EEST_IbLb1EEEEDaSP_SQ_EUlSP_E_NS1_11comp_targetILNS1_3genE4ELNS1_11target_archE910ELNS1_3gpuE8ELNS1_3repE0EEENS1_30default_config_static_selectorELNS0_4arch9wavefront6targetE0EEEvT1_
; %bb.0:
	.section	.rodata,"a",@progbits
	.p2align	6, 0x0
	.amdhsa_kernel _ZN7rocprim17ROCPRIM_400000_NS6detail17trampoline_kernelINS0_14default_configENS1_20scan_config_selectorIiEEZZNS1_9scan_implILNS1_25lookback_scan_determinismE0ELb0ELb0ES3_N6thrust23THRUST_200600_302600_NS6detail15normal_iteratorINS9_10device_ptrIiEEEESE_iNS9_4plusIvEEiEEDaPvRmT3_T4_T5_mT6_P12ihipStream_tbENKUlT_T0_E_clISt17integral_constantIbLb0EEST_IbLb1EEEEDaSP_SQ_EUlSP_E_NS1_11comp_targetILNS1_3genE4ELNS1_11target_archE910ELNS1_3gpuE8ELNS1_3repE0EEENS1_30default_config_static_selectorELNS0_4arch9wavefront6targetE0EEEvT1_
		.amdhsa_group_segment_fixed_size 0
		.amdhsa_private_segment_fixed_size 0
		.amdhsa_kernarg_size 96
		.amdhsa_user_sgpr_count 2
		.amdhsa_user_sgpr_dispatch_ptr 0
		.amdhsa_user_sgpr_queue_ptr 0
		.amdhsa_user_sgpr_kernarg_segment_ptr 1
		.amdhsa_user_sgpr_dispatch_id 0
		.amdhsa_user_sgpr_kernarg_preload_length 0
		.amdhsa_user_sgpr_kernarg_preload_offset 0
		.amdhsa_user_sgpr_private_segment_size 0
		.amdhsa_wavefront_size32 1
		.amdhsa_uses_dynamic_stack 0
		.amdhsa_enable_private_segment 0
		.amdhsa_system_sgpr_workgroup_id_x 1
		.amdhsa_system_sgpr_workgroup_id_y 0
		.amdhsa_system_sgpr_workgroup_id_z 0
		.amdhsa_system_sgpr_workgroup_info 0
		.amdhsa_system_vgpr_workitem_id 0
		.amdhsa_next_free_vgpr 1
		.amdhsa_next_free_sgpr 1
		.amdhsa_named_barrier_count 0
		.amdhsa_reserve_vcc 0
		.amdhsa_float_round_mode_32 0
		.amdhsa_float_round_mode_16_64 0
		.amdhsa_float_denorm_mode_32 3
		.amdhsa_float_denorm_mode_16_64 3
		.amdhsa_fp16_overflow 0
		.amdhsa_memory_ordered 1
		.amdhsa_forward_progress 1
		.amdhsa_inst_pref_size 0
		.amdhsa_round_robin_scheduling 0
		.amdhsa_exception_fp_ieee_invalid_op 0
		.amdhsa_exception_fp_denorm_src 0
		.amdhsa_exception_fp_ieee_div_zero 0
		.amdhsa_exception_fp_ieee_overflow 0
		.amdhsa_exception_fp_ieee_underflow 0
		.amdhsa_exception_fp_ieee_inexact 0
		.amdhsa_exception_int_div_zero 0
	.end_amdhsa_kernel
	.section	.text._ZN7rocprim17ROCPRIM_400000_NS6detail17trampoline_kernelINS0_14default_configENS1_20scan_config_selectorIiEEZZNS1_9scan_implILNS1_25lookback_scan_determinismE0ELb0ELb0ES3_N6thrust23THRUST_200600_302600_NS6detail15normal_iteratorINS9_10device_ptrIiEEEESE_iNS9_4plusIvEEiEEDaPvRmT3_T4_T5_mT6_P12ihipStream_tbENKUlT_T0_E_clISt17integral_constantIbLb0EEST_IbLb1EEEEDaSP_SQ_EUlSP_E_NS1_11comp_targetILNS1_3genE4ELNS1_11target_archE910ELNS1_3gpuE8ELNS1_3repE0EEENS1_30default_config_static_selectorELNS0_4arch9wavefront6targetE0EEEvT1_,"axG",@progbits,_ZN7rocprim17ROCPRIM_400000_NS6detail17trampoline_kernelINS0_14default_configENS1_20scan_config_selectorIiEEZZNS1_9scan_implILNS1_25lookback_scan_determinismE0ELb0ELb0ES3_N6thrust23THRUST_200600_302600_NS6detail15normal_iteratorINS9_10device_ptrIiEEEESE_iNS9_4plusIvEEiEEDaPvRmT3_T4_T5_mT6_P12ihipStream_tbENKUlT_T0_E_clISt17integral_constantIbLb0EEST_IbLb1EEEEDaSP_SQ_EUlSP_E_NS1_11comp_targetILNS1_3genE4ELNS1_11target_archE910ELNS1_3gpuE8ELNS1_3repE0EEENS1_30default_config_static_selectorELNS0_4arch9wavefront6targetE0EEEvT1_,comdat
.Lfunc_end68:
	.size	_ZN7rocprim17ROCPRIM_400000_NS6detail17trampoline_kernelINS0_14default_configENS1_20scan_config_selectorIiEEZZNS1_9scan_implILNS1_25lookback_scan_determinismE0ELb0ELb0ES3_N6thrust23THRUST_200600_302600_NS6detail15normal_iteratorINS9_10device_ptrIiEEEESE_iNS9_4plusIvEEiEEDaPvRmT3_T4_T5_mT6_P12ihipStream_tbENKUlT_T0_E_clISt17integral_constantIbLb0EEST_IbLb1EEEEDaSP_SQ_EUlSP_E_NS1_11comp_targetILNS1_3genE4ELNS1_11target_archE910ELNS1_3gpuE8ELNS1_3repE0EEENS1_30default_config_static_selectorELNS0_4arch9wavefront6targetE0EEEvT1_, .Lfunc_end68-_ZN7rocprim17ROCPRIM_400000_NS6detail17trampoline_kernelINS0_14default_configENS1_20scan_config_selectorIiEEZZNS1_9scan_implILNS1_25lookback_scan_determinismE0ELb0ELb0ES3_N6thrust23THRUST_200600_302600_NS6detail15normal_iteratorINS9_10device_ptrIiEEEESE_iNS9_4plusIvEEiEEDaPvRmT3_T4_T5_mT6_P12ihipStream_tbENKUlT_T0_E_clISt17integral_constantIbLb0EEST_IbLb1EEEEDaSP_SQ_EUlSP_E_NS1_11comp_targetILNS1_3genE4ELNS1_11target_archE910ELNS1_3gpuE8ELNS1_3repE0EEENS1_30default_config_static_selectorELNS0_4arch9wavefront6targetE0EEEvT1_
                                        ; -- End function
	.set _ZN7rocprim17ROCPRIM_400000_NS6detail17trampoline_kernelINS0_14default_configENS1_20scan_config_selectorIiEEZZNS1_9scan_implILNS1_25lookback_scan_determinismE0ELb0ELb0ES3_N6thrust23THRUST_200600_302600_NS6detail15normal_iteratorINS9_10device_ptrIiEEEESE_iNS9_4plusIvEEiEEDaPvRmT3_T4_T5_mT6_P12ihipStream_tbENKUlT_T0_E_clISt17integral_constantIbLb0EEST_IbLb1EEEEDaSP_SQ_EUlSP_E_NS1_11comp_targetILNS1_3genE4ELNS1_11target_archE910ELNS1_3gpuE8ELNS1_3repE0EEENS1_30default_config_static_selectorELNS0_4arch9wavefront6targetE0EEEvT1_.num_vgpr, 0
	.set _ZN7rocprim17ROCPRIM_400000_NS6detail17trampoline_kernelINS0_14default_configENS1_20scan_config_selectorIiEEZZNS1_9scan_implILNS1_25lookback_scan_determinismE0ELb0ELb0ES3_N6thrust23THRUST_200600_302600_NS6detail15normal_iteratorINS9_10device_ptrIiEEEESE_iNS9_4plusIvEEiEEDaPvRmT3_T4_T5_mT6_P12ihipStream_tbENKUlT_T0_E_clISt17integral_constantIbLb0EEST_IbLb1EEEEDaSP_SQ_EUlSP_E_NS1_11comp_targetILNS1_3genE4ELNS1_11target_archE910ELNS1_3gpuE8ELNS1_3repE0EEENS1_30default_config_static_selectorELNS0_4arch9wavefront6targetE0EEEvT1_.num_agpr, 0
	.set _ZN7rocprim17ROCPRIM_400000_NS6detail17trampoline_kernelINS0_14default_configENS1_20scan_config_selectorIiEEZZNS1_9scan_implILNS1_25lookback_scan_determinismE0ELb0ELb0ES3_N6thrust23THRUST_200600_302600_NS6detail15normal_iteratorINS9_10device_ptrIiEEEESE_iNS9_4plusIvEEiEEDaPvRmT3_T4_T5_mT6_P12ihipStream_tbENKUlT_T0_E_clISt17integral_constantIbLb0EEST_IbLb1EEEEDaSP_SQ_EUlSP_E_NS1_11comp_targetILNS1_3genE4ELNS1_11target_archE910ELNS1_3gpuE8ELNS1_3repE0EEENS1_30default_config_static_selectorELNS0_4arch9wavefront6targetE0EEEvT1_.numbered_sgpr, 0
	.set _ZN7rocprim17ROCPRIM_400000_NS6detail17trampoline_kernelINS0_14default_configENS1_20scan_config_selectorIiEEZZNS1_9scan_implILNS1_25lookback_scan_determinismE0ELb0ELb0ES3_N6thrust23THRUST_200600_302600_NS6detail15normal_iteratorINS9_10device_ptrIiEEEESE_iNS9_4plusIvEEiEEDaPvRmT3_T4_T5_mT6_P12ihipStream_tbENKUlT_T0_E_clISt17integral_constantIbLb0EEST_IbLb1EEEEDaSP_SQ_EUlSP_E_NS1_11comp_targetILNS1_3genE4ELNS1_11target_archE910ELNS1_3gpuE8ELNS1_3repE0EEENS1_30default_config_static_selectorELNS0_4arch9wavefront6targetE0EEEvT1_.num_named_barrier, 0
	.set _ZN7rocprim17ROCPRIM_400000_NS6detail17trampoline_kernelINS0_14default_configENS1_20scan_config_selectorIiEEZZNS1_9scan_implILNS1_25lookback_scan_determinismE0ELb0ELb0ES3_N6thrust23THRUST_200600_302600_NS6detail15normal_iteratorINS9_10device_ptrIiEEEESE_iNS9_4plusIvEEiEEDaPvRmT3_T4_T5_mT6_P12ihipStream_tbENKUlT_T0_E_clISt17integral_constantIbLb0EEST_IbLb1EEEEDaSP_SQ_EUlSP_E_NS1_11comp_targetILNS1_3genE4ELNS1_11target_archE910ELNS1_3gpuE8ELNS1_3repE0EEENS1_30default_config_static_selectorELNS0_4arch9wavefront6targetE0EEEvT1_.private_seg_size, 0
	.set _ZN7rocprim17ROCPRIM_400000_NS6detail17trampoline_kernelINS0_14default_configENS1_20scan_config_selectorIiEEZZNS1_9scan_implILNS1_25lookback_scan_determinismE0ELb0ELb0ES3_N6thrust23THRUST_200600_302600_NS6detail15normal_iteratorINS9_10device_ptrIiEEEESE_iNS9_4plusIvEEiEEDaPvRmT3_T4_T5_mT6_P12ihipStream_tbENKUlT_T0_E_clISt17integral_constantIbLb0EEST_IbLb1EEEEDaSP_SQ_EUlSP_E_NS1_11comp_targetILNS1_3genE4ELNS1_11target_archE910ELNS1_3gpuE8ELNS1_3repE0EEENS1_30default_config_static_selectorELNS0_4arch9wavefront6targetE0EEEvT1_.uses_vcc, 0
	.set _ZN7rocprim17ROCPRIM_400000_NS6detail17trampoline_kernelINS0_14default_configENS1_20scan_config_selectorIiEEZZNS1_9scan_implILNS1_25lookback_scan_determinismE0ELb0ELb0ES3_N6thrust23THRUST_200600_302600_NS6detail15normal_iteratorINS9_10device_ptrIiEEEESE_iNS9_4plusIvEEiEEDaPvRmT3_T4_T5_mT6_P12ihipStream_tbENKUlT_T0_E_clISt17integral_constantIbLb0EEST_IbLb1EEEEDaSP_SQ_EUlSP_E_NS1_11comp_targetILNS1_3genE4ELNS1_11target_archE910ELNS1_3gpuE8ELNS1_3repE0EEENS1_30default_config_static_selectorELNS0_4arch9wavefront6targetE0EEEvT1_.uses_flat_scratch, 0
	.set _ZN7rocprim17ROCPRIM_400000_NS6detail17trampoline_kernelINS0_14default_configENS1_20scan_config_selectorIiEEZZNS1_9scan_implILNS1_25lookback_scan_determinismE0ELb0ELb0ES3_N6thrust23THRUST_200600_302600_NS6detail15normal_iteratorINS9_10device_ptrIiEEEESE_iNS9_4plusIvEEiEEDaPvRmT3_T4_T5_mT6_P12ihipStream_tbENKUlT_T0_E_clISt17integral_constantIbLb0EEST_IbLb1EEEEDaSP_SQ_EUlSP_E_NS1_11comp_targetILNS1_3genE4ELNS1_11target_archE910ELNS1_3gpuE8ELNS1_3repE0EEENS1_30default_config_static_selectorELNS0_4arch9wavefront6targetE0EEEvT1_.has_dyn_sized_stack, 0
	.set _ZN7rocprim17ROCPRIM_400000_NS6detail17trampoline_kernelINS0_14default_configENS1_20scan_config_selectorIiEEZZNS1_9scan_implILNS1_25lookback_scan_determinismE0ELb0ELb0ES3_N6thrust23THRUST_200600_302600_NS6detail15normal_iteratorINS9_10device_ptrIiEEEESE_iNS9_4plusIvEEiEEDaPvRmT3_T4_T5_mT6_P12ihipStream_tbENKUlT_T0_E_clISt17integral_constantIbLb0EEST_IbLb1EEEEDaSP_SQ_EUlSP_E_NS1_11comp_targetILNS1_3genE4ELNS1_11target_archE910ELNS1_3gpuE8ELNS1_3repE0EEENS1_30default_config_static_selectorELNS0_4arch9wavefront6targetE0EEEvT1_.has_recursion, 0
	.set _ZN7rocprim17ROCPRIM_400000_NS6detail17trampoline_kernelINS0_14default_configENS1_20scan_config_selectorIiEEZZNS1_9scan_implILNS1_25lookback_scan_determinismE0ELb0ELb0ES3_N6thrust23THRUST_200600_302600_NS6detail15normal_iteratorINS9_10device_ptrIiEEEESE_iNS9_4plusIvEEiEEDaPvRmT3_T4_T5_mT6_P12ihipStream_tbENKUlT_T0_E_clISt17integral_constantIbLb0EEST_IbLb1EEEEDaSP_SQ_EUlSP_E_NS1_11comp_targetILNS1_3genE4ELNS1_11target_archE910ELNS1_3gpuE8ELNS1_3repE0EEENS1_30default_config_static_selectorELNS0_4arch9wavefront6targetE0EEEvT1_.has_indirect_call, 0
	.section	.AMDGPU.csdata,"",@progbits
; Kernel info:
; codeLenInByte = 0
; TotalNumSgprs: 0
; NumVgprs: 0
; ScratchSize: 0
; MemoryBound: 0
; FloatMode: 240
; IeeeMode: 1
; LDSByteSize: 0 bytes/workgroup (compile time only)
; SGPRBlocks: 0
; VGPRBlocks: 0
; NumSGPRsForWavesPerEU: 1
; NumVGPRsForWavesPerEU: 1
; NamedBarCnt: 0
; Occupancy: 16
; WaveLimiterHint : 0
; COMPUTE_PGM_RSRC2:SCRATCH_EN: 0
; COMPUTE_PGM_RSRC2:USER_SGPR: 2
; COMPUTE_PGM_RSRC2:TRAP_HANDLER: 0
; COMPUTE_PGM_RSRC2:TGID_X_EN: 1
; COMPUTE_PGM_RSRC2:TGID_Y_EN: 0
; COMPUTE_PGM_RSRC2:TGID_Z_EN: 0
; COMPUTE_PGM_RSRC2:TIDIG_COMP_CNT: 0
	.section	.text._ZN7rocprim17ROCPRIM_400000_NS6detail17trampoline_kernelINS0_14default_configENS1_20scan_config_selectorIiEEZZNS1_9scan_implILNS1_25lookback_scan_determinismE0ELb0ELb0ES3_N6thrust23THRUST_200600_302600_NS6detail15normal_iteratorINS9_10device_ptrIiEEEESE_iNS9_4plusIvEEiEEDaPvRmT3_T4_T5_mT6_P12ihipStream_tbENKUlT_T0_E_clISt17integral_constantIbLb0EEST_IbLb1EEEEDaSP_SQ_EUlSP_E_NS1_11comp_targetILNS1_3genE3ELNS1_11target_archE908ELNS1_3gpuE7ELNS1_3repE0EEENS1_30default_config_static_selectorELNS0_4arch9wavefront6targetE0EEEvT1_,"axG",@progbits,_ZN7rocprim17ROCPRIM_400000_NS6detail17trampoline_kernelINS0_14default_configENS1_20scan_config_selectorIiEEZZNS1_9scan_implILNS1_25lookback_scan_determinismE0ELb0ELb0ES3_N6thrust23THRUST_200600_302600_NS6detail15normal_iteratorINS9_10device_ptrIiEEEESE_iNS9_4plusIvEEiEEDaPvRmT3_T4_T5_mT6_P12ihipStream_tbENKUlT_T0_E_clISt17integral_constantIbLb0EEST_IbLb1EEEEDaSP_SQ_EUlSP_E_NS1_11comp_targetILNS1_3genE3ELNS1_11target_archE908ELNS1_3gpuE7ELNS1_3repE0EEENS1_30default_config_static_selectorELNS0_4arch9wavefront6targetE0EEEvT1_,comdat
	.protected	_ZN7rocprim17ROCPRIM_400000_NS6detail17trampoline_kernelINS0_14default_configENS1_20scan_config_selectorIiEEZZNS1_9scan_implILNS1_25lookback_scan_determinismE0ELb0ELb0ES3_N6thrust23THRUST_200600_302600_NS6detail15normal_iteratorINS9_10device_ptrIiEEEESE_iNS9_4plusIvEEiEEDaPvRmT3_T4_T5_mT6_P12ihipStream_tbENKUlT_T0_E_clISt17integral_constantIbLb0EEST_IbLb1EEEEDaSP_SQ_EUlSP_E_NS1_11comp_targetILNS1_3genE3ELNS1_11target_archE908ELNS1_3gpuE7ELNS1_3repE0EEENS1_30default_config_static_selectorELNS0_4arch9wavefront6targetE0EEEvT1_ ; -- Begin function _ZN7rocprim17ROCPRIM_400000_NS6detail17trampoline_kernelINS0_14default_configENS1_20scan_config_selectorIiEEZZNS1_9scan_implILNS1_25lookback_scan_determinismE0ELb0ELb0ES3_N6thrust23THRUST_200600_302600_NS6detail15normal_iteratorINS9_10device_ptrIiEEEESE_iNS9_4plusIvEEiEEDaPvRmT3_T4_T5_mT6_P12ihipStream_tbENKUlT_T0_E_clISt17integral_constantIbLb0EEST_IbLb1EEEEDaSP_SQ_EUlSP_E_NS1_11comp_targetILNS1_3genE3ELNS1_11target_archE908ELNS1_3gpuE7ELNS1_3repE0EEENS1_30default_config_static_selectorELNS0_4arch9wavefront6targetE0EEEvT1_
	.globl	_ZN7rocprim17ROCPRIM_400000_NS6detail17trampoline_kernelINS0_14default_configENS1_20scan_config_selectorIiEEZZNS1_9scan_implILNS1_25lookback_scan_determinismE0ELb0ELb0ES3_N6thrust23THRUST_200600_302600_NS6detail15normal_iteratorINS9_10device_ptrIiEEEESE_iNS9_4plusIvEEiEEDaPvRmT3_T4_T5_mT6_P12ihipStream_tbENKUlT_T0_E_clISt17integral_constantIbLb0EEST_IbLb1EEEEDaSP_SQ_EUlSP_E_NS1_11comp_targetILNS1_3genE3ELNS1_11target_archE908ELNS1_3gpuE7ELNS1_3repE0EEENS1_30default_config_static_selectorELNS0_4arch9wavefront6targetE0EEEvT1_
	.p2align	8
	.type	_ZN7rocprim17ROCPRIM_400000_NS6detail17trampoline_kernelINS0_14default_configENS1_20scan_config_selectorIiEEZZNS1_9scan_implILNS1_25lookback_scan_determinismE0ELb0ELb0ES3_N6thrust23THRUST_200600_302600_NS6detail15normal_iteratorINS9_10device_ptrIiEEEESE_iNS9_4plusIvEEiEEDaPvRmT3_T4_T5_mT6_P12ihipStream_tbENKUlT_T0_E_clISt17integral_constantIbLb0EEST_IbLb1EEEEDaSP_SQ_EUlSP_E_NS1_11comp_targetILNS1_3genE3ELNS1_11target_archE908ELNS1_3gpuE7ELNS1_3repE0EEENS1_30default_config_static_selectorELNS0_4arch9wavefront6targetE0EEEvT1_,@function
_ZN7rocprim17ROCPRIM_400000_NS6detail17trampoline_kernelINS0_14default_configENS1_20scan_config_selectorIiEEZZNS1_9scan_implILNS1_25lookback_scan_determinismE0ELb0ELb0ES3_N6thrust23THRUST_200600_302600_NS6detail15normal_iteratorINS9_10device_ptrIiEEEESE_iNS9_4plusIvEEiEEDaPvRmT3_T4_T5_mT6_P12ihipStream_tbENKUlT_T0_E_clISt17integral_constantIbLb0EEST_IbLb1EEEEDaSP_SQ_EUlSP_E_NS1_11comp_targetILNS1_3genE3ELNS1_11target_archE908ELNS1_3gpuE7ELNS1_3repE0EEENS1_30default_config_static_selectorELNS0_4arch9wavefront6targetE0EEEvT1_: ; @_ZN7rocprim17ROCPRIM_400000_NS6detail17trampoline_kernelINS0_14default_configENS1_20scan_config_selectorIiEEZZNS1_9scan_implILNS1_25lookback_scan_determinismE0ELb0ELb0ES3_N6thrust23THRUST_200600_302600_NS6detail15normal_iteratorINS9_10device_ptrIiEEEESE_iNS9_4plusIvEEiEEDaPvRmT3_T4_T5_mT6_P12ihipStream_tbENKUlT_T0_E_clISt17integral_constantIbLb0EEST_IbLb1EEEEDaSP_SQ_EUlSP_E_NS1_11comp_targetILNS1_3genE3ELNS1_11target_archE908ELNS1_3gpuE7ELNS1_3repE0EEENS1_30default_config_static_selectorELNS0_4arch9wavefront6targetE0EEEvT1_
; %bb.0:
	.section	.rodata,"a",@progbits
	.p2align	6, 0x0
	.amdhsa_kernel _ZN7rocprim17ROCPRIM_400000_NS6detail17trampoline_kernelINS0_14default_configENS1_20scan_config_selectorIiEEZZNS1_9scan_implILNS1_25lookback_scan_determinismE0ELb0ELb0ES3_N6thrust23THRUST_200600_302600_NS6detail15normal_iteratorINS9_10device_ptrIiEEEESE_iNS9_4plusIvEEiEEDaPvRmT3_T4_T5_mT6_P12ihipStream_tbENKUlT_T0_E_clISt17integral_constantIbLb0EEST_IbLb1EEEEDaSP_SQ_EUlSP_E_NS1_11comp_targetILNS1_3genE3ELNS1_11target_archE908ELNS1_3gpuE7ELNS1_3repE0EEENS1_30default_config_static_selectorELNS0_4arch9wavefront6targetE0EEEvT1_
		.amdhsa_group_segment_fixed_size 0
		.amdhsa_private_segment_fixed_size 0
		.amdhsa_kernarg_size 96
		.amdhsa_user_sgpr_count 2
		.amdhsa_user_sgpr_dispatch_ptr 0
		.amdhsa_user_sgpr_queue_ptr 0
		.amdhsa_user_sgpr_kernarg_segment_ptr 1
		.amdhsa_user_sgpr_dispatch_id 0
		.amdhsa_user_sgpr_kernarg_preload_length 0
		.amdhsa_user_sgpr_kernarg_preload_offset 0
		.amdhsa_user_sgpr_private_segment_size 0
		.amdhsa_wavefront_size32 1
		.amdhsa_uses_dynamic_stack 0
		.amdhsa_enable_private_segment 0
		.amdhsa_system_sgpr_workgroup_id_x 1
		.amdhsa_system_sgpr_workgroup_id_y 0
		.amdhsa_system_sgpr_workgroup_id_z 0
		.amdhsa_system_sgpr_workgroup_info 0
		.amdhsa_system_vgpr_workitem_id 0
		.amdhsa_next_free_vgpr 1
		.amdhsa_next_free_sgpr 1
		.amdhsa_named_barrier_count 0
		.amdhsa_reserve_vcc 0
		.amdhsa_float_round_mode_32 0
		.amdhsa_float_round_mode_16_64 0
		.amdhsa_float_denorm_mode_32 3
		.amdhsa_float_denorm_mode_16_64 3
		.amdhsa_fp16_overflow 0
		.amdhsa_memory_ordered 1
		.amdhsa_forward_progress 1
		.amdhsa_inst_pref_size 0
		.amdhsa_round_robin_scheduling 0
		.amdhsa_exception_fp_ieee_invalid_op 0
		.amdhsa_exception_fp_denorm_src 0
		.amdhsa_exception_fp_ieee_div_zero 0
		.amdhsa_exception_fp_ieee_overflow 0
		.amdhsa_exception_fp_ieee_underflow 0
		.amdhsa_exception_fp_ieee_inexact 0
		.amdhsa_exception_int_div_zero 0
	.end_amdhsa_kernel
	.section	.text._ZN7rocprim17ROCPRIM_400000_NS6detail17trampoline_kernelINS0_14default_configENS1_20scan_config_selectorIiEEZZNS1_9scan_implILNS1_25lookback_scan_determinismE0ELb0ELb0ES3_N6thrust23THRUST_200600_302600_NS6detail15normal_iteratorINS9_10device_ptrIiEEEESE_iNS9_4plusIvEEiEEDaPvRmT3_T4_T5_mT6_P12ihipStream_tbENKUlT_T0_E_clISt17integral_constantIbLb0EEST_IbLb1EEEEDaSP_SQ_EUlSP_E_NS1_11comp_targetILNS1_3genE3ELNS1_11target_archE908ELNS1_3gpuE7ELNS1_3repE0EEENS1_30default_config_static_selectorELNS0_4arch9wavefront6targetE0EEEvT1_,"axG",@progbits,_ZN7rocprim17ROCPRIM_400000_NS6detail17trampoline_kernelINS0_14default_configENS1_20scan_config_selectorIiEEZZNS1_9scan_implILNS1_25lookback_scan_determinismE0ELb0ELb0ES3_N6thrust23THRUST_200600_302600_NS6detail15normal_iteratorINS9_10device_ptrIiEEEESE_iNS9_4plusIvEEiEEDaPvRmT3_T4_T5_mT6_P12ihipStream_tbENKUlT_T0_E_clISt17integral_constantIbLb0EEST_IbLb1EEEEDaSP_SQ_EUlSP_E_NS1_11comp_targetILNS1_3genE3ELNS1_11target_archE908ELNS1_3gpuE7ELNS1_3repE0EEENS1_30default_config_static_selectorELNS0_4arch9wavefront6targetE0EEEvT1_,comdat
.Lfunc_end69:
	.size	_ZN7rocprim17ROCPRIM_400000_NS6detail17trampoline_kernelINS0_14default_configENS1_20scan_config_selectorIiEEZZNS1_9scan_implILNS1_25lookback_scan_determinismE0ELb0ELb0ES3_N6thrust23THRUST_200600_302600_NS6detail15normal_iteratorINS9_10device_ptrIiEEEESE_iNS9_4plusIvEEiEEDaPvRmT3_T4_T5_mT6_P12ihipStream_tbENKUlT_T0_E_clISt17integral_constantIbLb0EEST_IbLb1EEEEDaSP_SQ_EUlSP_E_NS1_11comp_targetILNS1_3genE3ELNS1_11target_archE908ELNS1_3gpuE7ELNS1_3repE0EEENS1_30default_config_static_selectorELNS0_4arch9wavefront6targetE0EEEvT1_, .Lfunc_end69-_ZN7rocprim17ROCPRIM_400000_NS6detail17trampoline_kernelINS0_14default_configENS1_20scan_config_selectorIiEEZZNS1_9scan_implILNS1_25lookback_scan_determinismE0ELb0ELb0ES3_N6thrust23THRUST_200600_302600_NS6detail15normal_iteratorINS9_10device_ptrIiEEEESE_iNS9_4plusIvEEiEEDaPvRmT3_T4_T5_mT6_P12ihipStream_tbENKUlT_T0_E_clISt17integral_constantIbLb0EEST_IbLb1EEEEDaSP_SQ_EUlSP_E_NS1_11comp_targetILNS1_3genE3ELNS1_11target_archE908ELNS1_3gpuE7ELNS1_3repE0EEENS1_30default_config_static_selectorELNS0_4arch9wavefront6targetE0EEEvT1_
                                        ; -- End function
	.set _ZN7rocprim17ROCPRIM_400000_NS6detail17trampoline_kernelINS0_14default_configENS1_20scan_config_selectorIiEEZZNS1_9scan_implILNS1_25lookback_scan_determinismE0ELb0ELb0ES3_N6thrust23THRUST_200600_302600_NS6detail15normal_iteratorINS9_10device_ptrIiEEEESE_iNS9_4plusIvEEiEEDaPvRmT3_T4_T5_mT6_P12ihipStream_tbENKUlT_T0_E_clISt17integral_constantIbLb0EEST_IbLb1EEEEDaSP_SQ_EUlSP_E_NS1_11comp_targetILNS1_3genE3ELNS1_11target_archE908ELNS1_3gpuE7ELNS1_3repE0EEENS1_30default_config_static_selectorELNS0_4arch9wavefront6targetE0EEEvT1_.num_vgpr, 0
	.set _ZN7rocprim17ROCPRIM_400000_NS6detail17trampoline_kernelINS0_14default_configENS1_20scan_config_selectorIiEEZZNS1_9scan_implILNS1_25lookback_scan_determinismE0ELb0ELb0ES3_N6thrust23THRUST_200600_302600_NS6detail15normal_iteratorINS9_10device_ptrIiEEEESE_iNS9_4plusIvEEiEEDaPvRmT3_T4_T5_mT6_P12ihipStream_tbENKUlT_T0_E_clISt17integral_constantIbLb0EEST_IbLb1EEEEDaSP_SQ_EUlSP_E_NS1_11comp_targetILNS1_3genE3ELNS1_11target_archE908ELNS1_3gpuE7ELNS1_3repE0EEENS1_30default_config_static_selectorELNS0_4arch9wavefront6targetE0EEEvT1_.num_agpr, 0
	.set _ZN7rocprim17ROCPRIM_400000_NS6detail17trampoline_kernelINS0_14default_configENS1_20scan_config_selectorIiEEZZNS1_9scan_implILNS1_25lookback_scan_determinismE0ELb0ELb0ES3_N6thrust23THRUST_200600_302600_NS6detail15normal_iteratorINS9_10device_ptrIiEEEESE_iNS9_4plusIvEEiEEDaPvRmT3_T4_T5_mT6_P12ihipStream_tbENKUlT_T0_E_clISt17integral_constantIbLb0EEST_IbLb1EEEEDaSP_SQ_EUlSP_E_NS1_11comp_targetILNS1_3genE3ELNS1_11target_archE908ELNS1_3gpuE7ELNS1_3repE0EEENS1_30default_config_static_selectorELNS0_4arch9wavefront6targetE0EEEvT1_.numbered_sgpr, 0
	.set _ZN7rocprim17ROCPRIM_400000_NS6detail17trampoline_kernelINS0_14default_configENS1_20scan_config_selectorIiEEZZNS1_9scan_implILNS1_25lookback_scan_determinismE0ELb0ELb0ES3_N6thrust23THRUST_200600_302600_NS6detail15normal_iteratorINS9_10device_ptrIiEEEESE_iNS9_4plusIvEEiEEDaPvRmT3_T4_T5_mT6_P12ihipStream_tbENKUlT_T0_E_clISt17integral_constantIbLb0EEST_IbLb1EEEEDaSP_SQ_EUlSP_E_NS1_11comp_targetILNS1_3genE3ELNS1_11target_archE908ELNS1_3gpuE7ELNS1_3repE0EEENS1_30default_config_static_selectorELNS0_4arch9wavefront6targetE0EEEvT1_.num_named_barrier, 0
	.set _ZN7rocprim17ROCPRIM_400000_NS6detail17trampoline_kernelINS0_14default_configENS1_20scan_config_selectorIiEEZZNS1_9scan_implILNS1_25lookback_scan_determinismE0ELb0ELb0ES3_N6thrust23THRUST_200600_302600_NS6detail15normal_iteratorINS9_10device_ptrIiEEEESE_iNS9_4plusIvEEiEEDaPvRmT3_T4_T5_mT6_P12ihipStream_tbENKUlT_T0_E_clISt17integral_constantIbLb0EEST_IbLb1EEEEDaSP_SQ_EUlSP_E_NS1_11comp_targetILNS1_3genE3ELNS1_11target_archE908ELNS1_3gpuE7ELNS1_3repE0EEENS1_30default_config_static_selectorELNS0_4arch9wavefront6targetE0EEEvT1_.private_seg_size, 0
	.set _ZN7rocprim17ROCPRIM_400000_NS6detail17trampoline_kernelINS0_14default_configENS1_20scan_config_selectorIiEEZZNS1_9scan_implILNS1_25lookback_scan_determinismE0ELb0ELb0ES3_N6thrust23THRUST_200600_302600_NS6detail15normal_iteratorINS9_10device_ptrIiEEEESE_iNS9_4plusIvEEiEEDaPvRmT3_T4_T5_mT6_P12ihipStream_tbENKUlT_T0_E_clISt17integral_constantIbLb0EEST_IbLb1EEEEDaSP_SQ_EUlSP_E_NS1_11comp_targetILNS1_3genE3ELNS1_11target_archE908ELNS1_3gpuE7ELNS1_3repE0EEENS1_30default_config_static_selectorELNS0_4arch9wavefront6targetE0EEEvT1_.uses_vcc, 0
	.set _ZN7rocprim17ROCPRIM_400000_NS6detail17trampoline_kernelINS0_14default_configENS1_20scan_config_selectorIiEEZZNS1_9scan_implILNS1_25lookback_scan_determinismE0ELb0ELb0ES3_N6thrust23THRUST_200600_302600_NS6detail15normal_iteratorINS9_10device_ptrIiEEEESE_iNS9_4plusIvEEiEEDaPvRmT3_T4_T5_mT6_P12ihipStream_tbENKUlT_T0_E_clISt17integral_constantIbLb0EEST_IbLb1EEEEDaSP_SQ_EUlSP_E_NS1_11comp_targetILNS1_3genE3ELNS1_11target_archE908ELNS1_3gpuE7ELNS1_3repE0EEENS1_30default_config_static_selectorELNS0_4arch9wavefront6targetE0EEEvT1_.uses_flat_scratch, 0
	.set _ZN7rocprim17ROCPRIM_400000_NS6detail17trampoline_kernelINS0_14default_configENS1_20scan_config_selectorIiEEZZNS1_9scan_implILNS1_25lookback_scan_determinismE0ELb0ELb0ES3_N6thrust23THRUST_200600_302600_NS6detail15normal_iteratorINS9_10device_ptrIiEEEESE_iNS9_4plusIvEEiEEDaPvRmT3_T4_T5_mT6_P12ihipStream_tbENKUlT_T0_E_clISt17integral_constantIbLb0EEST_IbLb1EEEEDaSP_SQ_EUlSP_E_NS1_11comp_targetILNS1_3genE3ELNS1_11target_archE908ELNS1_3gpuE7ELNS1_3repE0EEENS1_30default_config_static_selectorELNS0_4arch9wavefront6targetE0EEEvT1_.has_dyn_sized_stack, 0
	.set _ZN7rocprim17ROCPRIM_400000_NS6detail17trampoline_kernelINS0_14default_configENS1_20scan_config_selectorIiEEZZNS1_9scan_implILNS1_25lookback_scan_determinismE0ELb0ELb0ES3_N6thrust23THRUST_200600_302600_NS6detail15normal_iteratorINS9_10device_ptrIiEEEESE_iNS9_4plusIvEEiEEDaPvRmT3_T4_T5_mT6_P12ihipStream_tbENKUlT_T0_E_clISt17integral_constantIbLb0EEST_IbLb1EEEEDaSP_SQ_EUlSP_E_NS1_11comp_targetILNS1_3genE3ELNS1_11target_archE908ELNS1_3gpuE7ELNS1_3repE0EEENS1_30default_config_static_selectorELNS0_4arch9wavefront6targetE0EEEvT1_.has_recursion, 0
	.set _ZN7rocprim17ROCPRIM_400000_NS6detail17trampoline_kernelINS0_14default_configENS1_20scan_config_selectorIiEEZZNS1_9scan_implILNS1_25lookback_scan_determinismE0ELb0ELb0ES3_N6thrust23THRUST_200600_302600_NS6detail15normal_iteratorINS9_10device_ptrIiEEEESE_iNS9_4plusIvEEiEEDaPvRmT3_T4_T5_mT6_P12ihipStream_tbENKUlT_T0_E_clISt17integral_constantIbLb0EEST_IbLb1EEEEDaSP_SQ_EUlSP_E_NS1_11comp_targetILNS1_3genE3ELNS1_11target_archE908ELNS1_3gpuE7ELNS1_3repE0EEENS1_30default_config_static_selectorELNS0_4arch9wavefront6targetE0EEEvT1_.has_indirect_call, 0
	.section	.AMDGPU.csdata,"",@progbits
; Kernel info:
; codeLenInByte = 0
; TotalNumSgprs: 0
; NumVgprs: 0
; ScratchSize: 0
; MemoryBound: 0
; FloatMode: 240
; IeeeMode: 1
; LDSByteSize: 0 bytes/workgroup (compile time only)
; SGPRBlocks: 0
; VGPRBlocks: 0
; NumSGPRsForWavesPerEU: 1
; NumVGPRsForWavesPerEU: 1
; NamedBarCnt: 0
; Occupancy: 16
; WaveLimiterHint : 0
; COMPUTE_PGM_RSRC2:SCRATCH_EN: 0
; COMPUTE_PGM_RSRC2:USER_SGPR: 2
; COMPUTE_PGM_RSRC2:TRAP_HANDLER: 0
; COMPUTE_PGM_RSRC2:TGID_X_EN: 1
; COMPUTE_PGM_RSRC2:TGID_Y_EN: 0
; COMPUTE_PGM_RSRC2:TGID_Z_EN: 0
; COMPUTE_PGM_RSRC2:TIDIG_COMP_CNT: 0
	.section	.text._ZN7rocprim17ROCPRIM_400000_NS6detail17trampoline_kernelINS0_14default_configENS1_20scan_config_selectorIiEEZZNS1_9scan_implILNS1_25lookback_scan_determinismE0ELb0ELb0ES3_N6thrust23THRUST_200600_302600_NS6detail15normal_iteratorINS9_10device_ptrIiEEEESE_iNS9_4plusIvEEiEEDaPvRmT3_T4_T5_mT6_P12ihipStream_tbENKUlT_T0_E_clISt17integral_constantIbLb0EEST_IbLb1EEEEDaSP_SQ_EUlSP_E_NS1_11comp_targetILNS1_3genE2ELNS1_11target_archE906ELNS1_3gpuE6ELNS1_3repE0EEENS1_30default_config_static_selectorELNS0_4arch9wavefront6targetE0EEEvT1_,"axG",@progbits,_ZN7rocprim17ROCPRIM_400000_NS6detail17trampoline_kernelINS0_14default_configENS1_20scan_config_selectorIiEEZZNS1_9scan_implILNS1_25lookback_scan_determinismE0ELb0ELb0ES3_N6thrust23THRUST_200600_302600_NS6detail15normal_iteratorINS9_10device_ptrIiEEEESE_iNS9_4plusIvEEiEEDaPvRmT3_T4_T5_mT6_P12ihipStream_tbENKUlT_T0_E_clISt17integral_constantIbLb0EEST_IbLb1EEEEDaSP_SQ_EUlSP_E_NS1_11comp_targetILNS1_3genE2ELNS1_11target_archE906ELNS1_3gpuE6ELNS1_3repE0EEENS1_30default_config_static_selectorELNS0_4arch9wavefront6targetE0EEEvT1_,comdat
	.protected	_ZN7rocprim17ROCPRIM_400000_NS6detail17trampoline_kernelINS0_14default_configENS1_20scan_config_selectorIiEEZZNS1_9scan_implILNS1_25lookback_scan_determinismE0ELb0ELb0ES3_N6thrust23THRUST_200600_302600_NS6detail15normal_iteratorINS9_10device_ptrIiEEEESE_iNS9_4plusIvEEiEEDaPvRmT3_T4_T5_mT6_P12ihipStream_tbENKUlT_T0_E_clISt17integral_constantIbLb0EEST_IbLb1EEEEDaSP_SQ_EUlSP_E_NS1_11comp_targetILNS1_3genE2ELNS1_11target_archE906ELNS1_3gpuE6ELNS1_3repE0EEENS1_30default_config_static_selectorELNS0_4arch9wavefront6targetE0EEEvT1_ ; -- Begin function _ZN7rocprim17ROCPRIM_400000_NS6detail17trampoline_kernelINS0_14default_configENS1_20scan_config_selectorIiEEZZNS1_9scan_implILNS1_25lookback_scan_determinismE0ELb0ELb0ES3_N6thrust23THRUST_200600_302600_NS6detail15normal_iteratorINS9_10device_ptrIiEEEESE_iNS9_4plusIvEEiEEDaPvRmT3_T4_T5_mT6_P12ihipStream_tbENKUlT_T0_E_clISt17integral_constantIbLb0EEST_IbLb1EEEEDaSP_SQ_EUlSP_E_NS1_11comp_targetILNS1_3genE2ELNS1_11target_archE906ELNS1_3gpuE6ELNS1_3repE0EEENS1_30default_config_static_selectorELNS0_4arch9wavefront6targetE0EEEvT1_
	.globl	_ZN7rocprim17ROCPRIM_400000_NS6detail17trampoline_kernelINS0_14default_configENS1_20scan_config_selectorIiEEZZNS1_9scan_implILNS1_25lookback_scan_determinismE0ELb0ELb0ES3_N6thrust23THRUST_200600_302600_NS6detail15normal_iteratorINS9_10device_ptrIiEEEESE_iNS9_4plusIvEEiEEDaPvRmT3_T4_T5_mT6_P12ihipStream_tbENKUlT_T0_E_clISt17integral_constantIbLb0EEST_IbLb1EEEEDaSP_SQ_EUlSP_E_NS1_11comp_targetILNS1_3genE2ELNS1_11target_archE906ELNS1_3gpuE6ELNS1_3repE0EEENS1_30default_config_static_selectorELNS0_4arch9wavefront6targetE0EEEvT1_
	.p2align	8
	.type	_ZN7rocprim17ROCPRIM_400000_NS6detail17trampoline_kernelINS0_14default_configENS1_20scan_config_selectorIiEEZZNS1_9scan_implILNS1_25lookback_scan_determinismE0ELb0ELb0ES3_N6thrust23THRUST_200600_302600_NS6detail15normal_iteratorINS9_10device_ptrIiEEEESE_iNS9_4plusIvEEiEEDaPvRmT3_T4_T5_mT6_P12ihipStream_tbENKUlT_T0_E_clISt17integral_constantIbLb0EEST_IbLb1EEEEDaSP_SQ_EUlSP_E_NS1_11comp_targetILNS1_3genE2ELNS1_11target_archE906ELNS1_3gpuE6ELNS1_3repE0EEENS1_30default_config_static_selectorELNS0_4arch9wavefront6targetE0EEEvT1_,@function
_ZN7rocprim17ROCPRIM_400000_NS6detail17trampoline_kernelINS0_14default_configENS1_20scan_config_selectorIiEEZZNS1_9scan_implILNS1_25lookback_scan_determinismE0ELb0ELb0ES3_N6thrust23THRUST_200600_302600_NS6detail15normal_iteratorINS9_10device_ptrIiEEEESE_iNS9_4plusIvEEiEEDaPvRmT3_T4_T5_mT6_P12ihipStream_tbENKUlT_T0_E_clISt17integral_constantIbLb0EEST_IbLb1EEEEDaSP_SQ_EUlSP_E_NS1_11comp_targetILNS1_3genE2ELNS1_11target_archE906ELNS1_3gpuE6ELNS1_3repE0EEENS1_30default_config_static_selectorELNS0_4arch9wavefront6targetE0EEEvT1_: ; @_ZN7rocprim17ROCPRIM_400000_NS6detail17trampoline_kernelINS0_14default_configENS1_20scan_config_selectorIiEEZZNS1_9scan_implILNS1_25lookback_scan_determinismE0ELb0ELb0ES3_N6thrust23THRUST_200600_302600_NS6detail15normal_iteratorINS9_10device_ptrIiEEEESE_iNS9_4plusIvEEiEEDaPvRmT3_T4_T5_mT6_P12ihipStream_tbENKUlT_T0_E_clISt17integral_constantIbLb0EEST_IbLb1EEEEDaSP_SQ_EUlSP_E_NS1_11comp_targetILNS1_3genE2ELNS1_11target_archE906ELNS1_3gpuE6ELNS1_3repE0EEENS1_30default_config_static_selectorELNS0_4arch9wavefront6targetE0EEEvT1_
; %bb.0:
	.section	.rodata,"a",@progbits
	.p2align	6, 0x0
	.amdhsa_kernel _ZN7rocprim17ROCPRIM_400000_NS6detail17trampoline_kernelINS0_14default_configENS1_20scan_config_selectorIiEEZZNS1_9scan_implILNS1_25lookback_scan_determinismE0ELb0ELb0ES3_N6thrust23THRUST_200600_302600_NS6detail15normal_iteratorINS9_10device_ptrIiEEEESE_iNS9_4plusIvEEiEEDaPvRmT3_T4_T5_mT6_P12ihipStream_tbENKUlT_T0_E_clISt17integral_constantIbLb0EEST_IbLb1EEEEDaSP_SQ_EUlSP_E_NS1_11comp_targetILNS1_3genE2ELNS1_11target_archE906ELNS1_3gpuE6ELNS1_3repE0EEENS1_30default_config_static_selectorELNS0_4arch9wavefront6targetE0EEEvT1_
		.amdhsa_group_segment_fixed_size 0
		.amdhsa_private_segment_fixed_size 0
		.amdhsa_kernarg_size 96
		.amdhsa_user_sgpr_count 2
		.amdhsa_user_sgpr_dispatch_ptr 0
		.amdhsa_user_sgpr_queue_ptr 0
		.amdhsa_user_sgpr_kernarg_segment_ptr 1
		.amdhsa_user_sgpr_dispatch_id 0
		.amdhsa_user_sgpr_kernarg_preload_length 0
		.amdhsa_user_sgpr_kernarg_preload_offset 0
		.amdhsa_user_sgpr_private_segment_size 0
		.amdhsa_wavefront_size32 1
		.amdhsa_uses_dynamic_stack 0
		.amdhsa_enable_private_segment 0
		.amdhsa_system_sgpr_workgroup_id_x 1
		.amdhsa_system_sgpr_workgroup_id_y 0
		.amdhsa_system_sgpr_workgroup_id_z 0
		.amdhsa_system_sgpr_workgroup_info 0
		.amdhsa_system_vgpr_workitem_id 0
		.amdhsa_next_free_vgpr 1
		.amdhsa_next_free_sgpr 1
		.amdhsa_named_barrier_count 0
		.amdhsa_reserve_vcc 0
		.amdhsa_float_round_mode_32 0
		.amdhsa_float_round_mode_16_64 0
		.amdhsa_float_denorm_mode_32 3
		.amdhsa_float_denorm_mode_16_64 3
		.amdhsa_fp16_overflow 0
		.amdhsa_memory_ordered 1
		.amdhsa_forward_progress 1
		.amdhsa_inst_pref_size 0
		.amdhsa_round_robin_scheduling 0
		.amdhsa_exception_fp_ieee_invalid_op 0
		.amdhsa_exception_fp_denorm_src 0
		.amdhsa_exception_fp_ieee_div_zero 0
		.amdhsa_exception_fp_ieee_overflow 0
		.amdhsa_exception_fp_ieee_underflow 0
		.amdhsa_exception_fp_ieee_inexact 0
		.amdhsa_exception_int_div_zero 0
	.end_amdhsa_kernel
	.section	.text._ZN7rocprim17ROCPRIM_400000_NS6detail17trampoline_kernelINS0_14default_configENS1_20scan_config_selectorIiEEZZNS1_9scan_implILNS1_25lookback_scan_determinismE0ELb0ELb0ES3_N6thrust23THRUST_200600_302600_NS6detail15normal_iteratorINS9_10device_ptrIiEEEESE_iNS9_4plusIvEEiEEDaPvRmT3_T4_T5_mT6_P12ihipStream_tbENKUlT_T0_E_clISt17integral_constantIbLb0EEST_IbLb1EEEEDaSP_SQ_EUlSP_E_NS1_11comp_targetILNS1_3genE2ELNS1_11target_archE906ELNS1_3gpuE6ELNS1_3repE0EEENS1_30default_config_static_selectorELNS0_4arch9wavefront6targetE0EEEvT1_,"axG",@progbits,_ZN7rocprim17ROCPRIM_400000_NS6detail17trampoline_kernelINS0_14default_configENS1_20scan_config_selectorIiEEZZNS1_9scan_implILNS1_25lookback_scan_determinismE0ELb0ELb0ES3_N6thrust23THRUST_200600_302600_NS6detail15normal_iteratorINS9_10device_ptrIiEEEESE_iNS9_4plusIvEEiEEDaPvRmT3_T4_T5_mT6_P12ihipStream_tbENKUlT_T0_E_clISt17integral_constantIbLb0EEST_IbLb1EEEEDaSP_SQ_EUlSP_E_NS1_11comp_targetILNS1_3genE2ELNS1_11target_archE906ELNS1_3gpuE6ELNS1_3repE0EEENS1_30default_config_static_selectorELNS0_4arch9wavefront6targetE0EEEvT1_,comdat
.Lfunc_end70:
	.size	_ZN7rocprim17ROCPRIM_400000_NS6detail17trampoline_kernelINS0_14default_configENS1_20scan_config_selectorIiEEZZNS1_9scan_implILNS1_25lookback_scan_determinismE0ELb0ELb0ES3_N6thrust23THRUST_200600_302600_NS6detail15normal_iteratorINS9_10device_ptrIiEEEESE_iNS9_4plusIvEEiEEDaPvRmT3_T4_T5_mT6_P12ihipStream_tbENKUlT_T0_E_clISt17integral_constantIbLb0EEST_IbLb1EEEEDaSP_SQ_EUlSP_E_NS1_11comp_targetILNS1_3genE2ELNS1_11target_archE906ELNS1_3gpuE6ELNS1_3repE0EEENS1_30default_config_static_selectorELNS0_4arch9wavefront6targetE0EEEvT1_, .Lfunc_end70-_ZN7rocprim17ROCPRIM_400000_NS6detail17trampoline_kernelINS0_14default_configENS1_20scan_config_selectorIiEEZZNS1_9scan_implILNS1_25lookback_scan_determinismE0ELb0ELb0ES3_N6thrust23THRUST_200600_302600_NS6detail15normal_iteratorINS9_10device_ptrIiEEEESE_iNS9_4plusIvEEiEEDaPvRmT3_T4_T5_mT6_P12ihipStream_tbENKUlT_T0_E_clISt17integral_constantIbLb0EEST_IbLb1EEEEDaSP_SQ_EUlSP_E_NS1_11comp_targetILNS1_3genE2ELNS1_11target_archE906ELNS1_3gpuE6ELNS1_3repE0EEENS1_30default_config_static_selectorELNS0_4arch9wavefront6targetE0EEEvT1_
                                        ; -- End function
	.set _ZN7rocprim17ROCPRIM_400000_NS6detail17trampoline_kernelINS0_14default_configENS1_20scan_config_selectorIiEEZZNS1_9scan_implILNS1_25lookback_scan_determinismE0ELb0ELb0ES3_N6thrust23THRUST_200600_302600_NS6detail15normal_iteratorINS9_10device_ptrIiEEEESE_iNS9_4plusIvEEiEEDaPvRmT3_T4_T5_mT6_P12ihipStream_tbENKUlT_T0_E_clISt17integral_constantIbLb0EEST_IbLb1EEEEDaSP_SQ_EUlSP_E_NS1_11comp_targetILNS1_3genE2ELNS1_11target_archE906ELNS1_3gpuE6ELNS1_3repE0EEENS1_30default_config_static_selectorELNS0_4arch9wavefront6targetE0EEEvT1_.num_vgpr, 0
	.set _ZN7rocprim17ROCPRIM_400000_NS6detail17trampoline_kernelINS0_14default_configENS1_20scan_config_selectorIiEEZZNS1_9scan_implILNS1_25lookback_scan_determinismE0ELb0ELb0ES3_N6thrust23THRUST_200600_302600_NS6detail15normal_iteratorINS9_10device_ptrIiEEEESE_iNS9_4plusIvEEiEEDaPvRmT3_T4_T5_mT6_P12ihipStream_tbENKUlT_T0_E_clISt17integral_constantIbLb0EEST_IbLb1EEEEDaSP_SQ_EUlSP_E_NS1_11comp_targetILNS1_3genE2ELNS1_11target_archE906ELNS1_3gpuE6ELNS1_3repE0EEENS1_30default_config_static_selectorELNS0_4arch9wavefront6targetE0EEEvT1_.num_agpr, 0
	.set _ZN7rocprim17ROCPRIM_400000_NS6detail17trampoline_kernelINS0_14default_configENS1_20scan_config_selectorIiEEZZNS1_9scan_implILNS1_25lookback_scan_determinismE0ELb0ELb0ES3_N6thrust23THRUST_200600_302600_NS6detail15normal_iteratorINS9_10device_ptrIiEEEESE_iNS9_4plusIvEEiEEDaPvRmT3_T4_T5_mT6_P12ihipStream_tbENKUlT_T0_E_clISt17integral_constantIbLb0EEST_IbLb1EEEEDaSP_SQ_EUlSP_E_NS1_11comp_targetILNS1_3genE2ELNS1_11target_archE906ELNS1_3gpuE6ELNS1_3repE0EEENS1_30default_config_static_selectorELNS0_4arch9wavefront6targetE0EEEvT1_.numbered_sgpr, 0
	.set _ZN7rocprim17ROCPRIM_400000_NS6detail17trampoline_kernelINS0_14default_configENS1_20scan_config_selectorIiEEZZNS1_9scan_implILNS1_25lookback_scan_determinismE0ELb0ELb0ES3_N6thrust23THRUST_200600_302600_NS6detail15normal_iteratorINS9_10device_ptrIiEEEESE_iNS9_4plusIvEEiEEDaPvRmT3_T4_T5_mT6_P12ihipStream_tbENKUlT_T0_E_clISt17integral_constantIbLb0EEST_IbLb1EEEEDaSP_SQ_EUlSP_E_NS1_11comp_targetILNS1_3genE2ELNS1_11target_archE906ELNS1_3gpuE6ELNS1_3repE0EEENS1_30default_config_static_selectorELNS0_4arch9wavefront6targetE0EEEvT1_.num_named_barrier, 0
	.set _ZN7rocprim17ROCPRIM_400000_NS6detail17trampoline_kernelINS0_14default_configENS1_20scan_config_selectorIiEEZZNS1_9scan_implILNS1_25lookback_scan_determinismE0ELb0ELb0ES3_N6thrust23THRUST_200600_302600_NS6detail15normal_iteratorINS9_10device_ptrIiEEEESE_iNS9_4plusIvEEiEEDaPvRmT3_T4_T5_mT6_P12ihipStream_tbENKUlT_T0_E_clISt17integral_constantIbLb0EEST_IbLb1EEEEDaSP_SQ_EUlSP_E_NS1_11comp_targetILNS1_3genE2ELNS1_11target_archE906ELNS1_3gpuE6ELNS1_3repE0EEENS1_30default_config_static_selectorELNS0_4arch9wavefront6targetE0EEEvT1_.private_seg_size, 0
	.set _ZN7rocprim17ROCPRIM_400000_NS6detail17trampoline_kernelINS0_14default_configENS1_20scan_config_selectorIiEEZZNS1_9scan_implILNS1_25lookback_scan_determinismE0ELb0ELb0ES3_N6thrust23THRUST_200600_302600_NS6detail15normal_iteratorINS9_10device_ptrIiEEEESE_iNS9_4plusIvEEiEEDaPvRmT3_T4_T5_mT6_P12ihipStream_tbENKUlT_T0_E_clISt17integral_constantIbLb0EEST_IbLb1EEEEDaSP_SQ_EUlSP_E_NS1_11comp_targetILNS1_3genE2ELNS1_11target_archE906ELNS1_3gpuE6ELNS1_3repE0EEENS1_30default_config_static_selectorELNS0_4arch9wavefront6targetE0EEEvT1_.uses_vcc, 0
	.set _ZN7rocprim17ROCPRIM_400000_NS6detail17trampoline_kernelINS0_14default_configENS1_20scan_config_selectorIiEEZZNS1_9scan_implILNS1_25lookback_scan_determinismE0ELb0ELb0ES3_N6thrust23THRUST_200600_302600_NS6detail15normal_iteratorINS9_10device_ptrIiEEEESE_iNS9_4plusIvEEiEEDaPvRmT3_T4_T5_mT6_P12ihipStream_tbENKUlT_T0_E_clISt17integral_constantIbLb0EEST_IbLb1EEEEDaSP_SQ_EUlSP_E_NS1_11comp_targetILNS1_3genE2ELNS1_11target_archE906ELNS1_3gpuE6ELNS1_3repE0EEENS1_30default_config_static_selectorELNS0_4arch9wavefront6targetE0EEEvT1_.uses_flat_scratch, 0
	.set _ZN7rocprim17ROCPRIM_400000_NS6detail17trampoline_kernelINS0_14default_configENS1_20scan_config_selectorIiEEZZNS1_9scan_implILNS1_25lookback_scan_determinismE0ELb0ELb0ES3_N6thrust23THRUST_200600_302600_NS6detail15normal_iteratorINS9_10device_ptrIiEEEESE_iNS9_4plusIvEEiEEDaPvRmT3_T4_T5_mT6_P12ihipStream_tbENKUlT_T0_E_clISt17integral_constantIbLb0EEST_IbLb1EEEEDaSP_SQ_EUlSP_E_NS1_11comp_targetILNS1_3genE2ELNS1_11target_archE906ELNS1_3gpuE6ELNS1_3repE0EEENS1_30default_config_static_selectorELNS0_4arch9wavefront6targetE0EEEvT1_.has_dyn_sized_stack, 0
	.set _ZN7rocprim17ROCPRIM_400000_NS6detail17trampoline_kernelINS0_14default_configENS1_20scan_config_selectorIiEEZZNS1_9scan_implILNS1_25lookback_scan_determinismE0ELb0ELb0ES3_N6thrust23THRUST_200600_302600_NS6detail15normal_iteratorINS9_10device_ptrIiEEEESE_iNS9_4plusIvEEiEEDaPvRmT3_T4_T5_mT6_P12ihipStream_tbENKUlT_T0_E_clISt17integral_constantIbLb0EEST_IbLb1EEEEDaSP_SQ_EUlSP_E_NS1_11comp_targetILNS1_3genE2ELNS1_11target_archE906ELNS1_3gpuE6ELNS1_3repE0EEENS1_30default_config_static_selectorELNS0_4arch9wavefront6targetE0EEEvT1_.has_recursion, 0
	.set _ZN7rocprim17ROCPRIM_400000_NS6detail17trampoline_kernelINS0_14default_configENS1_20scan_config_selectorIiEEZZNS1_9scan_implILNS1_25lookback_scan_determinismE0ELb0ELb0ES3_N6thrust23THRUST_200600_302600_NS6detail15normal_iteratorINS9_10device_ptrIiEEEESE_iNS9_4plusIvEEiEEDaPvRmT3_T4_T5_mT6_P12ihipStream_tbENKUlT_T0_E_clISt17integral_constantIbLb0EEST_IbLb1EEEEDaSP_SQ_EUlSP_E_NS1_11comp_targetILNS1_3genE2ELNS1_11target_archE906ELNS1_3gpuE6ELNS1_3repE0EEENS1_30default_config_static_selectorELNS0_4arch9wavefront6targetE0EEEvT1_.has_indirect_call, 0
	.section	.AMDGPU.csdata,"",@progbits
; Kernel info:
; codeLenInByte = 0
; TotalNumSgprs: 0
; NumVgprs: 0
; ScratchSize: 0
; MemoryBound: 0
; FloatMode: 240
; IeeeMode: 1
; LDSByteSize: 0 bytes/workgroup (compile time only)
; SGPRBlocks: 0
; VGPRBlocks: 0
; NumSGPRsForWavesPerEU: 1
; NumVGPRsForWavesPerEU: 1
; NamedBarCnt: 0
; Occupancy: 16
; WaveLimiterHint : 0
; COMPUTE_PGM_RSRC2:SCRATCH_EN: 0
; COMPUTE_PGM_RSRC2:USER_SGPR: 2
; COMPUTE_PGM_RSRC2:TRAP_HANDLER: 0
; COMPUTE_PGM_RSRC2:TGID_X_EN: 1
; COMPUTE_PGM_RSRC2:TGID_Y_EN: 0
; COMPUTE_PGM_RSRC2:TGID_Z_EN: 0
; COMPUTE_PGM_RSRC2:TIDIG_COMP_CNT: 0
	.section	.text._ZN7rocprim17ROCPRIM_400000_NS6detail17trampoline_kernelINS0_14default_configENS1_20scan_config_selectorIiEEZZNS1_9scan_implILNS1_25lookback_scan_determinismE0ELb0ELb0ES3_N6thrust23THRUST_200600_302600_NS6detail15normal_iteratorINS9_10device_ptrIiEEEESE_iNS9_4plusIvEEiEEDaPvRmT3_T4_T5_mT6_P12ihipStream_tbENKUlT_T0_E_clISt17integral_constantIbLb0EEST_IbLb1EEEEDaSP_SQ_EUlSP_E_NS1_11comp_targetILNS1_3genE10ELNS1_11target_archE1201ELNS1_3gpuE5ELNS1_3repE0EEENS1_30default_config_static_selectorELNS0_4arch9wavefront6targetE0EEEvT1_,"axG",@progbits,_ZN7rocprim17ROCPRIM_400000_NS6detail17trampoline_kernelINS0_14default_configENS1_20scan_config_selectorIiEEZZNS1_9scan_implILNS1_25lookback_scan_determinismE0ELb0ELb0ES3_N6thrust23THRUST_200600_302600_NS6detail15normal_iteratorINS9_10device_ptrIiEEEESE_iNS9_4plusIvEEiEEDaPvRmT3_T4_T5_mT6_P12ihipStream_tbENKUlT_T0_E_clISt17integral_constantIbLb0EEST_IbLb1EEEEDaSP_SQ_EUlSP_E_NS1_11comp_targetILNS1_3genE10ELNS1_11target_archE1201ELNS1_3gpuE5ELNS1_3repE0EEENS1_30default_config_static_selectorELNS0_4arch9wavefront6targetE0EEEvT1_,comdat
	.protected	_ZN7rocprim17ROCPRIM_400000_NS6detail17trampoline_kernelINS0_14default_configENS1_20scan_config_selectorIiEEZZNS1_9scan_implILNS1_25lookback_scan_determinismE0ELb0ELb0ES3_N6thrust23THRUST_200600_302600_NS6detail15normal_iteratorINS9_10device_ptrIiEEEESE_iNS9_4plusIvEEiEEDaPvRmT3_T4_T5_mT6_P12ihipStream_tbENKUlT_T0_E_clISt17integral_constantIbLb0EEST_IbLb1EEEEDaSP_SQ_EUlSP_E_NS1_11comp_targetILNS1_3genE10ELNS1_11target_archE1201ELNS1_3gpuE5ELNS1_3repE0EEENS1_30default_config_static_selectorELNS0_4arch9wavefront6targetE0EEEvT1_ ; -- Begin function _ZN7rocprim17ROCPRIM_400000_NS6detail17trampoline_kernelINS0_14default_configENS1_20scan_config_selectorIiEEZZNS1_9scan_implILNS1_25lookback_scan_determinismE0ELb0ELb0ES3_N6thrust23THRUST_200600_302600_NS6detail15normal_iteratorINS9_10device_ptrIiEEEESE_iNS9_4plusIvEEiEEDaPvRmT3_T4_T5_mT6_P12ihipStream_tbENKUlT_T0_E_clISt17integral_constantIbLb0EEST_IbLb1EEEEDaSP_SQ_EUlSP_E_NS1_11comp_targetILNS1_3genE10ELNS1_11target_archE1201ELNS1_3gpuE5ELNS1_3repE0EEENS1_30default_config_static_selectorELNS0_4arch9wavefront6targetE0EEEvT1_
	.globl	_ZN7rocprim17ROCPRIM_400000_NS6detail17trampoline_kernelINS0_14default_configENS1_20scan_config_selectorIiEEZZNS1_9scan_implILNS1_25lookback_scan_determinismE0ELb0ELb0ES3_N6thrust23THRUST_200600_302600_NS6detail15normal_iteratorINS9_10device_ptrIiEEEESE_iNS9_4plusIvEEiEEDaPvRmT3_T4_T5_mT6_P12ihipStream_tbENKUlT_T0_E_clISt17integral_constantIbLb0EEST_IbLb1EEEEDaSP_SQ_EUlSP_E_NS1_11comp_targetILNS1_3genE10ELNS1_11target_archE1201ELNS1_3gpuE5ELNS1_3repE0EEENS1_30default_config_static_selectorELNS0_4arch9wavefront6targetE0EEEvT1_
	.p2align	8
	.type	_ZN7rocprim17ROCPRIM_400000_NS6detail17trampoline_kernelINS0_14default_configENS1_20scan_config_selectorIiEEZZNS1_9scan_implILNS1_25lookback_scan_determinismE0ELb0ELb0ES3_N6thrust23THRUST_200600_302600_NS6detail15normal_iteratorINS9_10device_ptrIiEEEESE_iNS9_4plusIvEEiEEDaPvRmT3_T4_T5_mT6_P12ihipStream_tbENKUlT_T0_E_clISt17integral_constantIbLb0EEST_IbLb1EEEEDaSP_SQ_EUlSP_E_NS1_11comp_targetILNS1_3genE10ELNS1_11target_archE1201ELNS1_3gpuE5ELNS1_3repE0EEENS1_30default_config_static_selectorELNS0_4arch9wavefront6targetE0EEEvT1_,@function
_ZN7rocprim17ROCPRIM_400000_NS6detail17trampoline_kernelINS0_14default_configENS1_20scan_config_selectorIiEEZZNS1_9scan_implILNS1_25lookback_scan_determinismE0ELb0ELb0ES3_N6thrust23THRUST_200600_302600_NS6detail15normal_iteratorINS9_10device_ptrIiEEEESE_iNS9_4plusIvEEiEEDaPvRmT3_T4_T5_mT6_P12ihipStream_tbENKUlT_T0_E_clISt17integral_constantIbLb0EEST_IbLb1EEEEDaSP_SQ_EUlSP_E_NS1_11comp_targetILNS1_3genE10ELNS1_11target_archE1201ELNS1_3gpuE5ELNS1_3repE0EEENS1_30default_config_static_selectorELNS0_4arch9wavefront6targetE0EEEvT1_: ; @_ZN7rocprim17ROCPRIM_400000_NS6detail17trampoline_kernelINS0_14default_configENS1_20scan_config_selectorIiEEZZNS1_9scan_implILNS1_25lookback_scan_determinismE0ELb0ELb0ES3_N6thrust23THRUST_200600_302600_NS6detail15normal_iteratorINS9_10device_ptrIiEEEESE_iNS9_4plusIvEEiEEDaPvRmT3_T4_T5_mT6_P12ihipStream_tbENKUlT_T0_E_clISt17integral_constantIbLb0EEST_IbLb1EEEEDaSP_SQ_EUlSP_E_NS1_11comp_targetILNS1_3genE10ELNS1_11target_archE1201ELNS1_3gpuE5ELNS1_3repE0EEENS1_30default_config_static_selectorELNS0_4arch9wavefront6targetE0EEEvT1_
; %bb.0:
	.section	.rodata,"a",@progbits
	.p2align	6, 0x0
	.amdhsa_kernel _ZN7rocprim17ROCPRIM_400000_NS6detail17trampoline_kernelINS0_14default_configENS1_20scan_config_selectorIiEEZZNS1_9scan_implILNS1_25lookback_scan_determinismE0ELb0ELb0ES3_N6thrust23THRUST_200600_302600_NS6detail15normal_iteratorINS9_10device_ptrIiEEEESE_iNS9_4plusIvEEiEEDaPvRmT3_T4_T5_mT6_P12ihipStream_tbENKUlT_T0_E_clISt17integral_constantIbLb0EEST_IbLb1EEEEDaSP_SQ_EUlSP_E_NS1_11comp_targetILNS1_3genE10ELNS1_11target_archE1201ELNS1_3gpuE5ELNS1_3repE0EEENS1_30default_config_static_selectorELNS0_4arch9wavefront6targetE0EEEvT1_
		.amdhsa_group_segment_fixed_size 0
		.amdhsa_private_segment_fixed_size 0
		.amdhsa_kernarg_size 96
		.amdhsa_user_sgpr_count 2
		.amdhsa_user_sgpr_dispatch_ptr 0
		.amdhsa_user_sgpr_queue_ptr 0
		.amdhsa_user_sgpr_kernarg_segment_ptr 1
		.amdhsa_user_sgpr_dispatch_id 0
		.amdhsa_user_sgpr_kernarg_preload_length 0
		.amdhsa_user_sgpr_kernarg_preload_offset 0
		.amdhsa_user_sgpr_private_segment_size 0
		.amdhsa_wavefront_size32 1
		.amdhsa_uses_dynamic_stack 0
		.amdhsa_enable_private_segment 0
		.amdhsa_system_sgpr_workgroup_id_x 1
		.amdhsa_system_sgpr_workgroup_id_y 0
		.amdhsa_system_sgpr_workgroup_id_z 0
		.amdhsa_system_sgpr_workgroup_info 0
		.amdhsa_system_vgpr_workitem_id 0
		.amdhsa_next_free_vgpr 1
		.amdhsa_next_free_sgpr 1
		.amdhsa_named_barrier_count 0
		.amdhsa_reserve_vcc 0
		.amdhsa_float_round_mode_32 0
		.amdhsa_float_round_mode_16_64 0
		.amdhsa_float_denorm_mode_32 3
		.amdhsa_float_denorm_mode_16_64 3
		.amdhsa_fp16_overflow 0
		.amdhsa_memory_ordered 1
		.amdhsa_forward_progress 1
		.amdhsa_inst_pref_size 0
		.amdhsa_round_robin_scheduling 0
		.amdhsa_exception_fp_ieee_invalid_op 0
		.amdhsa_exception_fp_denorm_src 0
		.amdhsa_exception_fp_ieee_div_zero 0
		.amdhsa_exception_fp_ieee_overflow 0
		.amdhsa_exception_fp_ieee_underflow 0
		.amdhsa_exception_fp_ieee_inexact 0
		.amdhsa_exception_int_div_zero 0
	.end_amdhsa_kernel
	.section	.text._ZN7rocprim17ROCPRIM_400000_NS6detail17trampoline_kernelINS0_14default_configENS1_20scan_config_selectorIiEEZZNS1_9scan_implILNS1_25lookback_scan_determinismE0ELb0ELb0ES3_N6thrust23THRUST_200600_302600_NS6detail15normal_iteratorINS9_10device_ptrIiEEEESE_iNS9_4plusIvEEiEEDaPvRmT3_T4_T5_mT6_P12ihipStream_tbENKUlT_T0_E_clISt17integral_constantIbLb0EEST_IbLb1EEEEDaSP_SQ_EUlSP_E_NS1_11comp_targetILNS1_3genE10ELNS1_11target_archE1201ELNS1_3gpuE5ELNS1_3repE0EEENS1_30default_config_static_selectorELNS0_4arch9wavefront6targetE0EEEvT1_,"axG",@progbits,_ZN7rocprim17ROCPRIM_400000_NS6detail17trampoline_kernelINS0_14default_configENS1_20scan_config_selectorIiEEZZNS1_9scan_implILNS1_25lookback_scan_determinismE0ELb0ELb0ES3_N6thrust23THRUST_200600_302600_NS6detail15normal_iteratorINS9_10device_ptrIiEEEESE_iNS9_4plusIvEEiEEDaPvRmT3_T4_T5_mT6_P12ihipStream_tbENKUlT_T0_E_clISt17integral_constantIbLb0EEST_IbLb1EEEEDaSP_SQ_EUlSP_E_NS1_11comp_targetILNS1_3genE10ELNS1_11target_archE1201ELNS1_3gpuE5ELNS1_3repE0EEENS1_30default_config_static_selectorELNS0_4arch9wavefront6targetE0EEEvT1_,comdat
.Lfunc_end71:
	.size	_ZN7rocprim17ROCPRIM_400000_NS6detail17trampoline_kernelINS0_14default_configENS1_20scan_config_selectorIiEEZZNS1_9scan_implILNS1_25lookback_scan_determinismE0ELb0ELb0ES3_N6thrust23THRUST_200600_302600_NS6detail15normal_iteratorINS9_10device_ptrIiEEEESE_iNS9_4plusIvEEiEEDaPvRmT3_T4_T5_mT6_P12ihipStream_tbENKUlT_T0_E_clISt17integral_constantIbLb0EEST_IbLb1EEEEDaSP_SQ_EUlSP_E_NS1_11comp_targetILNS1_3genE10ELNS1_11target_archE1201ELNS1_3gpuE5ELNS1_3repE0EEENS1_30default_config_static_selectorELNS0_4arch9wavefront6targetE0EEEvT1_, .Lfunc_end71-_ZN7rocprim17ROCPRIM_400000_NS6detail17trampoline_kernelINS0_14default_configENS1_20scan_config_selectorIiEEZZNS1_9scan_implILNS1_25lookback_scan_determinismE0ELb0ELb0ES3_N6thrust23THRUST_200600_302600_NS6detail15normal_iteratorINS9_10device_ptrIiEEEESE_iNS9_4plusIvEEiEEDaPvRmT3_T4_T5_mT6_P12ihipStream_tbENKUlT_T0_E_clISt17integral_constantIbLb0EEST_IbLb1EEEEDaSP_SQ_EUlSP_E_NS1_11comp_targetILNS1_3genE10ELNS1_11target_archE1201ELNS1_3gpuE5ELNS1_3repE0EEENS1_30default_config_static_selectorELNS0_4arch9wavefront6targetE0EEEvT1_
                                        ; -- End function
	.set _ZN7rocprim17ROCPRIM_400000_NS6detail17trampoline_kernelINS0_14default_configENS1_20scan_config_selectorIiEEZZNS1_9scan_implILNS1_25lookback_scan_determinismE0ELb0ELb0ES3_N6thrust23THRUST_200600_302600_NS6detail15normal_iteratorINS9_10device_ptrIiEEEESE_iNS9_4plusIvEEiEEDaPvRmT3_T4_T5_mT6_P12ihipStream_tbENKUlT_T0_E_clISt17integral_constantIbLb0EEST_IbLb1EEEEDaSP_SQ_EUlSP_E_NS1_11comp_targetILNS1_3genE10ELNS1_11target_archE1201ELNS1_3gpuE5ELNS1_3repE0EEENS1_30default_config_static_selectorELNS0_4arch9wavefront6targetE0EEEvT1_.num_vgpr, 0
	.set _ZN7rocprim17ROCPRIM_400000_NS6detail17trampoline_kernelINS0_14default_configENS1_20scan_config_selectorIiEEZZNS1_9scan_implILNS1_25lookback_scan_determinismE0ELb0ELb0ES3_N6thrust23THRUST_200600_302600_NS6detail15normal_iteratorINS9_10device_ptrIiEEEESE_iNS9_4plusIvEEiEEDaPvRmT3_T4_T5_mT6_P12ihipStream_tbENKUlT_T0_E_clISt17integral_constantIbLb0EEST_IbLb1EEEEDaSP_SQ_EUlSP_E_NS1_11comp_targetILNS1_3genE10ELNS1_11target_archE1201ELNS1_3gpuE5ELNS1_3repE0EEENS1_30default_config_static_selectorELNS0_4arch9wavefront6targetE0EEEvT1_.num_agpr, 0
	.set _ZN7rocprim17ROCPRIM_400000_NS6detail17trampoline_kernelINS0_14default_configENS1_20scan_config_selectorIiEEZZNS1_9scan_implILNS1_25lookback_scan_determinismE0ELb0ELb0ES3_N6thrust23THRUST_200600_302600_NS6detail15normal_iteratorINS9_10device_ptrIiEEEESE_iNS9_4plusIvEEiEEDaPvRmT3_T4_T5_mT6_P12ihipStream_tbENKUlT_T0_E_clISt17integral_constantIbLb0EEST_IbLb1EEEEDaSP_SQ_EUlSP_E_NS1_11comp_targetILNS1_3genE10ELNS1_11target_archE1201ELNS1_3gpuE5ELNS1_3repE0EEENS1_30default_config_static_selectorELNS0_4arch9wavefront6targetE0EEEvT1_.numbered_sgpr, 0
	.set _ZN7rocprim17ROCPRIM_400000_NS6detail17trampoline_kernelINS0_14default_configENS1_20scan_config_selectorIiEEZZNS1_9scan_implILNS1_25lookback_scan_determinismE0ELb0ELb0ES3_N6thrust23THRUST_200600_302600_NS6detail15normal_iteratorINS9_10device_ptrIiEEEESE_iNS9_4plusIvEEiEEDaPvRmT3_T4_T5_mT6_P12ihipStream_tbENKUlT_T0_E_clISt17integral_constantIbLb0EEST_IbLb1EEEEDaSP_SQ_EUlSP_E_NS1_11comp_targetILNS1_3genE10ELNS1_11target_archE1201ELNS1_3gpuE5ELNS1_3repE0EEENS1_30default_config_static_selectorELNS0_4arch9wavefront6targetE0EEEvT1_.num_named_barrier, 0
	.set _ZN7rocprim17ROCPRIM_400000_NS6detail17trampoline_kernelINS0_14default_configENS1_20scan_config_selectorIiEEZZNS1_9scan_implILNS1_25lookback_scan_determinismE0ELb0ELb0ES3_N6thrust23THRUST_200600_302600_NS6detail15normal_iteratorINS9_10device_ptrIiEEEESE_iNS9_4plusIvEEiEEDaPvRmT3_T4_T5_mT6_P12ihipStream_tbENKUlT_T0_E_clISt17integral_constantIbLb0EEST_IbLb1EEEEDaSP_SQ_EUlSP_E_NS1_11comp_targetILNS1_3genE10ELNS1_11target_archE1201ELNS1_3gpuE5ELNS1_3repE0EEENS1_30default_config_static_selectorELNS0_4arch9wavefront6targetE0EEEvT1_.private_seg_size, 0
	.set _ZN7rocprim17ROCPRIM_400000_NS6detail17trampoline_kernelINS0_14default_configENS1_20scan_config_selectorIiEEZZNS1_9scan_implILNS1_25lookback_scan_determinismE0ELb0ELb0ES3_N6thrust23THRUST_200600_302600_NS6detail15normal_iteratorINS9_10device_ptrIiEEEESE_iNS9_4plusIvEEiEEDaPvRmT3_T4_T5_mT6_P12ihipStream_tbENKUlT_T0_E_clISt17integral_constantIbLb0EEST_IbLb1EEEEDaSP_SQ_EUlSP_E_NS1_11comp_targetILNS1_3genE10ELNS1_11target_archE1201ELNS1_3gpuE5ELNS1_3repE0EEENS1_30default_config_static_selectorELNS0_4arch9wavefront6targetE0EEEvT1_.uses_vcc, 0
	.set _ZN7rocprim17ROCPRIM_400000_NS6detail17trampoline_kernelINS0_14default_configENS1_20scan_config_selectorIiEEZZNS1_9scan_implILNS1_25lookback_scan_determinismE0ELb0ELb0ES3_N6thrust23THRUST_200600_302600_NS6detail15normal_iteratorINS9_10device_ptrIiEEEESE_iNS9_4plusIvEEiEEDaPvRmT3_T4_T5_mT6_P12ihipStream_tbENKUlT_T0_E_clISt17integral_constantIbLb0EEST_IbLb1EEEEDaSP_SQ_EUlSP_E_NS1_11comp_targetILNS1_3genE10ELNS1_11target_archE1201ELNS1_3gpuE5ELNS1_3repE0EEENS1_30default_config_static_selectorELNS0_4arch9wavefront6targetE0EEEvT1_.uses_flat_scratch, 0
	.set _ZN7rocprim17ROCPRIM_400000_NS6detail17trampoline_kernelINS0_14default_configENS1_20scan_config_selectorIiEEZZNS1_9scan_implILNS1_25lookback_scan_determinismE0ELb0ELb0ES3_N6thrust23THRUST_200600_302600_NS6detail15normal_iteratorINS9_10device_ptrIiEEEESE_iNS9_4plusIvEEiEEDaPvRmT3_T4_T5_mT6_P12ihipStream_tbENKUlT_T0_E_clISt17integral_constantIbLb0EEST_IbLb1EEEEDaSP_SQ_EUlSP_E_NS1_11comp_targetILNS1_3genE10ELNS1_11target_archE1201ELNS1_3gpuE5ELNS1_3repE0EEENS1_30default_config_static_selectorELNS0_4arch9wavefront6targetE0EEEvT1_.has_dyn_sized_stack, 0
	.set _ZN7rocprim17ROCPRIM_400000_NS6detail17trampoline_kernelINS0_14default_configENS1_20scan_config_selectorIiEEZZNS1_9scan_implILNS1_25lookback_scan_determinismE0ELb0ELb0ES3_N6thrust23THRUST_200600_302600_NS6detail15normal_iteratorINS9_10device_ptrIiEEEESE_iNS9_4plusIvEEiEEDaPvRmT3_T4_T5_mT6_P12ihipStream_tbENKUlT_T0_E_clISt17integral_constantIbLb0EEST_IbLb1EEEEDaSP_SQ_EUlSP_E_NS1_11comp_targetILNS1_3genE10ELNS1_11target_archE1201ELNS1_3gpuE5ELNS1_3repE0EEENS1_30default_config_static_selectorELNS0_4arch9wavefront6targetE0EEEvT1_.has_recursion, 0
	.set _ZN7rocprim17ROCPRIM_400000_NS6detail17trampoline_kernelINS0_14default_configENS1_20scan_config_selectorIiEEZZNS1_9scan_implILNS1_25lookback_scan_determinismE0ELb0ELb0ES3_N6thrust23THRUST_200600_302600_NS6detail15normal_iteratorINS9_10device_ptrIiEEEESE_iNS9_4plusIvEEiEEDaPvRmT3_T4_T5_mT6_P12ihipStream_tbENKUlT_T0_E_clISt17integral_constantIbLb0EEST_IbLb1EEEEDaSP_SQ_EUlSP_E_NS1_11comp_targetILNS1_3genE10ELNS1_11target_archE1201ELNS1_3gpuE5ELNS1_3repE0EEENS1_30default_config_static_selectorELNS0_4arch9wavefront6targetE0EEEvT1_.has_indirect_call, 0
	.section	.AMDGPU.csdata,"",@progbits
; Kernel info:
; codeLenInByte = 0
; TotalNumSgprs: 0
; NumVgprs: 0
; ScratchSize: 0
; MemoryBound: 0
; FloatMode: 240
; IeeeMode: 1
; LDSByteSize: 0 bytes/workgroup (compile time only)
; SGPRBlocks: 0
; VGPRBlocks: 0
; NumSGPRsForWavesPerEU: 1
; NumVGPRsForWavesPerEU: 1
; NamedBarCnt: 0
; Occupancy: 16
; WaveLimiterHint : 0
; COMPUTE_PGM_RSRC2:SCRATCH_EN: 0
; COMPUTE_PGM_RSRC2:USER_SGPR: 2
; COMPUTE_PGM_RSRC2:TRAP_HANDLER: 0
; COMPUTE_PGM_RSRC2:TGID_X_EN: 1
; COMPUTE_PGM_RSRC2:TGID_Y_EN: 0
; COMPUTE_PGM_RSRC2:TGID_Z_EN: 0
; COMPUTE_PGM_RSRC2:TIDIG_COMP_CNT: 0
	.section	.text._ZN7rocprim17ROCPRIM_400000_NS6detail17trampoline_kernelINS0_14default_configENS1_20scan_config_selectorIiEEZZNS1_9scan_implILNS1_25lookback_scan_determinismE0ELb0ELb0ES3_N6thrust23THRUST_200600_302600_NS6detail15normal_iteratorINS9_10device_ptrIiEEEESE_iNS9_4plusIvEEiEEDaPvRmT3_T4_T5_mT6_P12ihipStream_tbENKUlT_T0_E_clISt17integral_constantIbLb0EEST_IbLb1EEEEDaSP_SQ_EUlSP_E_NS1_11comp_targetILNS1_3genE10ELNS1_11target_archE1200ELNS1_3gpuE4ELNS1_3repE0EEENS1_30default_config_static_selectorELNS0_4arch9wavefront6targetE0EEEvT1_,"axG",@progbits,_ZN7rocprim17ROCPRIM_400000_NS6detail17trampoline_kernelINS0_14default_configENS1_20scan_config_selectorIiEEZZNS1_9scan_implILNS1_25lookback_scan_determinismE0ELb0ELb0ES3_N6thrust23THRUST_200600_302600_NS6detail15normal_iteratorINS9_10device_ptrIiEEEESE_iNS9_4plusIvEEiEEDaPvRmT3_T4_T5_mT6_P12ihipStream_tbENKUlT_T0_E_clISt17integral_constantIbLb0EEST_IbLb1EEEEDaSP_SQ_EUlSP_E_NS1_11comp_targetILNS1_3genE10ELNS1_11target_archE1200ELNS1_3gpuE4ELNS1_3repE0EEENS1_30default_config_static_selectorELNS0_4arch9wavefront6targetE0EEEvT1_,comdat
	.protected	_ZN7rocprim17ROCPRIM_400000_NS6detail17trampoline_kernelINS0_14default_configENS1_20scan_config_selectorIiEEZZNS1_9scan_implILNS1_25lookback_scan_determinismE0ELb0ELb0ES3_N6thrust23THRUST_200600_302600_NS6detail15normal_iteratorINS9_10device_ptrIiEEEESE_iNS9_4plusIvEEiEEDaPvRmT3_T4_T5_mT6_P12ihipStream_tbENKUlT_T0_E_clISt17integral_constantIbLb0EEST_IbLb1EEEEDaSP_SQ_EUlSP_E_NS1_11comp_targetILNS1_3genE10ELNS1_11target_archE1200ELNS1_3gpuE4ELNS1_3repE0EEENS1_30default_config_static_selectorELNS0_4arch9wavefront6targetE0EEEvT1_ ; -- Begin function _ZN7rocprim17ROCPRIM_400000_NS6detail17trampoline_kernelINS0_14default_configENS1_20scan_config_selectorIiEEZZNS1_9scan_implILNS1_25lookback_scan_determinismE0ELb0ELb0ES3_N6thrust23THRUST_200600_302600_NS6detail15normal_iteratorINS9_10device_ptrIiEEEESE_iNS9_4plusIvEEiEEDaPvRmT3_T4_T5_mT6_P12ihipStream_tbENKUlT_T0_E_clISt17integral_constantIbLb0EEST_IbLb1EEEEDaSP_SQ_EUlSP_E_NS1_11comp_targetILNS1_3genE10ELNS1_11target_archE1200ELNS1_3gpuE4ELNS1_3repE0EEENS1_30default_config_static_selectorELNS0_4arch9wavefront6targetE0EEEvT1_
	.globl	_ZN7rocprim17ROCPRIM_400000_NS6detail17trampoline_kernelINS0_14default_configENS1_20scan_config_selectorIiEEZZNS1_9scan_implILNS1_25lookback_scan_determinismE0ELb0ELb0ES3_N6thrust23THRUST_200600_302600_NS6detail15normal_iteratorINS9_10device_ptrIiEEEESE_iNS9_4plusIvEEiEEDaPvRmT3_T4_T5_mT6_P12ihipStream_tbENKUlT_T0_E_clISt17integral_constantIbLb0EEST_IbLb1EEEEDaSP_SQ_EUlSP_E_NS1_11comp_targetILNS1_3genE10ELNS1_11target_archE1200ELNS1_3gpuE4ELNS1_3repE0EEENS1_30default_config_static_selectorELNS0_4arch9wavefront6targetE0EEEvT1_
	.p2align	8
	.type	_ZN7rocprim17ROCPRIM_400000_NS6detail17trampoline_kernelINS0_14default_configENS1_20scan_config_selectorIiEEZZNS1_9scan_implILNS1_25lookback_scan_determinismE0ELb0ELb0ES3_N6thrust23THRUST_200600_302600_NS6detail15normal_iteratorINS9_10device_ptrIiEEEESE_iNS9_4plusIvEEiEEDaPvRmT3_T4_T5_mT6_P12ihipStream_tbENKUlT_T0_E_clISt17integral_constantIbLb0EEST_IbLb1EEEEDaSP_SQ_EUlSP_E_NS1_11comp_targetILNS1_3genE10ELNS1_11target_archE1200ELNS1_3gpuE4ELNS1_3repE0EEENS1_30default_config_static_selectorELNS0_4arch9wavefront6targetE0EEEvT1_,@function
_ZN7rocprim17ROCPRIM_400000_NS6detail17trampoline_kernelINS0_14default_configENS1_20scan_config_selectorIiEEZZNS1_9scan_implILNS1_25lookback_scan_determinismE0ELb0ELb0ES3_N6thrust23THRUST_200600_302600_NS6detail15normal_iteratorINS9_10device_ptrIiEEEESE_iNS9_4plusIvEEiEEDaPvRmT3_T4_T5_mT6_P12ihipStream_tbENKUlT_T0_E_clISt17integral_constantIbLb0EEST_IbLb1EEEEDaSP_SQ_EUlSP_E_NS1_11comp_targetILNS1_3genE10ELNS1_11target_archE1200ELNS1_3gpuE4ELNS1_3repE0EEENS1_30default_config_static_selectorELNS0_4arch9wavefront6targetE0EEEvT1_: ; @_ZN7rocprim17ROCPRIM_400000_NS6detail17trampoline_kernelINS0_14default_configENS1_20scan_config_selectorIiEEZZNS1_9scan_implILNS1_25lookback_scan_determinismE0ELb0ELb0ES3_N6thrust23THRUST_200600_302600_NS6detail15normal_iteratorINS9_10device_ptrIiEEEESE_iNS9_4plusIvEEiEEDaPvRmT3_T4_T5_mT6_P12ihipStream_tbENKUlT_T0_E_clISt17integral_constantIbLb0EEST_IbLb1EEEEDaSP_SQ_EUlSP_E_NS1_11comp_targetILNS1_3genE10ELNS1_11target_archE1200ELNS1_3gpuE4ELNS1_3repE0EEENS1_30default_config_static_selectorELNS0_4arch9wavefront6targetE0EEEvT1_
; %bb.0:
	.section	.rodata,"a",@progbits
	.p2align	6, 0x0
	.amdhsa_kernel _ZN7rocprim17ROCPRIM_400000_NS6detail17trampoline_kernelINS0_14default_configENS1_20scan_config_selectorIiEEZZNS1_9scan_implILNS1_25lookback_scan_determinismE0ELb0ELb0ES3_N6thrust23THRUST_200600_302600_NS6detail15normal_iteratorINS9_10device_ptrIiEEEESE_iNS9_4plusIvEEiEEDaPvRmT3_T4_T5_mT6_P12ihipStream_tbENKUlT_T0_E_clISt17integral_constantIbLb0EEST_IbLb1EEEEDaSP_SQ_EUlSP_E_NS1_11comp_targetILNS1_3genE10ELNS1_11target_archE1200ELNS1_3gpuE4ELNS1_3repE0EEENS1_30default_config_static_selectorELNS0_4arch9wavefront6targetE0EEEvT1_
		.amdhsa_group_segment_fixed_size 0
		.amdhsa_private_segment_fixed_size 0
		.amdhsa_kernarg_size 96
		.amdhsa_user_sgpr_count 2
		.amdhsa_user_sgpr_dispatch_ptr 0
		.amdhsa_user_sgpr_queue_ptr 0
		.amdhsa_user_sgpr_kernarg_segment_ptr 1
		.amdhsa_user_sgpr_dispatch_id 0
		.amdhsa_user_sgpr_kernarg_preload_length 0
		.amdhsa_user_sgpr_kernarg_preload_offset 0
		.amdhsa_user_sgpr_private_segment_size 0
		.amdhsa_wavefront_size32 1
		.amdhsa_uses_dynamic_stack 0
		.amdhsa_enable_private_segment 0
		.amdhsa_system_sgpr_workgroup_id_x 1
		.amdhsa_system_sgpr_workgroup_id_y 0
		.amdhsa_system_sgpr_workgroup_id_z 0
		.amdhsa_system_sgpr_workgroup_info 0
		.amdhsa_system_vgpr_workitem_id 0
		.amdhsa_next_free_vgpr 1
		.amdhsa_next_free_sgpr 1
		.amdhsa_named_barrier_count 0
		.amdhsa_reserve_vcc 0
		.amdhsa_float_round_mode_32 0
		.amdhsa_float_round_mode_16_64 0
		.amdhsa_float_denorm_mode_32 3
		.amdhsa_float_denorm_mode_16_64 3
		.amdhsa_fp16_overflow 0
		.amdhsa_memory_ordered 1
		.amdhsa_forward_progress 1
		.amdhsa_inst_pref_size 0
		.amdhsa_round_robin_scheduling 0
		.amdhsa_exception_fp_ieee_invalid_op 0
		.amdhsa_exception_fp_denorm_src 0
		.amdhsa_exception_fp_ieee_div_zero 0
		.amdhsa_exception_fp_ieee_overflow 0
		.amdhsa_exception_fp_ieee_underflow 0
		.amdhsa_exception_fp_ieee_inexact 0
		.amdhsa_exception_int_div_zero 0
	.end_amdhsa_kernel
	.section	.text._ZN7rocprim17ROCPRIM_400000_NS6detail17trampoline_kernelINS0_14default_configENS1_20scan_config_selectorIiEEZZNS1_9scan_implILNS1_25lookback_scan_determinismE0ELb0ELb0ES3_N6thrust23THRUST_200600_302600_NS6detail15normal_iteratorINS9_10device_ptrIiEEEESE_iNS9_4plusIvEEiEEDaPvRmT3_T4_T5_mT6_P12ihipStream_tbENKUlT_T0_E_clISt17integral_constantIbLb0EEST_IbLb1EEEEDaSP_SQ_EUlSP_E_NS1_11comp_targetILNS1_3genE10ELNS1_11target_archE1200ELNS1_3gpuE4ELNS1_3repE0EEENS1_30default_config_static_selectorELNS0_4arch9wavefront6targetE0EEEvT1_,"axG",@progbits,_ZN7rocprim17ROCPRIM_400000_NS6detail17trampoline_kernelINS0_14default_configENS1_20scan_config_selectorIiEEZZNS1_9scan_implILNS1_25lookback_scan_determinismE0ELb0ELb0ES3_N6thrust23THRUST_200600_302600_NS6detail15normal_iteratorINS9_10device_ptrIiEEEESE_iNS9_4plusIvEEiEEDaPvRmT3_T4_T5_mT6_P12ihipStream_tbENKUlT_T0_E_clISt17integral_constantIbLb0EEST_IbLb1EEEEDaSP_SQ_EUlSP_E_NS1_11comp_targetILNS1_3genE10ELNS1_11target_archE1200ELNS1_3gpuE4ELNS1_3repE0EEENS1_30default_config_static_selectorELNS0_4arch9wavefront6targetE0EEEvT1_,comdat
.Lfunc_end72:
	.size	_ZN7rocprim17ROCPRIM_400000_NS6detail17trampoline_kernelINS0_14default_configENS1_20scan_config_selectorIiEEZZNS1_9scan_implILNS1_25lookback_scan_determinismE0ELb0ELb0ES3_N6thrust23THRUST_200600_302600_NS6detail15normal_iteratorINS9_10device_ptrIiEEEESE_iNS9_4plusIvEEiEEDaPvRmT3_T4_T5_mT6_P12ihipStream_tbENKUlT_T0_E_clISt17integral_constantIbLb0EEST_IbLb1EEEEDaSP_SQ_EUlSP_E_NS1_11comp_targetILNS1_3genE10ELNS1_11target_archE1200ELNS1_3gpuE4ELNS1_3repE0EEENS1_30default_config_static_selectorELNS0_4arch9wavefront6targetE0EEEvT1_, .Lfunc_end72-_ZN7rocprim17ROCPRIM_400000_NS6detail17trampoline_kernelINS0_14default_configENS1_20scan_config_selectorIiEEZZNS1_9scan_implILNS1_25lookback_scan_determinismE0ELb0ELb0ES3_N6thrust23THRUST_200600_302600_NS6detail15normal_iteratorINS9_10device_ptrIiEEEESE_iNS9_4plusIvEEiEEDaPvRmT3_T4_T5_mT6_P12ihipStream_tbENKUlT_T0_E_clISt17integral_constantIbLb0EEST_IbLb1EEEEDaSP_SQ_EUlSP_E_NS1_11comp_targetILNS1_3genE10ELNS1_11target_archE1200ELNS1_3gpuE4ELNS1_3repE0EEENS1_30default_config_static_selectorELNS0_4arch9wavefront6targetE0EEEvT1_
                                        ; -- End function
	.set _ZN7rocprim17ROCPRIM_400000_NS6detail17trampoline_kernelINS0_14default_configENS1_20scan_config_selectorIiEEZZNS1_9scan_implILNS1_25lookback_scan_determinismE0ELb0ELb0ES3_N6thrust23THRUST_200600_302600_NS6detail15normal_iteratorINS9_10device_ptrIiEEEESE_iNS9_4plusIvEEiEEDaPvRmT3_T4_T5_mT6_P12ihipStream_tbENKUlT_T0_E_clISt17integral_constantIbLb0EEST_IbLb1EEEEDaSP_SQ_EUlSP_E_NS1_11comp_targetILNS1_3genE10ELNS1_11target_archE1200ELNS1_3gpuE4ELNS1_3repE0EEENS1_30default_config_static_selectorELNS0_4arch9wavefront6targetE0EEEvT1_.num_vgpr, 0
	.set _ZN7rocprim17ROCPRIM_400000_NS6detail17trampoline_kernelINS0_14default_configENS1_20scan_config_selectorIiEEZZNS1_9scan_implILNS1_25lookback_scan_determinismE0ELb0ELb0ES3_N6thrust23THRUST_200600_302600_NS6detail15normal_iteratorINS9_10device_ptrIiEEEESE_iNS9_4plusIvEEiEEDaPvRmT3_T4_T5_mT6_P12ihipStream_tbENKUlT_T0_E_clISt17integral_constantIbLb0EEST_IbLb1EEEEDaSP_SQ_EUlSP_E_NS1_11comp_targetILNS1_3genE10ELNS1_11target_archE1200ELNS1_3gpuE4ELNS1_3repE0EEENS1_30default_config_static_selectorELNS0_4arch9wavefront6targetE0EEEvT1_.num_agpr, 0
	.set _ZN7rocprim17ROCPRIM_400000_NS6detail17trampoline_kernelINS0_14default_configENS1_20scan_config_selectorIiEEZZNS1_9scan_implILNS1_25lookback_scan_determinismE0ELb0ELb0ES3_N6thrust23THRUST_200600_302600_NS6detail15normal_iteratorINS9_10device_ptrIiEEEESE_iNS9_4plusIvEEiEEDaPvRmT3_T4_T5_mT6_P12ihipStream_tbENKUlT_T0_E_clISt17integral_constantIbLb0EEST_IbLb1EEEEDaSP_SQ_EUlSP_E_NS1_11comp_targetILNS1_3genE10ELNS1_11target_archE1200ELNS1_3gpuE4ELNS1_3repE0EEENS1_30default_config_static_selectorELNS0_4arch9wavefront6targetE0EEEvT1_.numbered_sgpr, 0
	.set _ZN7rocprim17ROCPRIM_400000_NS6detail17trampoline_kernelINS0_14default_configENS1_20scan_config_selectorIiEEZZNS1_9scan_implILNS1_25lookback_scan_determinismE0ELb0ELb0ES3_N6thrust23THRUST_200600_302600_NS6detail15normal_iteratorINS9_10device_ptrIiEEEESE_iNS9_4plusIvEEiEEDaPvRmT3_T4_T5_mT6_P12ihipStream_tbENKUlT_T0_E_clISt17integral_constantIbLb0EEST_IbLb1EEEEDaSP_SQ_EUlSP_E_NS1_11comp_targetILNS1_3genE10ELNS1_11target_archE1200ELNS1_3gpuE4ELNS1_3repE0EEENS1_30default_config_static_selectorELNS0_4arch9wavefront6targetE0EEEvT1_.num_named_barrier, 0
	.set _ZN7rocprim17ROCPRIM_400000_NS6detail17trampoline_kernelINS0_14default_configENS1_20scan_config_selectorIiEEZZNS1_9scan_implILNS1_25lookback_scan_determinismE0ELb0ELb0ES3_N6thrust23THRUST_200600_302600_NS6detail15normal_iteratorINS9_10device_ptrIiEEEESE_iNS9_4plusIvEEiEEDaPvRmT3_T4_T5_mT6_P12ihipStream_tbENKUlT_T0_E_clISt17integral_constantIbLb0EEST_IbLb1EEEEDaSP_SQ_EUlSP_E_NS1_11comp_targetILNS1_3genE10ELNS1_11target_archE1200ELNS1_3gpuE4ELNS1_3repE0EEENS1_30default_config_static_selectorELNS0_4arch9wavefront6targetE0EEEvT1_.private_seg_size, 0
	.set _ZN7rocprim17ROCPRIM_400000_NS6detail17trampoline_kernelINS0_14default_configENS1_20scan_config_selectorIiEEZZNS1_9scan_implILNS1_25lookback_scan_determinismE0ELb0ELb0ES3_N6thrust23THRUST_200600_302600_NS6detail15normal_iteratorINS9_10device_ptrIiEEEESE_iNS9_4plusIvEEiEEDaPvRmT3_T4_T5_mT6_P12ihipStream_tbENKUlT_T0_E_clISt17integral_constantIbLb0EEST_IbLb1EEEEDaSP_SQ_EUlSP_E_NS1_11comp_targetILNS1_3genE10ELNS1_11target_archE1200ELNS1_3gpuE4ELNS1_3repE0EEENS1_30default_config_static_selectorELNS0_4arch9wavefront6targetE0EEEvT1_.uses_vcc, 0
	.set _ZN7rocprim17ROCPRIM_400000_NS6detail17trampoline_kernelINS0_14default_configENS1_20scan_config_selectorIiEEZZNS1_9scan_implILNS1_25lookback_scan_determinismE0ELb0ELb0ES3_N6thrust23THRUST_200600_302600_NS6detail15normal_iteratorINS9_10device_ptrIiEEEESE_iNS9_4plusIvEEiEEDaPvRmT3_T4_T5_mT6_P12ihipStream_tbENKUlT_T0_E_clISt17integral_constantIbLb0EEST_IbLb1EEEEDaSP_SQ_EUlSP_E_NS1_11comp_targetILNS1_3genE10ELNS1_11target_archE1200ELNS1_3gpuE4ELNS1_3repE0EEENS1_30default_config_static_selectorELNS0_4arch9wavefront6targetE0EEEvT1_.uses_flat_scratch, 0
	.set _ZN7rocprim17ROCPRIM_400000_NS6detail17trampoline_kernelINS0_14default_configENS1_20scan_config_selectorIiEEZZNS1_9scan_implILNS1_25lookback_scan_determinismE0ELb0ELb0ES3_N6thrust23THRUST_200600_302600_NS6detail15normal_iteratorINS9_10device_ptrIiEEEESE_iNS9_4plusIvEEiEEDaPvRmT3_T4_T5_mT6_P12ihipStream_tbENKUlT_T0_E_clISt17integral_constantIbLb0EEST_IbLb1EEEEDaSP_SQ_EUlSP_E_NS1_11comp_targetILNS1_3genE10ELNS1_11target_archE1200ELNS1_3gpuE4ELNS1_3repE0EEENS1_30default_config_static_selectorELNS0_4arch9wavefront6targetE0EEEvT1_.has_dyn_sized_stack, 0
	.set _ZN7rocprim17ROCPRIM_400000_NS6detail17trampoline_kernelINS0_14default_configENS1_20scan_config_selectorIiEEZZNS1_9scan_implILNS1_25lookback_scan_determinismE0ELb0ELb0ES3_N6thrust23THRUST_200600_302600_NS6detail15normal_iteratorINS9_10device_ptrIiEEEESE_iNS9_4plusIvEEiEEDaPvRmT3_T4_T5_mT6_P12ihipStream_tbENKUlT_T0_E_clISt17integral_constantIbLb0EEST_IbLb1EEEEDaSP_SQ_EUlSP_E_NS1_11comp_targetILNS1_3genE10ELNS1_11target_archE1200ELNS1_3gpuE4ELNS1_3repE0EEENS1_30default_config_static_selectorELNS0_4arch9wavefront6targetE0EEEvT1_.has_recursion, 0
	.set _ZN7rocprim17ROCPRIM_400000_NS6detail17trampoline_kernelINS0_14default_configENS1_20scan_config_selectorIiEEZZNS1_9scan_implILNS1_25lookback_scan_determinismE0ELb0ELb0ES3_N6thrust23THRUST_200600_302600_NS6detail15normal_iteratorINS9_10device_ptrIiEEEESE_iNS9_4plusIvEEiEEDaPvRmT3_T4_T5_mT6_P12ihipStream_tbENKUlT_T0_E_clISt17integral_constantIbLb0EEST_IbLb1EEEEDaSP_SQ_EUlSP_E_NS1_11comp_targetILNS1_3genE10ELNS1_11target_archE1200ELNS1_3gpuE4ELNS1_3repE0EEENS1_30default_config_static_selectorELNS0_4arch9wavefront6targetE0EEEvT1_.has_indirect_call, 0
	.section	.AMDGPU.csdata,"",@progbits
; Kernel info:
; codeLenInByte = 0
; TotalNumSgprs: 0
; NumVgprs: 0
; ScratchSize: 0
; MemoryBound: 0
; FloatMode: 240
; IeeeMode: 1
; LDSByteSize: 0 bytes/workgroup (compile time only)
; SGPRBlocks: 0
; VGPRBlocks: 0
; NumSGPRsForWavesPerEU: 1
; NumVGPRsForWavesPerEU: 1
; NamedBarCnt: 0
; Occupancy: 16
; WaveLimiterHint : 0
; COMPUTE_PGM_RSRC2:SCRATCH_EN: 0
; COMPUTE_PGM_RSRC2:USER_SGPR: 2
; COMPUTE_PGM_RSRC2:TRAP_HANDLER: 0
; COMPUTE_PGM_RSRC2:TGID_X_EN: 1
; COMPUTE_PGM_RSRC2:TGID_Y_EN: 0
; COMPUTE_PGM_RSRC2:TGID_Z_EN: 0
; COMPUTE_PGM_RSRC2:TIDIG_COMP_CNT: 0
	.section	.text._ZN7rocprim17ROCPRIM_400000_NS6detail17trampoline_kernelINS0_14default_configENS1_20scan_config_selectorIiEEZZNS1_9scan_implILNS1_25lookback_scan_determinismE0ELb0ELb0ES3_N6thrust23THRUST_200600_302600_NS6detail15normal_iteratorINS9_10device_ptrIiEEEESE_iNS9_4plusIvEEiEEDaPvRmT3_T4_T5_mT6_P12ihipStream_tbENKUlT_T0_E_clISt17integral_constantIbLb0EEST_IbLb1EEEEDaSP_SQ_EUlSP_E_NS1_11comp_targetILNS1_3genE9ELNS1_11target_archE1100ELNS1_3gpuE3ELNS1_3repE0EEENS1_30default_config_static_selectorELNS0_4arch9wavefront6targetE0EEEvT1_,"axG",@progbits,_ZN7rocprim17ROCPRIM_400000_NS6detail17trampoline_kernelINS0_14default_configENS1_20scan_config_selectorIiEEZZNS1_9scan_implILNS1_25lookback_scan_determinismE0ELb0ELb0ES3_N6thrust23THRUST_200600_302600_NS6detail15normal_iteratorINS9_10device_ptrIiEEEESE_iNS9_4plusIvEEiEEDaPvRmT3_T4_T5_mT6_P12ihipStream_tbENKUlT_T0_E_clISt17integral_constantIbLb0EEST_IbLb1EEEEDaSP_SQ_EUlSP_E_NS1_11comp_targetILNS1_3genE9ELNS1_11target_archE1100ELNS1_3gpuE3ELNS1_3repE0EEENS1_30default_config_static_selectorELNS0_4arch9wavefront6targetE0EEEvT1_,comdat
	.protected	_ZN7rocprim17ROCPRIM_400000_NS6detail17trampoline_kernelINS0_14default_configENS1_20scan_config_selectorIiEEZZNS1_9scan_implILNS1_25lookback_scan_determinismE0ELb0ELb0ES3_N6thrust23THRUST_200600_302600_NS6detail15normal_iteratorINS9_10device_ptrIiEEEESE_iNS9_4plusIvEEiEEDaPvRmT3_T4_T5_mT6_P12ihipStream_tbENKUlT_T0_E_clISt17integral_constantIbLb0EEST_IbLb1EEEEDaSP_SQ_EUlSP_E_NS1_11comp_targetILNS1_3genE9ELNS1_11target_archE1100ELNS1_3gpuE3ELNS1_3repE0EEENS1_30default_config_static_selectorELNS0_4arch9wavefront6targetE0EEEvT1_ ; -- Begin function _ZN7rocprim17ROCPRIM_400000_NS6detail17trampoline_kernelINS0_14default_configENS1_20scan_config_selectorIiEEZZNS1_9scan_implILNS1_25lookback_scan_determinismE0ELb0ELb0ES3_N6thrust23THRUST_200600_302600_NS6detail15normal_iteratorINS9_10device_ptrIiEEEESE_iNS9_4plusIvEEiEEDaPvRmT3_T4_T5_mT6_P12ihipStream_tbENKUlT_T0_E_clISt17integral_constantIbLb0EEST_IbLb1EEEEDaSP_SQ_EUlSP_E_NS1_11comp_targetILNS1_3genE9ELNS1_11target_archE1100ELNS1_3gpuE3ELNS1_3repE0EEENS1_30default_config_static_selectorELNS0_4arch9wavefront6targetE0EEEvT1_
	.globl	_ZN7rocprim17ROCPRIM_400000_NS6detail17trampoline_kernelINS0_14default_configENS1_20scan_config_selectorIiEEZZNS1_9scan_implILNS1_25lookback_scan_determinismE0ELb0ELb0ES3_N6thrust23THRUST_200600_302600_NS6detail15normal_iteratorINS9_10device_ptrIiEEEESE_iNS9_4plusIvEEiEEDaPvRmT3_T4_T5_mT6_P12ihipStream_tbENKUlT_T0_E_clISt17integral_constantIbLb0EEST_IbLb1EEEEDaSP_SQ_EUlSP_E_NS1_11comp_targetILNS1_3genE9ELNS1_11target_archE1100ELNS1_3gpuE3ELNS1_3repE0EEENS1_30default_config_static_selectorELNS0_4arch9wavefront6targetE0EEEvT1_
	.p2align	8
	.type	_ZN7rocprim17ROCPRIM_400000_NS6detail17trampoline_kernelINS0_14default_configENS1_20scan_config_selectorIiEEZZNS1_9scan_implILNS1_25lookback_scan_determinismE0ELb0ELb0ES3_N6thrust23THRUST_200600_302600_NS6detail15normal_iteratorINS9_10device_ptrIiEEEESE_iNS9_4plusIvEEiEEDaPvRmT3_T4_T5_mT6_P12ihipStream_tbENKUlT_T0_E_clISt17integral_constantIbLb0EEST_IbLb1EEEEDaSP_SQ_EUlSP_E_NS1_11comp_targetILNS1_3genE9ELNS1_11target_archE1100ELNS1_3gpuE3ELNS1_3repE0EEENS1_30default_config_static_selectorELNS0_4arch9wavefront6targetE0EEEvT1_,@function
_ZN7rocprim17ROCPRIM_400000_NS6detail17trampoline_kernelINS0_14default_configENS1_20scan_config_selectorIiEEZZNS1_9scan_implILNS1_25lookback_scan_determinismE0ELb0ELb0ES3_N6thrust23THRUST_200600_302600_NS6detail15normal_iteratorINS9_10device_ptrIiEEEESE_iNS9_4plusIvEEiEEDaPvRmT3_T4_T5_mT6_P12ihipStream_tbENKUlT_T0_E_clISt17integral_constantIbLb0EEST_IbLb1EEEEDaSP_SQ_EUlSP_E_NS1_11comp_targetILNS1_3genE9ELNS1_11target_archE1100ELNS1_3gpuE3ELNS1_3repE0EEENS1_30default_config_static_selectorELNS0_4arch9wavefront6targetE0EEEvT1_: ; @_ZN7rocprim17ROCPRIM_400000_NS6detail17trampoline_kernelINS0_14default_configENS1_20scan_config_selectorIiEEZZNS1_9scan_implILNS1_25lookback_scan_determinismE0ELb0ELb0ES3_N6thrust23THRUST_200600_302600_NS6detail15normal_iteratorINS9_10device_ptrIiEEEESE_iNS9_4plusIvEEiEEDaPvRmT3_T4_T5_mT6_P12ihipStream_tbENKUlT_T0_E_clISt17integral_constantIbLb0EEST_IbLb1EEEEDaSP_SQ_EUlSP_E_NS1_11comp_targetILNS1_3genE9ELNS1_11target_archE1100ELNS1_3gpuE3ELNS1_3repE0EEENS1_30default_config_static_selectorELNS0_4arch9wavefront6targetE0EEEvT1_
; %bb.0:
	.section	.rodata,"a",@progbits
	.p2align	6, 0x0
	.amdhsa_kernel _ZN7rocprim17ROCPRIM_400000_NS6detail17trampoline_kernelINS0_14default_configENS1_20scan_config_selectorIiEEZZNS1_9scan_implILNS1_25lookback_scan_determinismE0ELb0ELb0ES3_N6thrust23THRUST_200600_302600_NS6detail15normal_iteratorINS9_10device_ptrIiEEEESE_iNS9_4plusIvEEiEEDaPvRmT3_T4_T5_mT6_P12ihipStream_tbENKUlT_T0_E_clISt17integral_constantIbLb0EEST_IbLb1EEEEDaSP_SQ_EUlSP_E_NS1_11comp_targetILNS1_3genE9ELNS1_11target_archE1100ELNS1_3gpuE3ELNS1_3repE0EEENS1_30default_config_static_selectorELNS0_4arch9wavefront6targetE0EEEvT1_
		.amdhsa_group_segment_fixed_size 0
		.amdhsa_private_segment_fixed_size 0
		.amdhsa_kernarg_size 96
		.amdhsa_user_sgpr_count 2
		.amdhsa_user_sgpr_dispatch_ptr 0
		.amdhsa_user_sgpr_queue_ptr 0
		.amdhsa_user_sgpr_kernarg_segment_ptr 1
		.amdhsa_user_sgpr_dispatch_id 0
		.amdhsa_user_sgpr_kernarg_preload_length 0
		.amdhsa_user_sgpr_kernarg_preload_offset 0
		.amdhsa_user_sgpr_private_segment_size 0
		.amdhsa_wavefront_size32 1
		.amdhsa_uses_dynamic_stack 0
		.amdhsa_enable_private_segment 0
		.amdhsa_system_sgpr_workgroup_id_x 1
		.amdhsa_system_sgpr_workgroup_id_y 0
		.amdhsa_system_sgpr_workgroup_id_z 0
		.amdhsa_system_sgpr_workgroup_info 0
		.amdhsa_system_vgpr_workitem_id 0
		.amdhsa_next_free_vgpr 1
		.amdhsa_next_free_sgpr 1
		.amdhsa_named_barrier_count 0
		.amdhsa_reserve_vcc 0
		.amdhsa_float_round_mode_32 0
		.amdhsa_float_round_mode_16_64 0
		.amdhsa_float_denorm_mode_32 3
		.amdhsa_float_denorm_mode_16_64 3
		.amdhsa_fp16_overflow 0
		.amdhsa_memory_ordered 1
		.amdhsa_forward_progress 1
		.amdhsa_inst_pref_size 0
		.amdhsa_round_robin_scheduling 0
		.amdhsa_exception_fp_ieee_invalid_op 0
		.amdhsa_exception_fp_denorm_src 0
		.amdhsa_exception_fp_ieee_div_zero 0
		.amdhsa_exception_fp_ieee_overflow 0
		.amdhsa_exception_fp_ieee_underflow 0
		.amdhsa_exception_fp_ieee_inexact 0
		.amdhsa_exception_int_div_zero 0
	.end_amdhsa_kernel
	.section	.text._ZN7rocprim17ROCPRIM_400000_NS6detail17trampoline_kernelINS0_14default_configENS1_20scan_config_selectorIiEEZZNS1_9scan_implILNS1_25lookback_scan_determinismE0ELb0ELb0ES3_N6thrust23THRUST_200600_302600_NS6detail15normal_iteratorINS9_10device_ptrIiEEEESE_iNS9_4plusIvEEiEEDaPvRmT3_T4_T5_mT6_P12ihipStream_tbENKUlT_T0_E_clISt17integral_constantIbLb0EEST_IbLb1EEEEDaSP_SQ_EUlSP_E_NS1_11comp_targetILNS1_3genE9ELNS1_11target_archE1100ELNS1_3gpuE3ELNS1_3repE0EEENS1_30default_config_static_selectorELNS0_4arch9wavefront6targetE0EEEvT1_,"axG",@progbits,_ZN7rocprim17ROCPRIM_400000_NS6detail17trampoline_kernelINS0_14default_configENS1_20scan_config_selectorIiEEZZNS1_9scan_implILNS1_25lookback_scan_determinismE0ELb0ELb0ES3_N6thrust23THRUST_200600_302600_NS6detail15normal_iteratorINS9_10device_ptrIiEEEESE_iNS9_4plusIvEEiEEDaPvRmT3_T4_T5_mT6_P12ihipStream_tbENKUlT_T0_E_clISt17integral_constantIbLb0EEST_IbLb1EEEEDaSP_SQ_EUlSP_E_NS1_11comp_targetILNS1_3genE9ELNS1_11target_archE1100ELNS1_3gpuE3ELNS1_3repE0EEENS1_30default_config_static_selectorELNS0_4arch9wavefront6targetE0EEEvT1_,comdat
.Lfunc_end73:
	.size	_ZN7rocprim17ROCPRIM_400000_NS6detail17trampoline_kernelINS0_14default_configENS1_20scan_config_selectorIiEEZZNS1_9scan_implILNS1_25lookback_scan_determinismE0ELb0ELb0ES3_N6thrust23THRUST_200600_302600_NS6detail15normal_iteratorINS9_10device_ptrIiEEEESE_iNS9_4plusIvEEiEEDaPvRmT3_T4_T5_mT6_P12ihipStream_tbENKUlT_T0_E_clISt17integral_constantIbLb0EEST_IbLb1EEEEDaSP_SQ_EUlSP_E_NS1_11comp_targetILNS1_3genE9ELNS1_11target_archE1100ELNS1_3gpuE3ELNS1_3repE0EEENS1_30default_config_static_selectorELNS0_4arch9wavefront6targetE0EEEvT1_, .Lfunc_end73-_ZN7rocprim17ROCPRIM_400000_NS6detail17trampoline_kernelINS0_14default_configENS1_20scan_config_selectorIiEEZZNS1_9scan_implILNS1_25lookback_scan_determinismE0ELb0ELb0ES3_N6thrust23THRUST_200600_302600_NS6detail15normal_iteratorINS9_10device_ptrIiEEEESE_iNS9_4plusIvEEiEEDaPvRmT3_T4_T5_mT6_P12ihipStream_tbENKUlT_T0_E_clISt17integral_constantIbLb0EEST_IbLb1EEEEDaSP_SQ_EUlSP_E_NS1_11comp_targetILNS1_3genE9ELNS1_11target_archE1100ELNS1_3gpuE3ELNS1_3repE0EEENS1_30default_config_static_selectorELNS0_4arch9wavefront6targetE0EEEvT1_
                                        ; -- End function
	.set _ZN7rocprim17ROCPRIM_400000_NS6detail17trampoline_kernelINS0_14default_configENS1_20scan_config_selectorIiEEZZNS1_9scan_implILNS1_25lookback_scan_determinismE0ELb0ELb0ES3_N6thrust23THRUST_200600_302600_NS6detail15normal_iteratorINS9_10device_ptrIiEEEESE_iNS9_4plusIvEEiEEDaPvRmT3_T4_T5_mT6_P12ihipStream_tbENKUlT_T0_E_clISt17integral_constantIbLb0EEST_IbLb1EEEEDaSP_SQ_EUlSP_E_NS1_11comp_targetILNS1_3genE9ELNS1_11target_archE1100ELNS1_3gpuE3ELNS1_3repE0EEENS1_30default_config_static_selectorELNS0_4arch9wavefront6targetE0EEEvT1_.num_vgpr, 0
	.set _ZN7rocprim17ROCPRIM_400000_NS6detail17trampoline_kernelINS0_14default_configENS1_20scan_config_selectorIiEEZZNS1_9scan_implILNS1_25lookback_scan_determinismE0ELb0ELb0ES3_N6thrust23THRUST_200600_302600_NS6detail15normal_iteratorINS9_10device_ptrIiEEEESE_iNS9_4plusIvEEiEEDaPvRmT3_T4_T5_mT6_P12ihipStream_tbENKUlT_T0_E_clISt17integral_constantIbLb0EEST_IbLb1EEEEDaSP_SQ_EUlSP_E_NS1_11comp_targetILNS1_3genE9ELNS1_11target_archE1100ELNS1_3gpuE3ELNS1_3repE0EEENS1_30default_config_static_selectorELNS0_4arch9wavefront6targetE0EEEvT1_.num_agpr, 0
	.set _ZN7rocprim17ROCPRIM_400000_NS6detail17trampoline_kernelINS0_14default_configENS1_20scan_config_selectorIiEEZZNS1_9scan_implILNS1_25lookback_scan_determinismE0ELb0ELb0ES3_N6thrust23THRUST_200600_302600_NS6detail15normal_iteratorINS9_10device_ptrIiEEEESE_iNS9_4plusIvEEiEEDaPvRmT3_T4_T5_mT6_P12ihipStream_tbENKUlT_T0_E_clISt17integral_constantIbLb0EEST_IbLb1EEEEDaSP_SQ_EUlSP_E_NS1_11comp_targetILNS1_3genE9ELNS1_11target_archE1100ELNS1_3gpuE3ELNS1_3repE0EEENS1_30default_config_static_selectorELNS0_4arch9wavefront6targetE0EEEvT1_.numbered_sgpr, 0
	.set _ZN7rocprim17ROCPRIM_400000_NS6detail17trampoline_kernelINS0_14default_configENS1_20scan_config_selectorIiEEZZNS1_9scan_implILNS1_25lookback_scan_determinismE0ELb0ELb0ES3_N6thrust23THRUST_200600_302600_NS6detail15normal_iteratorINS9_10device_ptrIiEEEESE_iNS9_4plusIvEEiEEDaPvRmT3_T4_T5_mT6_P12ihipStream_tbENKUlT_T0_E_clISt17integral_constantIbLb0EEST_IbLb1EEEEDaSP_SQ_EUlSP_E_NS1_11comp_targetILNS1_3genE9ELNS1_11target_archE1100ELNS1_3gpuE3ELNS1_3repE0EEENS1_30default_config_static_selectorELNS0_4arch9wavefront6targetE0EEEvT1_.num_named_barrier, 0
	.set _ZN7rocprim17ROCPRIM_400000_NS6detail17trampoline_kernelINS0_14default_configENS1_20scan_config_selectorIiEEZZNS1_9scan_implILNS1_25lookback_scan_determinismE0ELb0ELb0ES3_N6thrust23THRUST_200600_302600_NS6detail15normal_iteratorINS9_10device_ptrIiEEEESE_iNS9_4plusIvEEiEEDaPvRmT3_T4_T5_mT6_P12ihipStream_tbENKUlT_T0_E_clISt17integral_constantIbLb0EEST_IbLb1EEEEDaSP_SQ_EUlSP_E_NS1_11comp_targetILNS1_3genE9ELNS1_11target_archE1100ELNS1_3gpuE3ELNS1_3repE0EEENS1_30default_config_static_selectorELNS0_4arch9wavefront6targetE0EEEvT1_.private_seg_size, 0
	.set _ZN7rocprim17ROCPRIM_400000_NS6detail17trampoline_kernelINS0_14default_configENS1_20scan_config_selectorIiEEZZNS1_9scan_implILNS1_25lookback_scan_determinismE0ELb0ELb0ES3_N6thrust23THRUST_200600_302600_NS6detail15normal_iteratorINS9_10device_ptrIiEEEESE_iNS9_4plusIvEEiEEDaPvRmT3_T4_T5_mT6_P12ihipStream_tbENKUlT_T0_E_clISt17integral_constantIbLb0EEST_IbLb1EEEEDaSP_SQ_EUlSP_E_NS1_11comp_targetILNS1_3genE9ELNS1_11target_archE1100ELNS1_3gpuE3ELNS1_3repE0EEENS1_30default_config_static_selectorELNS0_4arch9wavefront6targetE0EEEvT1_.uses_vcc, 0
	.set _ZN7rocprim17ROCPRIM_400000_NS6detail17trampoline_kernelINS0_14default_configENS1_20scan_config_selectorIiEEZZNS1_9scan_implILNS1_25lookback_scan_determinismE0ELb0ELb0ES3_N6thrust23THRUST_200600_302600_NS6detail15normal_iteratorINS9_10device_ptrIiEEEESE_iNS9_4plusIvEEiEEDaPvRmT3_T4_T5_mT6_P12ihipStream_tbENKUlT_T0_E_clISt17integral_constantIbLb0EEST_IbLb1EEEEDaSP_SQ_EUlSP_E_NS1_11comp_targetILNS1_3genE9ELNS1_11target_archE1100ELNS1_3gpuE3ELNS1_3repE0EEENS1_30default_config_static_selectorELNS0_4arch9wavefront6targetE0EEEvT1_.uses_flat_scratch, 0
	.set _ZN7rocprim17ROCPRIM_400000_NS6detail17trampoline_kernelINS0_14default_configENS1_20scan_config_selectorIiEEZZNS1_9scan_implILNS1_25lookback_scan_determinismE0ELb0ELb0ES3_N6thrust23THRUST_200600_302600_NS6detail15normal_iteratorINS9_10device_ptrIiEEEESE_iNS9_4plusIvEEiEEDaPvRmT3_T4_T5_mT6_P12ihipStream_tbENKUlT_T0_E_clISt17integral_constantIbLb0EEST_IbLb1EEEEDaSP_SQ_EUlSP_E_NS1_11comp_targetILNS1_3genE9ELNS1_11target_archE1100ELNS1_3gpuE3ELNS1_3repE0EEENS1_30default_config_static_selectorELNS0_4arch9wavefront6targetE0EEEvT1_.has_dyn_sized_stack, 0
	.set _ZN7rocprim17ROCPRIM_400000_NS6detail17trampoline_kernelINS0_14default_configENS1_20scan_config_selectorIiEEZZNS1_9scan_implILNS1_25lookback_scan_determinismE0ELb0ELb0ES3_N6thrust23THRUST_200600_302600_NS6detail15normal_iteratorINS9_10device_ptrIiEEEESE_iNS9_4plusIvEEiEEDaPvRmT3_T4_T5_mT6_P12ihipStream_tbENKUlT_T0_E_clISt17integral_constantIbLb0EEST_IbLb1EEEEDaSP_SQ_EUlSP_E_NS1_11comp_targetILNS1_3genE9ELNS1_11target_archE1100ELNS1_3gpuE3ELNS1_3repE0EEENS1_30default_config_static_selectorELNS0_4arch9wavefront6targetE0EEEvT1_.has_recursion, 0
	.set _ZN7rocprim17ROCPRIM_400000_NS6detail17trampoline_kernelINS0_14default_configENS1_20scan_config_selectorIiEEZZNS1_9scan_implILNS1_25lookback_scan_determinismE0ELb0ELb0ES3_N6thrust23THRUST_200600_302600_NS6detail15normal_iteratorINS9_10device_ptrIiEEEESE_iNS9_4plusIvEEiEEDaPvRmT3_T4_T5_mT6_P12ihipStream_tbENKUlT_T0_E_clISt17integral_constantIbLb0EEST_IbLb1EEEEDaSP_SQ_EUlSP_E_NS1_11comp_targetILNS1_3genE9ELNS1_11target_archE1100ELNS1_3gpuE3ELNS1_3repE0EEENS1_30default_config_static_selectorELNS0_4arch9wavefront6targetE0EEEvT1_.has_indirect_call, 0
	.section	.AMDGPU.csdata,"",@progbits
; Kernel info:
; codeLenInByte = 0
; TotalNumSgprs: 0
; NumVgprs: 0
; ScratchSize: 0
; MemoryBound: 0
; FloatMode: 240
; IeeeMode: 1
; LDSByteSize: 0 bytes/workgroup (compile time only)
; SGPRBlocks: 0
; VGPRBlocks: 0
; NumSGPRsForWavesPerEU: 1
; NumVGPRsForWavesPerEU: 1
; NamedBarCnt: 0
; Occupancy: 16
; WaveLimiterHint : 0
; COMPUTE_PGM_RSRC2:SCRATCH_EN: 0
; COMPUTE_PGM_RSRC2:USER_SGPR: 2
; COMPUTE_PGM_RSRC2:TRAP_HANDLER: 0
; COMPUTE_PGM_RSRC2:TGID_X_EN: 1
; COMPUTE_PGM_RSRC2:TGID_Y_EN: 0
; COMPUTE_PGM_RSRC2:TGID_Z_EN: 0
; COMPUTE_PGM_RSRC2:TIDIG_COMP_CNT: 0
	.section	.text._ZN7rocprim17ROCPRIM_400000_NS6detail17trampoline_kernelINS0_14default_configENS1_20scan_config_selectorIiEEZZNS1_9scan_implILNS1_25lookback_scan_determinismE0ELb0ELb0ES3_N6thrust23THRUST_200600_302600_NS6detail15normal_iteratorINS9_10device_ptrIiEEEESE_iNS9_4plusIvEEiEEDaPvRmT3_T4_T5_mT6_P12ihipStream_tbENKUlT_T0_E_clISt17integral_constantIbLb0EEST_IbLb1EEEEDaSP_SQ_EUlSP_E_NS1_11comp_targetILNS1_3genE8ELNS1_11target_archE1030ELNS1_3gpuE2ELNS1_3repE0EEENS1_30default_config_static_selectorELNS0_4arch9wavefront6targetE0EEEvT1_,"axG",@progbits,_ZN7rocprim17ROCPRIM_400000_NS6detail17trampoline_kernelINS0_14default_configENS1_20scan_config_selectorIiEEZZNS1_9scan_implILNS1_25lookback_scan_determinismE0ELb0ELb0ES3_N6thrust23THRUST_200600_302600_NS6detail15normal_iteratorINS9_10device_ptrIiEEEESE_iNS9_4plusIvEEiEEDaPvRmT3_T4_T5_mT6_P12ihipStream_tbENKUlT_T0_E_clISt17integral_constantIbLb0EEST_IbLb1EEEEDaSP_SQ_EUlSP_E_NS1_11comp_targetILNS1_3genE8ELNS1_11target_archE1030ELNS1_3gpuE2ELNS1_3repE0EEENS1_30default_config_static_selectorELNS0_4arch9wavefront6targetE0EEEvT1_,comdat
	.protected	_ZN7rocprim17ROCPRIM_400000_NS6detail17trampoline_kernelINS0_14default_configENS1_20scan_config_selectorIiEEZZNS1_9scan_implILNS1_25lookback_scan_determinismE0ELb0ELb0ES3_N6thrust23THRUST_200600_302600_NS6detail15normal_iteratorINS9_10device_ptrIiEEEESE_iNS9_4plusIvEEiEEDaPvRmT3_T4_T5_mT6_P12ihipStream_tbENKUlT_T0_E_clISt17integral_constantIbLb0EEST_IbLb1EEEEDaSP_SQ_EUlSP_E_NS1_11comp_targetILNS1_3genE8ELNS1_11target_archE1030ELNS1_3gpuE2ELNS1_3repE0EEENS1_30default_config_static_selectorELNS0_4arch9wavefront6targetE0EEEvT1_ ; -- Begin function _ZN7rocprim17ROCPRIM_400000_NS6detail17trampoline_kernelINS0_14default_configENS1_20scan_config_selectorIiEEZZNS1_9scan_implILNS1_25lookback_scan_determinismE0ELb0ELb0ES3_N6thrust23THRUST_200600_302600_NS6detail15normal_iteratorINS9_10device_ptrIiEEEESE_iNS9_4plusIvEEiEEDaPvRmT3_T4_T5_mT6_P12ihipStream_tbENKUlT_T0_E_clISt17integral_constantIbLb0EEST_IbLb1EEEEDaSP_SQ_EUlSP_E_NS1_11comp_targetILNS1_3genE8ELNS1_11target_archE1030ELNS1_3gpuE2ELNS1_3repE0EEENS1_30default_config_static_selectorELNS0_4arch9wavefront6targetE0EEEvT1_
	.globl	_ZN7rocprim17ROCPRIM_400000_NS6detail17trampoline_kernelINS0_14default_configENS1_20scan_config_selectorIiEEZZNS1_9scan_implILNS1_25lookback_scan_determinismE0ELb0ELb0ES3_N6thrust23THRUST_200600_302600_NS6detail15normal_iteratorINS9_10device_ptrIiEEEESE_iNS9_4plusIvEEiEEDaPvRmT3_T4_T5_mT6_P12ihipStream_tbENKUlT_T0_E_clISt17integral_constantIbLb0EEST_IbLb1EEEEDaSP_SQ_EUlSP_E_NS1_11comp_targetILNS1_3genE8ELNS1_11target_archE1030ELNS1_3gpuE2ELNS1_3repE0EEENS1_30default_config_static_selectorELNS0_4arch9wavefront6targetE0EEEvT1_
	.p2align	8
	.type	_ZN7rocprim17ROCPRIM_400000_NS6detail17trampoline_kernelINS0_14default_configENS1_20scan_config_selectorIiEEZZNS1_9scan_implILNS1_25lookback_scan_determinismE0ELb0ELb0ES3_N6thrust23THRUST_200600_302600_NS6detail15normal_iteratorINS9_10device_ptrIiEEEESE_iNS9_4plusIvEEiEEDaPvRmT3_T4_T5_mT6_P12ihipStream_tbENKUlT_T0_E_clISt17integral_constantIbLb0EEST_IbLb1EEEEDaSP_SQ_EUlSP_E_NS1_11comp_targetILNS1_3genE8ELNS1_11target_archE1030ELNS1_3gpuE2ELNS1_3repE0EEENS1_30default_config_static_selectorELNS0_4arch9wavefront6targetE0EEEvT1_,@function
_ZN7rocprim17ROCPRIM_400000_NS6detail17trampoline_kernelINS0_14default_configENS1_20scan_config_selectorIiEEZZNS1_9scan_implILNS1_25lookback_scan_determinismE0ELb0ELb0ES3_N6thrust23THRUST_200600_302600_NS6detail15normal_iteratorINS9_10device_ptrIiEEEESE_iNS9_4plusIvEEiEEDaPvRmT3_T4_T5_mT6_P12ihipStream_tbENKUlT_T0_E_clISt17integral_constantIbLb0EEST_IbLb1EEEEDaSP_SQ_EUlSP_E_NS1_11comp_targetILNS1_3genE8ELNS1_11target_archE1030ELNS1_3gpuE2ELNS1_3repE0EEENS1_30default_config_static_selectorELNS0_4arch9wavefront6targetE0EEEvT1_: ; @_ZN7rocprim17ROCPRIM_400000_NS6detail17trampoline_kernelINS0_14default_configENS1_20scan_config_selectorIiEEZZNS1_9scan_implILNS1_25lookback_scan_determinismE0ELb0ELb0ES3_N6thrust23THRUST_200600_302600_NS6detail15normal_iteratorINS9_10device_ptrIiEEEESE_iNS9_4plusIvEEiEEDaPvRmT3_T4_T5_mT6_P12ihipStream_tbENKUlT_T0_E_clISt17integral_constantIbLb0EEST_IbLb1EEEEDaSP_SQ_EUlSP_E_NS1_11comp_targetILNS1_3genE8ELNS1_11target_archE1030ELNS1_3gpuE2ELNS1_3repE0EEENS1_30default_config_static_selectorELNS0_4arch9wavefront6targetE0EEEvT1_
; %bb.0:
	.section	.rodata,"a",@progbits
	.p2align	6, 0x0
	.amdhsa_kernel _ZN7rocprim17ROCPRIM_400000_NS6detail17trampoline_kernelINS0_14default_configENS1_20scan_config_selectorIiEEZZNS1_9scan_implILNS1_25lookback_scan_determinismE0ELb0ELb0ES3_N6thrust23THRUST_200600_302600_NS6detail15normal_iteratorINS9_10device_ptrIiEEEESE_iNS9_4plusIvEEiEEDaPvRmT3_T4_T5_mT6_P12ihipStream_tbENKUlT_T0_E_clISt17integral_constantIbLb0EEST_IbLb1EEEEDaSP_SQ_EUlSP_E_NS1_11comp_targetILNS1_3genE8ELNS1_11target_archE1030ELNS1_3gpuE2ELNS1_3repE0EEENS1_30default_config_static_selectorELNS0_4arch9wavefront6targetE0EEEvT1_
		.amdhsa_group_segment_fixed_size 0
		.amdhsa_private_segment_fixed_size 0
		.amdhsa_kernarg_size 96
		.amdhsa_user_sgpr_count 2
		.amdhsa_user_sgpr_dispatch_ptr 0
		.amdhsa_user_sgpr_queue_ptr 0
		.amdhsa_user_sgpr_kernarg_segment_ptr 1
		.amdhsa_user_sgpr_dispatch_id 0
		.amdhsa_user_sgpr_kernarg_preload_length 0
		.amdhsa_user_sgpr_kernarg_preload_offset 0
		.amdhsa_user_sgpr_private_segment_size 0
		.amdhsa_wavefront_size32 1
		.amdhsa_uses_dynamic_stack 0
		.amdhsa_enable_private_segment 0
		.amdhsa_system_sgpr_workgroup_id_x 1
		.amdhsa_system_sgpr_workgroup_id_y 0
		.amdhsa_system_sgpr_workgroup_id_z 0
		.amdhsa_system_sgpr_workgroup_info 0
		.amdhsa_system_vgpr_workitem_id 0
		.amdhsa_next_free_vgpr 1
		.amdhsa_next_free_sgpr 1
		.amdhsa_named_barrier_count 0
		.amdhsa_reserve_vcc 0
		.amdhsa_float_round_mode_32 0
		.amdhsa_float_round_mode_16_64 0
		.amdhsa_float_denorm_mode_32 3
		.amdhsa_float_denorm_mode_16_64 3
		.amdhsa_fp16_overflow 0
		.amdhsa_memory_ordered 1
		.amdhsa_forward_progress 1
		.amdhsa_inst_pref_size 0
		.amdhsa_round_robin_scheduling 0
		.amdhsa_exception_fp_ieee_invalid_op 0
		.amdhsa_exception_fp_denorm_src 0
		.amdhsa_exception_fp_ieee_div_zero 0
		.amdhsa_exception_fp_ieee_overflow 0
		.amdhsa_exception_fp_ieee_underflow 0
		.amdhsa_exception_fp_ieee_inexact 0
		.amdhsa_exception_int_div_zero 0
	.end_amdhsa_kernel
	.section	.text._ZN7rocprim17ROCPRIM_400000_NS6detail17trampoline_kernelINS0_14default_configENS1_20scan_config_selectorIiEEZZNS1_9scan_implILNS1_25lookback_scan_determinismE0ELb0ELb0ES3_N6thrust23THRUST_200600_302600_NS6detail15normal_iteratorINS9_10device_ptrIiEEEESE_iNS9_4plusIvEEiEEDaPvRmT3_T4_T5_mT6_P12ihipStream_tbENKUlT_T0_E_clISt17integral_constantIbLb0EEST_IbLb1EEEEDaSP_SQ_EUlSP_E_NS1_11comp_targetILNS1_3genE8ELNS1_11target_archE1030ELNS1_3gpuE2ELNS1_3repE0EEENS1_30default_config_static_selectorELNS0_4arch9wavefront6targetE0EEEvT1_,"axG",@progbits,_ZN7rocprim17ROCPRIM_400000_NS6detail17trampoline_kernelINS0_14default_configENS1_20scan_config_selectorIiEEZZNS1_9scan_implILNS1_25lookback_scan_determinismE0ELb0ELb0ES3_N6thrust23THRUST_200600_302600_NS6detail15normal_iteratorINS9_10device_ptrIiEEEESE_iNS9_4plusIvEEiEEDaPvRmT3_T4_T5_mT6_P12ihipStream_tbENKUlT_T0_E_clISt17integral_constantIbLb0EEST_IbLb1EEEEDaSP_SQ_EUlSP_E_NS1_11comp_targetILNS1_3genE8ELNS1_11target_archE1030ELNS1_3gpuE2ELNS1_3repE0EEENS1_30default_config_static_selectorELNS0_4arch9wavefront6targetE0EEEvT1_,comdat
.Lfunc_end74:
	.size	_ZN7rocprim17ROCPRIM_400000_NS6detail17trampoline_kernelINS0_14default_configENS1_20scan_config_selectorIiEEZZNS1_9scan_implILNS1_25lookback_scan_determinismE0ELb0ELb0ES3_N6thrust23THRUST_200600_302600_NS6detail15normal_iteratorINS9_10device_ptrIiEEEESE_iNS9_4plusIvEEiEEDaPvRmT3_T4_T5_mT6_P12ihipStream_tbENKUlT_T0_E_clISt17integral_constantIbLb0EEST_IbLb1EEEEDaSP_SQ_EUlSP_E_NS1_11comp_targetILNS1_3genE8ELNS1_11target_archE1030ELNS1_3gpuE2ELNS1_3repE0EEENS1_30default_config_static_selectorELNS0_4arch9wavefront6targetE0EEEvT1_, .Lfunc_end74-_ZN7rocprim17ROCPRIM_400000_NS6detail17trampoline_kernelINS0_14default_configENS1_20scan_config_selectorIiEEZZNS1_9scan_implILNS1_25lookback_scan_determinismE0ELb0ELb0ES3_N6thrust23THRUST_200600_302600_NS6detail15normal_iteratorINS9_10device_ptrIiEEEESE_iNS9_4plusIvEEiEEDaPvRmT3_T4_T5_mT6_P12ihipStream_tbENKUlT_T0_E_clISt17integral_constantIbLb0EEST_IbLb1EEEEDaSP_SQ_EUlSP_E_NS1_11comp_targetILNS1_3genE8ELNS1_11target_archE1030ELNS1_3gpuE2ELNS1_3repE0EEENS1_30default_config_static_selectorELNS0_4arch9wavefront6targetE0EEEvT1_
                                        ; -- End function
	.set _ZN7rocprim17ROCPRIM_400000_NS6detail17trampoline_kernelINS0_14default_configENS1_20scan_config_selectorIiEEZZNS1_9scan_implILNS1_25lookback_scan_determinismE0ELb0ELb0ES3_N6thrust23THRUST_200600_302600_NS6detail15normal_iteratorINS9_10device_ptrIiEEEESE_iNS9_4plusIvEEiEEDaPvRmT3_T4_T5_mT6_P12ihipStream_tbENKUlT_T0_E_clISt17integral_constantIbLb0EEST_IbLb1EEEEDaSP_SQ_EUlSP_E_NS1_11comp_targetILNS1_3genE8ELNS1_11target_archE1030ELNS1_3gpuE2ELNS1_3repE0EEENS1_30default_config_static_selectorELNS0_4arch9wavefront6targetE0EEEvT1_.num_vgpr, 0
	.set _ZN7rocprim17ROCPRIM_400000_NS6detail17trampoline_kernelINS0_14default_configENS1_20scan_config_selectorIiEEZZNS1_9scan_implILNS1_25lookback_scan_determinismE0ELb0ELb0ES3_N6thrust23THRUST_200600_302600_NS6detail15normal_iteratorINS9_10device_ptrIiEEEESE_iNS9_4plusIvEEiEEDaPvRmT3_T4_T5_mT6_P12ihipStream_tbENKUlT_T0_E_clISt17integral_constantIbLb0EEST_IbLb1EEEEDaSP_SQ_EUlSP_E_NS1_11comp_targetILNS1_3genE8ELNS1_11target_archE1030ELNS1_3gpuE2ELNS1_3repE0EEENS1_30default_config_static_selectorELNS0_4arch9wavefront6targetE0EEEvT1_.num_agpr, 0
	.set _ZN7rocprim17ROCPRIM_400000_NS6detail17trampoline_kernelINS0_14default_configENS1_20scan_config_selectorIiEEZZNS1_9scan_implILNS1_25lookback_scan_determinismE0ELb0ELb0ES3_N6thrust23THRUST_200600_302600_NS6detail15normal_iteratorINS9_10device_ptrIiEEEESE_iNS9_4plusIvEEiEEDaPvRmT3_T4_T5_mT6_P12ihipStream_tbENKUlT_T0_E_clISt17integral_constantIbLb0EEST_IbLb1EEEEDaSP_SQ_EUlSP_E_NS1_11comp_targetILNS1_3genE8ELNS1_11target_archE1030ELNS1_3gpuE2ELNS1_3repE0EEENS1_30default_config_static_selectorELNS0_4arch9wavefront6targetE0EEEvT1_.numbered_sgpr, 0
	.set _ZN7rocprim17ROCPRIM_400000_NS6detail17trampoline_kernelINS0_14default_configENS1_20scan_config_selectorIiEEZZNS1_9scan_implILNS1_25lookback_scan_determinismE0ELb0ELb0ES3_N6thrust23THRUST_200600_302600_NS6detail15normal_iteratorINS9_10device_ptrIiEEEESE_iNS9_4plusIvEEiEEDaPvRmT3_T4_T5_mT6_P12ihipStream_tbENKUlT_T0_E_clISt17integral_constantIbLb0EEST_IbLb1EEEEDaSP_SQ_EUlSP_E_NS1_11comp_targetILNS1_3genE8ELNS1_11target_archE1030ELNS1_3gpuE2ELNS1_3repE0EEENS1_30default_config_static_selectorELNS0_4arch9wavefront6targetE0EEEvT1_.num_named_barrier, 0
	.set _ZN7rocprim17ROCPRIM_400000_NS6detail17trampoline_kernelINS0_14default_configENS1_20scan_config_selectorIiEEZZNS1_9scan_implILNS1_25lookback_scan_determinismE0ELb0ELb0ES3_N6thrust23THRUST_200600_302600_NS6detail15normal_iteratorINS9_10device_ptrIiEEEESE_iNS9_4plusIvEEiEEDaPvRmT3_T4_T5_mT6_P12ihipStream_tbENKUlT_T0_E_clISt17integral_constantIbLb0EEST_IbLb1EEEEDaSP_SQ_EUlSP_E_NS1_11comp_targetILNS1_3genE8ELNS1_11target_archE1030ELNS1_3gpuE2ELNS1_3repE0EEENS1_30default_config_static_selectorELNS0_4arch9wavefront6targetE0EEEvT1_.private_seg_size, 0
	.set _ZN7rocprim17ROCPRIM_400000_NS6detail17trampoline_kernelINS0_14default_configENS1_20scan_config_selectorIiEEZZNS1_9scan_implILNS1_25lookback_scan_determinismE0ELb0ELb0ES3_N6thrust23THRUST_200600_302600_NS6detail15normal_iteratorINS9_10device_ptrIiEEEESE_iNS9_4plusIvEEiEEDaPvRmT3_T4_T5_mT6_P12ihipStream_tbENKUlT_T0_E_clISt17integral_constantIbLb0EEST_IbLb1EEEEDaSP_SQ_EUlSP_E_NS1_11comp_targetILNS1_3genE8ELNS1_11target_archE1030ELNS1_3gpuE2ELNS1_3repE0EEENS1_30default_config_static_selectorELNS0_4arch9wavefront6targetE0EEEvT1_.uses_vcc, 0
	.set _ZN7rocprim17ROCPRIM_400000_NS6detail17trampoline_kernelINS0_14default_configENS1_20scan_config_selectorIiEEZZNS1_9scan_implILNS1_25lookback_scan_determinismE0ELb0ELb0ES3_N6thrust23THRUST_200600_302600_NS6detail15normal_iteratorINS9_10device_ptrIiEEEESE_iNS9_4plusIvEEiEEDaPvRmT3_T4_T5_mT6_P12ihipStream_tbENKUlT_T0_E_clISt17integral_constantIbLb0EEST_IbLb1EEEEDaSP_SQ_EUlSP_E_NS1_11comp_targetILNS1_3genE8ELNS1_11target_archE1030ELNS1_3gpuE2ELNS1_3repE0EEENS1_30default_config_static_selectorELNS0_4arch9wavefront6targetE0EEEvT1_.uses_flat_scratch, 0
	.set _ZN7rocprim17ROCPRIM_400000_NS6detail17trampoline_kernelINS0_14default_configENS1_20scan_config_selectorIiEEZZNS1_9scan_implILNS1_25lookback_scan_determinismE0ELb0ELb0ES3_N6thrust23THRUST_200600_302600_NS6detail15normal_iteratorINS9_10device_ptrIiEEEESE_iNS9_4plusIvEEiEEDaPvRmT3_T4_T5_mT6_P12ihipStream_tbENKUlT_T0_E_clISt17integral_constantIbLb0EEST_IbLb1EEEEDaSP_SQ_EUlSP_E_NS1_11comp_targetILNS1_3genE8ELNS1_11target_archE1030ELNS1_3gpuE2ELNS1_3repE0EEENS1_30default_config_static_selectorELNS0_4arch9wavefront6targetE0EEEvT1_.has_dyn_sized_stack, 0
	.set _ZN7rocprim17ROCPRIM_400000_NS6detail17trampoline_kernelINS0_14default_configENS1_20scan_config_selectorIiEEZZNS1_9scan_implILNS1_25lookback_scan_determinismE0ELb0ELb0ES3_N6thrust23THRUST_200600_302600_NS6detail15normal_iteratorINS9_10device_ptrIiEEEESE_iNS9_4plusIvEEiEEDaPvRmT3_T4_T5_mT6_P12ihipStream_tbENKUlT_T0_E_clISt17integral_constantIbLb0EEST_IbLb1EEEEDaSP_SQ_EUlSP_E_NS1_11comp_targetILNS1_3genE8ELNS1_11target_archE1030ELNS1_3gpuE2ELNS1_3repE0EEENS1_30default_config_static_selectorELNS0_4arch9wavefront6targetE0EEEvT1_.has_recursion, 0
	.set _ZN7rocprim17ROCPRIM_400000_NS6detail17trampoline_kernelINS0_14default_configENS1_20scan_config_selectorIiEEZZNS1_9scan_implILNS1_25lookback_scan_determinismE0ELb0ELb0ES3_N6thrust23THRUST_200600_302600_NS6detail15normal_iteratorINS9_10device_ptrIiEEEESE_iNS9_4plusIvEEiEEDaPvRmT3_T4_T5_mT6_P12ihipStream_tbENKUlT_T0_E_clISt17integral_constantIbLb0EEST_IbLb1EEEEDaSP_SQ_EUlSP_E_NS1_11comp_targetILNS1_3genE8ELNS1_11target_archE1030ELNS1_3gpuE2ELNS1_3repE0EEENS1_30default_config_static_selectorELNS0_4arch9wavefront6targetE0EEEvT1_.has_indirect_call, 0
	.section	.AMDGPU.csdata,"",@progbits
; Kernel info:
; codeLenInByte = 0
; TotalNumSgprs: 0
; NumVgprs: 0
; ScratchSize: 0
; MemoryBound: 0
; FloatMode: 240
; IeeeMode: 1
; LDSByteSize: 0 bytes/workgroup (compile time only)
; SGPRBlocks: 0
; VGPRBlocks: 0
; NumSGPRsForWavesPerEU: 1
; NumVGPRsForWavesPerEU: 1
; NamedBarCnt: 0
; Occupancy: 16
; WaveLimiterHint : 0
; COMPUTE_PGM_RSRC2:SCRATCH_EN: 0
; COMPUTE_PGM_RSRC2:USER_SGPR: 2
; COMPUTE_PGM_RSRC2:TRAP_HANDLER: 0
; COMPUTE_PGM_RSRC2:TGID_X_EN: 1
; COMPUTE_PGM_RSRC2:TGID_Y_EN: 0
; COMPUTE_PGM_RSRC2:TGID_Z_EN: 0
; COMPUTE_PGM_RSRC2:TIDIG_COMP_CNT: 0
	.section	.text._ZN7rocprim17ROCPRIM_400000_NS6detail17trampoline_kernelINS0_14default_configENS1_20scan_config_selectorIiEEZZNS1_9scan_implILNS1_25lookback_scan_determinismE0ELb0ELb0ES3_N6thrust23THRUST_200600_302600_NS6detail15normal_iteratorINS9_10device_ptrIiEEEESE_iNS9_4plusIvEEiEEDaPvRmT3_T4_T5_mT6_P12ihipStream_tbENKUlT_T0_E_clISt17integral_constantIbLb0EEST_IbLb1EEEEDaSP_SQ_EUlSP_E0_NS1_11comp_targetILNS1_3genE0ELNS1_11target_archE4294967295ELNS1_3gpuE0ELNS1_3repE0EEENS1_30default_config_static_selectorELNS0_4arch9wavefront6targetE0EEEvT1_,"axG",@progbits,_ZN7rocprim17ROCPRIM_400000_NS6detail17trampoline_kernelINS0_14default_configENS1_20scan_config_selectorIiEEZZNS1_9scan_implILNS1_25lookback_scan_determinismE0ELb0ELb0ES3_N6thrust23THRUST_200600_302600_NS6detail15normal_iteratorINS9_10device_ptrIiEEEESE_iNS9_4plusIvEEiEEDaPvRmT3_T4_T5_mT6_P12ihipStream_tbENKUlT_T0_E_clISt17integral_constantIbLb0EEST_IbLb1EEEEDaSP_SQ_EUlSP_E0_NS1_11comp_targetILNS1_3genE0ELNS1_11target_archE4294967295ELNS1_3gpuE0ELNS1_3repE0EEENS1_30default_config_static_selectorELNS0_4arch9wavefront6targetE0EEEvT1_,comdat
	.protected	_ZN7rocprim17ROCPRIM_400000_NS6detail17trampoline_kernelINS0_14default_configENS1_20scan_config_selectorIiEEZZNS1_9scan_implILNS1_25lookback_scan_determinismE0ELb0ELb0ES3_N6thrust23THRUST_200600_302600_NS6detail15normal_iteratorINS9_10device_ptrIiEEEESE_iNS9_4plusIvEEiEEDaPvRmT3_T4_T5_mT6_P12ihipStream_tbENKUlT_T0_E_clISt17integral_constantIbLb0EEST_IbLb1EEEEDaSP_SQ_EUlSP_E0_NS1_11comp_targetILNS1_3genE0ELNS1_11target_archE4294967295ELNS1_3gpuE0ELNS1_3repE0EEENS1_30default_config_static_selectorELNS0_4arch9wavefront6targetE0EEEvT1_ ; -- Begin function _ZN7rocprim17ROCPRIM_400000_NS6detail17trampoline_kernelINS0_14default_configENS1_20scan_config_selectorIiEEZZNS1_9scan_implILNS1_25lookback_scan_determinismE0ELb0ELb0ES3_N6thrust23THRUST_200600_302600_NS6detail15normal_iteratorINS9_10device_ptrIiEEEESE_iNS9_4plusIvEEiEEDaPvRmT3_T4_T5_mT6_P12ihipStream_tbENKUlT_T0_E_clISt17integral_constantIbLb0EEST_IbLb1EEEEDaSP_SQ_EUlSP_E0_NS1_11comp_targetILNS1_3genE0ELNS1_11target_archE4294967295ELNS1_3gpuE0ELNS1_3repE0EEENS1_30default_config_static_selectorELNS0_4arch9wavefront6targetE0EEEvT1_
	.globl	_ZN7rocprim17ROCPRIM_400000_NS6detail17trampoline_kernelINS0_14default_configENS1_20scan_config_selectorIiEEZZNS1_9scan_implILNS1_25lookback_scan_determinismE0ELb0ELb0ES3_N6thrust23THRUST_200600_302600_NS6detail15normal_iteratorINS9_10device_ptrIiEEEESE_iNS9_4plusIvEEiEEDaPvRmT3_T4_T5_mT6_P12ihipStream_tbENKUlT_T0_E_clISt17integral_constantIbLb0EEST_IbLb1EEEEDaSP_SQ_EUlSP_E0_NS1_11comp_targetILNS1_3genE0ELNS1_11target_archE4294967295ELNS1_3gpuE0ELNS1_3repE0EEENS1_30default_config_static_selectorELNS0_4arch9wavefront6targetE0EEEvT1_
	.p2align	8
	.type	_ZN7rocprim17ROCPRIM_400000_NS6detail17trampoline_kernelINS0_14default_configENS1_20scan_config_selectorIiEEZZNS1_9scan_implILNS1_25lookback_scan_determinismE0ELb0ELb0ES3_N6thrust23THRUST_200600_302600_NS6detail15normal_iteratorINS9_10device_ptrIiEEEESE_iNS9_4plusIvEEiEEDaPvRmT3_T4_T5_mT6_P12ihipStream_tbENKUlT_T0_E_clISt17integral_constantIbLb0EEST_IbLb1EEEEDaSP_SQ_EUlSP_E0_NS1_11comp_targetILNS1_3genE0ELNS1_11target_archE4294967295ELNS1_3gpuE0ELNS1_3repE0EEENS1_30default_config_static_selectorELNS0_4arch9wavefront6targetE0EEEvT1_,@function
_ZN7rocprim17ROCPRIM_400000_NS6detail17trampoline_kernelINS0_14default_configENS1_20scan_config_selectorIiEEZZNS1_9scan_implILNS1_25lookback_scan_determinismE0ELb0ELb0ES3_N6thrust23THRUST_200600_302600_NS6detail15normal_iteratorINS9_10device_ptrIiEEEESE_iNS9_4plusIvEEiEEDaPvRmT3_T4_T5_mT6_P12ihipStream_tbENKUlT_T0_E_clISt17integral_constantIbLb0EEST_IbLb1EEEEDaSP_SQ_EUlSP_E0_NS1_11comp_targetILNS1_3genE0ELNS1_11target_archE4294967295ELNS1_3gpuE0ELNS1_3repE0EEENS1_30default_config_static_selectorELNS0_4arch9wavefront6targetE0EEEvT1_: ; @_ZN7rocprim17ROCPRIM_400000_NS6detail17trampoline_kernelINS0_14default_configENS1_20scan_config_selectorIiEEZZNS1_9scan_implILNS1_25lookback_scan_determinismE0ELb0ELb0ES3_N6thrust23THRUST_200600_302600_NS6detail15normal_iteratorINS9_10device_ptrIiEEEESE_iNS9_4plusIvEEiEEDaPvRmT3_T4_T5_mT6_P12ihipStream_tbENKUlT_T0_E_clISt17integral_constantIbLb0EEST_IbLb1EEEEDaSP_SQ_EUlSP_E0_NS1_11comp_targetILNS1_3genE0ELNS1_11target_archE4294967295ELNS1_3gpuE0ELNS1_3repE0EEENS1_30default_config_static_selectorELNS0_4arch9wavefront6targetE0EEEvT1_
; %bb.0:
	s_load_b128 s[16:19], s[0:1], 0x0
	s_wait_kmcnt 0x0
	v_cmp_gt_u32_e32 vcc_lo, s18, v0
	s_load_b32 s19, s[16:17], 0x0
	s_wait_kmcnt 0x0
	v_mov_b32_e32 v1, s19
	s_and_saveexec_b32 s2, vcc_lo
	s_cbranch_execz .LBB75_2
; %bb.1:
	global_load_b32 v1, v0, s[16:17] scale_offset
.LBB75_2:
	s_wait_xcnt 0x0
	s_or_b32 exec_lo, exec_lo, s2
	v_or_b32_e32 v2, 0x100, v0
	s_delay_alu instid0(VALU_DEP_1)
	v_cmp_gt_u32_e64 s2, s18, v2
	v_mov_b32_e32 v2, s19
	s_and_saveexec_b32 s3, s2
	s_cbranch_execz .LBB75_4
; %bb.3:
	global_load_b32 v2, v0, s[16:17] offset:1024 scale_offset
.LBB75_4:
	s_wait_xcnt 0x0
	s_or_b32 exec_lo, exec_lo, s3
	v_or_b32_e32 v3, 0x200, v0
	s_delay_alu instid0(VALU_DEP_1)
	v_cmp_gt_u32_e64 s3, s18, v3
	v_mov_b32_e32 v3, s19
	s_and_saveexec_b32 s4, s3
	s_cbranch_execz .LBB75_6
; %bb.5:
	global_load_b32 v3, v0, s[16:17] offset:2048 scale_offset
.LBB75_6:
	;; [unrolled: 11-line block ×12, first 2 shown]
	s_wait_xcnt 0x0
	s_or_b32 exec_lo, exec_lo, s14
	v_or_b32_e32 v14, 0xd00, v0
	s_delay_alu instid0(VALU_DEP_1) | instskip(SKIP_2) | instid1(SALU_CYCLE_1)
	v_cmp_gt_u32_e64 s14, s18, v14
	v_cmp_le_u32_e64 s15, s18, v14
	s_and_saveexec_b32 s18, s15
	s_xor_b32 s15, exec_lo, s18
	s_delay_alu instid0(SALU_CYCLE_1)
	s_or_saveexec_b32 s15, s15
	v_mov_b32_e32 v14, s19
	s_xor_b32 exec_lo, exec_lo, s15
	s_cbranch_execz .LBB75_28
; %bb.27:
	global_load_b32 v14, v0, s[16:17] offset:13312 scale_offset
.LBB75_28:
	s_wait_xcnt 0x0
	s_or_b32 exec_lo, exec_lo, s15
	v_dual_lshlrev_b32 v30, 2, v0 :: v_dual_bitop2_b32 v33, 31, v0 bitop3:0x54
	s_mov_b32 s16, exec_lo
	s_wait_loadcnt 0x0
	ds_store_2addr_stride64_b32 v30, v1, v2 offset1:4
	ds_store_2addr_stride64_b32 v30, v3, v4 offset0:8 offset1:12
	ds_store_2addr_stride64_b32 v30, v5, v6 offset0:16 offset1:20
	;; [unrolled: 1-line block ×6, first 2 shown]
	v_mad_u32_u24 v1, v0, 52, v30
	s_wait_dscnt 0x0
	s_barrier_signal -1
	s_barrier_wait -1
	ds_load_2addr_b64 v[6:9], v1 offset1:1
	ds_load_2addr_b64 v[2:5], v1 offset0:2 offset1:3
	ds_load_2addr_b64 v[10:13], v1 offset0:4 offset1:5
	ds_load_b64 v[28:29], v1 offset:48
	v_mbcnt_lo_u32_b32 v1, -1, 0
	s_wait_dscnt 0x0
	s_barrier_signal -1
	s_barrier_wait -1
	s_delay_alu instid0(VALU_DEP_1) | instskip(NEXT) | instid1(VALU_DEP_1)
	v_and_b32_e32 v14, 15, v1
	v_cmp_ne_u32_e64 s15, 0, v14
	v_add_nc_u32_e32 v15, v7, v6
	s_delay_alu instid0(VALU_DEP_1) | instskip(NEXT) | instid1(VALU_DEP_1)
	v_add_nc_u32_e32 v18, v15, v8
	v_add_nc_u32_e32 v19, v18, v9
	s_delay_alu instid0(VALU_DEP_1) | instskip(NEXT) | instid1(VALU_DEP_1)
	v_add_nc_u32_e32 v16, v19, v2
	v_add_nc_u32_e32 v17, v16, v3
	s_delay_alu instid0(VALU_DEP_1) | instskip(NEXT) | instid1(VALU_DEP_1)
	v_add_nc_u32_e32 v22, v17, v4
	v_add_nc_u32_e32 v23, v22, v5
	s_delay_alu instid0(VALU_DEP_1) | instskip(NEXT) | instid1(VALU_DEP_1)
	v_add_nc_u32_e32 v20, v23, v10
	v_add_nc_u32_e32 v21, v20, v11
	s_delay_alu instid0(VALU_DEP_1) | instskip(NEXT) | instid1(VALU_DEP_1)
	v_add_nc_u32_e32 v24, v21, v12
	v_add_nc_u32_e32 v25, v24, v13
	s_delay_alu instid0(VALU_DEP_1) | instskip(NEXT) | instid1(VALU_DEP_1)
	v_add_nc_u32_e32 v26, v25, v28
	v_add_nc_u32_e32 v27, v26, v29
	s_delay_alu instid0(VALU_DEP_1) | instskip(NEXT) | instid1(VALU_DEP_1)
	v_mov_b32_dpp v31, v27 row_shr:1 row_mask:0xf bank_mask:0xf
	v_cndmask_b32_e64 v31, 0, v31, s15
	s_delay_alu instid0(VALU_DEP_1) | instskip(SKIP_1) | instid1(VALU_DEP_2)
	v_add_nc_u32_e32 v31, v31, v27
	v_cmp_lt_u32_e64 s15, 1, v14
	v_mov_b32_dpp v32, v31 row_shr:2 row_mask:0xf bank_mask:0xf
	s_delay_alu instid0(VALU_DEP_1) | instskip(SKIP_1) | instid1(VALU_DEP_2)
	v_cndmask_b32_e64 v32, 0, v32, s15
	v_cmp_lt_u32_e64 s15, 3, v14
	v_add_nc_u32_e32 v31, v31, v32
	s_delay_alu instid0(VALU_DEP_1) | instskip(NEXT) | instid1(VALU_DEP_1)
	v_mov_b32_dpp v32, v31 row_shr:4 row_mask:0xf bank_mask:0xf
	v_cndmask_b32_e64 v32, 0, v32, s15
	v_cmp_lt_u32_e64 s15, 7, v14
	s_delay_alu instid0(VALU_DEP_2) | instskip(NEXT) | instid1(VALU_DEP_1)
	v_add_nc_u32_e32 v31, v31, v32
	v_mov_b32_dpp v32, v31 row_shr:8 row_mask:0xf bank_mask:0xf
	s_delay_alu instid0(VALU_DEP_1) | instskip(SKIP_1) | instid1(VALU_DEP_2)
	v_cndmask_b32_e64 v14, 0, v32, s15
	v_bfe_i32 v32, v1, 4, 1
	v_add_nc_u32_e32 v14, v31, v14
	ds_swizzle_b32 v31, v14 offset:swizzle(BROADCAST,32,15)
	s_wait_dscnt 0x0
	v_dual_lshrrev_b32 v31, 5, v0 :: v_dual_bitop2_b32 v32, v32, v31 bitop3:0x40
	s_delay_alu instid0(VALU_DEP_1)
	v_add_nc_u32_e32 v14, v14, v32
	v_cmpx_eq_u32_e64 v0, v33
; %bb.29:
	s_delay_alu instid0(VALU_DEP_3)
	v_lshlrev_b32_e32 v32, 2, v31
	ds_store_b32 v32, v14
; %bb.30:
	s_or_b32 exec_lo, exec_lo, s16
	s_delay_alu instid0(SALU_CYCLE_1)
	s_mov_b32 s16, exec_lo
	s_wait_dscnt 0x0
	s_barrier_signal -1
	s_barrier_wait -1
	v_cmpx_gt_u32_e32 8, v0
	s_cbranch_execz .LBB75_32
; %bb.31:
	ds_load_b32 v32, v30
	s_wait_dscnt 0x0
	v_mov_b32_dpp v34, v32 row_shr:1 row_mask:0xf bank_mask:0xf
	v_and_b32_e32 v33, 7, v1
	s_delay_alu instid0(VALU_DEP_1) | instskip(NEXT) | instid1(VALU_DEP_1)
	v_cmp_ne_u32_e64 s15, 0, v33
	v_cndmask_b32_e64 v34, 0, v34, s15
	v_cmp_lt_u32_e64 s15, 1, v33
	s_delay_alu instid0(VALU_DEP_2) | instskip(NEXT) | instid1(VALU_DEP_1)
	v_add_nc_u32_e32 v32, v34, v32
	v_mov_b32_dpp v34, v32 row_shr:2 row_mask:0xf bank_mask:0xf
	s_delay_alu instid0(VALU_DEP_1) | instskip(SKIP_1) | instid1(VALU_DEP_2)
	v_cndmask_b32_e64 v34, 0, v34, s15
	v_cmp_lt_u32_e64 s15, 3, v33
	v_add_nc_u32_e32 v32, v32, v34
	s_delay_alu instid0(VALU_DEP_1) | instskip(NEXT) | instid1(VALU_DEP_1)
	v_mov_b32_dpp v34, v32 row_shr:4 row_mask:0xf bank_mask:0xf
	v_cndmask_b32_e64 v33, 0, v34, s15
	s_delay_alu instid0(VALU_DEP_1)
	v_add_nc_u32_e32 v32, v32, v33
	ds_store_b32 v30, v32
.LBB75_32:
	s_or_b32 exec_lo, exec_lo, s16
	s_delay_alu instid0(SALU_CYCLE_1)
	s_mov_b32 s16, exec_lo
	s_wait_dscnt 0x0
	s_barrier_signal -1
	s_barrier_wait -1
                                        ; implicit-def: $vgpr32
	v_cmpx_lt_u32_e32 31, v0
	s_cbranch_execz .LBB75_34
; %bb.33:
	v_lshl_add_u32 v31, v31, 2, -4
	ds_load_b32 v32, v31
	s_wait_dscnt 0x0
	v_add_nc_u32_e32 v14, v32, v14
.LBB75_34:
	s_or_b32 exec_lo, exec_lo, s16
	v_add_nc_u32_e32 v31, -1, v1
	s_load_b64 s[16:17], s[0:1], 0x18
	s_wait_xcnt 0x0
	s_mov_b32 s1, exec_lo
	s_delay_alu instid0(VALU_DEP_1) | instskip(NEXT) | instid1(VALU_DEP_1)
	v_cmp_gt_i32_e64 s15, 0, v31
	v_cndmask_b32_e64 v31, v31, v1, s15
	s_delay_alu instid0(VALU_DEP_1)
	v_lshlrev_b32_e32 v31, 2, v31
	ds_bpermute_b32 v33, v31, v14
	v_mul_u32_u24_e32 v31, 52, v0
	v_mov_b32_e32 v14, v6
	v_cmpx_ne_u32_e32 0, v0
	s_cbranch_execz .LBB75_36
; %bb.35:
	v_cmp_eq_u32_e64 s0, 0, v1
	;;#ASMSTART
	;;#ASMEND
	s_wait_dscnt 0x0
	s_delay_alu instid0(VALU_DEP_1) | instskip(NEXT) | instid1(VALU_DEP_1)
	v_cndmask_b32_e64 v1, v33, v32, s0
	v_add_nc_u32_e32 v14, v1, v6
	s_delay_alu instid0(VALU_DEP_1) | instskip(NEXT) | instid1(VALU_DEP_1)
	v_add_nc_u32_e32 v15, v14, v7
	v_add_nc_u32_e32 v18, v15, v8
	s_delay_alu instid0(VALU_DEP_1) | instskip(NEXT) | instid1(VALU_DEP_1)
	v_add_nc_u32_e32 v19, v18, v9
	;; [unrolled: 3-line block ×6, first 2 shown]
	v_add_nc_u32_e32 v26, v25, v28
	s_delay_alu instid0(VALU_DEP_1)
	v_add_nc_u32_e32 v27, v26, v29
.LBB75_36:
	s_or_b32 exec_lo, exec_lo, s1
	v_dual_add_nc_u32 v1, v30, v31 :: v_dual_lshlrev_b32 v0, 2, v0
	s_wait_dscnt 0x0
	s_barrier_signal -1
	s_barrier_wait -1
	ds_store_2addr_b64 v1, v[14:15], v[18:19] offset1:1
	ds_store_2addr_b64 v1, v[16:17], v[22:23] offset0:2 offset1:3
	ds_store_2addr_b64 v1, v[20:21], v[24:25] offset0:4 offset1:5
	ds_store_b64 v1, v[26:27] offset:48
	s_wait_dscnt 0x0
	s_barrier_signal -1
	s_barrier_wait -1
	ds_load_2addr_stride64_b32 v[12:13], v30 offset0:4 offset1:8
	ds_load_2addr_stride64_b32 v[10:11], v30 offset0:12 offset1:16
	ds_load_2addr_stride64_b32 v[8:9], v30 offset0:20 offset1:24
	ds_load_2addr_stride64_b32 v[6:7], v30 offset0:28 offset1:32
	ds_load_2addr_stride64_b32 v[4:5], v30 offset0:36 offset1:40
	ds_load_2addr_stride64_b32 v[2:3], v30 offset0:44 offset1:48
	ds_load_b32 v14, v30 offset:13312
	v_mov_b32_e32 v1, 0
	s_wait_kmcnt 0x0
	s_delay_alu instid0(VALU_DEP_1)
	v_add_nc_u64_e32 v[0:1], s[16:17], v[0:1]
	s_and_saveexec_b32 s0, vcc_lo
	s_cbranch_execnz .LBB75_51
; %bb.37:
	s_or_b32 exec_lo, exec_lo, s0
	s_and_saveexec_b32 s0, s2
	s_cbranch_execnz .LBB75_52
.LBB75_38:
	s_or_b32 exec_lo, exec_lo, s0
	s_and_saveexec_b32 s0, s3
	s_cbranch_execnz .LBB75_53
.LBB75_39:
	s_or_b32 exec_lo, exec_lo, s0
	s_and_saveexec_b32 s0, s4
	s_cbranch_execnz .LBB75_54
.LBB75_40:
	s_or_b32 exec_lo, exec_lo, s0
	s_and_saveexec_b32 s0, s5
	s_cbranch_execnz .LBB75_55
.LBB75_41:
	s_or_b32 exec_lo, exec_lo, s0
	s_and_saveexec_b32 s0, s6
	s_cbranch_execnz .LBB75_56
.LBB75_42:
	s_or_b32 exec_lo, exec_lo, s0
	s_and_saveexec_b32 s0, s7
	s_cbranch_execnz .LBB75_57
.LBB75_43:
	s_or_b32 exec_lo, exec_lo, s0
	s_and_saveexec_b32 s0, s8
	s_cbranch_execnz .LBB75_58
.LBB75_44:
	s_or_b32 exec_lo, exec_lo, s0
	s_and_saveexec_b32 s0, s9
	s_cbranch_execnz .LBB75_59
.LBB75_45:
	s_or_b32 exec_lo, exec_lo, s0
	s_and_saveexec_b32 s0, s10
	s_cbranch_execnz .LBB75_60
.LBB75_46:
	s_or_b32 exec_lo, exec_lo, s0
	s_and_saveexec_b32 s0, s11
	s_cbranch_execnz .LBB75_61
.LBB75_47:
	s_or_b32 exec_lo, exec_lo, s0
	s_and_saveexec_b32 s0, s12
	s_cbranch_execnz .LBB75_62
.LBB75_48:
	s_or_b32 exec_lo, exec_lo, s0
	s_and_saveexec_b32 s0, s13
	s_cbranch_execnz .LBB75_63
.LBB75_49:
	s_or_b32 exec_lo, exec_lo, s0
	s_and_saveexec_b32 s0, s14
	s_cbranch_execnz .LBB75_64
.LBB75_50:
	s_endpgm
.LBB75_51:
	ds_load_b32 v15, v30
	s_wait_dscnt 0x0
	global_store_b32 v[0:1], v15, off
	s_wait_xcnt 0x0
	s_or_b32 exec_lo, exec_lo, s0
	s_and_saveexec_b32 s0, s2
	s_cbranch_execz .LBB75_38
.LBB75_52:
	s_wait_dscnt 0x6
	global_store_b32 v[0:1], v12, off offset:1024
	s_wait_xcnt 0x0
	s_or_b32 exec_lo, exec_lo, s0
	s_and_saveexec_b32 s0, s3
	s_cbranch_execz .LBB75_39
.LBB75_53:
	s_wait_dscnt 0x6
	global_store_b32 v[0:1], v13, off offset:2048
	s_wait_xcnt 0x0
	s_or_b32 exec_lo, exec_lo, s0
	s_and_saveexec_b32 s0, s4
	s_cbranch_execz .LBB75_40
.LBB75_54:
	s_wait_dscnt 0x5
	global_store_b32 v[0:1], v10, off offset:3072
	s_wait_xcnt 0x0
	s_or_b32 exec_lo, exec_lo, s0
	s_and_saveexec_b32 s0, s5
	s_cbranch_execz .LBB75_41
.LBB75_55:
	s_wait_dscnt 0x5
	global_store_b32 v[0:1], v11, off offset:4096
	s_wait_xcnt 0x0
	s_or_b32 exec_lo, exec_lo, s0
	s_and_saveexec_b32 s0, s6
	s_cbranch_execz .LBB75_42
.LBB75_56:
	s_wait_dscnt 0x4
	global_store_b32 v[0:1], v8, off offset:5120
	s_wait_xcnt 0x0
	s_or_b32 exec_lo, exec_lo, s0
	s_and_saveexec_b32 s0, s7
	s_cbranch_execz .LBB75_43
.LBB75_57:
	s_wait_dscnt 0x4
	global_store_b32 v[0:1], v9, off offset:6144
	s_wait_xcnt 0x0
	s_or_b32 exec_lo, exec_lo, s0
	s_and_saveexec_b32 s0, s8
	s_cbranch_execz .LBB75_44
.LBB75_58:
	s_wait_dscnt 0x3
	global_store_b32 v[0:1], v6, off offset:7168
	s_wait_xcnt 0x0
	s_or_b32 exec_lo, exec_lo, s0
	s_and_saveexec_b32 s0, s9
	s_cbranch_execz .LBB75_45
.LBB75_59:
	s_wait_dscnt 0x3
	global_store_b32 v[0:1], v7, off offset:8192
	s_wait_xcnt 0x0
	s_or_b32 exec_lo, exec_lo, s0
	s_and_saveexec_b32 s0, s10
	s_cbranch_execz .LBB75_46
.LBB75_60:
	s_wait_dscnt 0x2
	global_store_b32 v[0:1], v4, off offset:9216
	s_wait_xcnt 0x0
	s_or_b32 exec_lo, exec_lo, s0
	s_and_saveexec_b32 s0, s11
	s_cbranch_execz .LBB75_47
.LBB75_61:
	s_wait_dscnt 0x2
	global_store_b32 v[0:1], v5, off offset:10240
	s_wait_xcnt 0x0
	s_or_b32 exec_lo, exec_lo, s0
	s_and_saveexec_b32 s0, s12
	s_cbranch_execz .LBB75_48
.LBB75_62:
	s_wait_dscnt 0x1
	global_store_b32 v[0:1], v2, off offset:11264
	s_wait_xcnt 0x0
	s_or_b32 exec_lo, exec_lo, s0
	s_and_saveexec_b32 s0, s13
	s_cbranch_execz .LBB75_49
.LBB75_63:
	s_wait_dscnt 0x1
	global_store_b32 v[0:1], v3, off offset:12288
	s_wait_xcnt 0x0
	s_or_b32 exec_lo, exec_lo, s0
	s_and_saveexec_b32 s0, s14
	s_cbranch_execz .LBB75_50
.LBB75_64:
	s_wait_dscnt 0x0
	global_store_b32 v[0:1], v14, off offset:13312
	s_endpgm
	.section	.rodata,"a",@progbits
	.p2align	6, 0x0
	.amdhsa_kernel _ZN7rocprim17ROCPRIM_400000_NS6detail17trampoline_kernelINS0_14default_configENS1_20scan_config_selectorIiEEZZNS1_9scan_implILNS1_25lookback_scan_determinismE0ELb0ELb0ES3_N6thrust23THRUST_200600_302600_NS6detail15normal_iteratorINS9_10device_ptrIiEEEESE_iNS9_4plusIvEEiEEDaPvRmT3_T4_T5_mT6_P12ihipStream_tbENKUlT_T0_E_clISt17integral_constantIbLb0EEST_IbLb1EEEEDaSP_SQ_EUlSP_E0_NS1_11comp_targetILNS1_3genE0ELNS1_11target_archE4294967295ELNS1_3gpuE0ELNS1_3repE0EEENS1_30default_config_static_selectorELNS0_4arch9wavefront6targetE0EEEvT1_
		.amdhsa_group_segment_fixed_size 14336
		.amdhsa_private_segment_fixed_size 0
		.amdhsa_kernarg_size 32
		.amdhsa_user_sgpr_count 2
		.amdhsa_user_sgpr_dispatch_ptr 0
		.amdhsa_user_sgpr_queue_ptr 0
		.amdhsa_user_sgpr_kernarg_segment_ptr 1
		.amdhsa_user_sgpr_dispatch_id 0
		.amdhsa_user_sgpr_kernarg_preload_length 0
		.amdhsa_user_sgpr_kernarg_preload_offset 0
		.amdhsa_user_sgpr_private_segment_size 0
		.amdhsa_wavefront_size32 1
		.amdhsa_uses_dynamic_stack 0
		.amdhsa_enable_private_segment 0
		.amdhsa_system_sgpr_workgroup_id_x 1
		.amdhsa_system_sgpr_workgroup_id_y 0
		.amdhsa_system_sgpr_workgroup_id_z 0
		.amdhsa_system_sgpr_workgroup_info 0
		.amdhsa_system_vgpr_workitem_id 0
		.amdhsa_next_free_vgpr 35
		.amdhsa_next_free_sgpr 20
		.amdhsa_named_barrier_count 0
		.amdhsa_reserve_vcc 1
		.amdhsa_float_round_mode_32 0
		.amdhsa_float_round_mode_16_64 0
		.amdhsa_float_denorm_mode_32 3
		.amdhsa_float_denorm_mode_16_64 3
		.amdhsa_fp16_overflow 0
		.amdhsa_memory_ordered 1
		.amdhsa_forward_progress 1
		.amdhsa_inst_pref_size 19
		.amdhsa_round_robin_scheduling 0
		.amdhsa_exception_fp_ieee_invalid_op 0
		.amdhsa_exception_fp_denorm_src 0
		.amdhsa_exception_fp_ieee_div_zero 0
		.amdhsa_exception_fp_ieee_overflow 0
		.amdhsa_exception_fp_ieee_underflow 0
		.amdhsa_exception_fp_ieee_inexact 0
		.amdhsa_exception_int_div_zero 0
	.end_amdhsa_kernel
	.section	.text._ZN7rocprim17ROCPRIM_400000_NS6detail17trampoline_kernelINS0_14default_configENS1_20scan_config_selectorIiEEZZNS1_9scan_implILNS1_25lookback_scan_determinismE0ELb0ELb0ES3_N6thrust23THRUST_200600_302600_NS6detail15normal_iteratorINS9_10device_ptrIiEEEESE_iNS9_4plusIvEEiEEDaPvRmT3_T4_T5_mT6_P12ihipStream_tbENKUlT_T0_E_clISt17integral_constantIbLb0EEST_IbLb1EEEEDaSP_SQ_EUlSP_E0_NS1_11comp_targetILNS1_3genE0ELNS1_11target_archE4294967295ELNS1_3gpuE0ELNS1_3repE0EEENS1_30default_config_static_selectorELNS0_4arch9wavefront6targetE0EEEvT1_,"axG",@progbits,_ZN7rocprim17ROCPRIM_400000_NS6detail17trampoline_kernelINS0_14default_configENS1_20scan_config_selectorIiEEZZNS1_9scan_implILNS1_25lookback_scan_determinismE0ELb0ELb0ES3_N6thrust23THRUST_200600_302600_NS6detail15normal_iteratorINS9_10device_ptrIiEEEESE_iNS9_4plusIvEEiEEDaPvRmT3_T4_T5_mT6_P12ihipStream_tbENKUlT_T0_E_clISt17integral_constantIbLb0EEST_IbLb1EEEEDaSP_SQ_EUlSP_E0_NS1_11comp_targetILNS1_3genE0ELNS1_11target_archE4294967295ELNS1_3gpuE0ELNS1_3repE0EEENS1_30default_config_static_selectorELNS0_4arch9wavefront6targetE0EEEvT1_,comdat
.Lfunc_end75:
	.size	_ZN7rocprim17ROCPRIM_400000_NS6detail17trampoline_kernelINS0_14default_configENS1_20scan_config_selectorIiEEZZNS1_9scan_implILNS1_25lookback_scan_determinismE0ELb0ELb0ES3_N6thrust23THRUST_200600_302600_NS6detail15normal_iteratorINS9_10device_ptrIiEEEESE_iNS9_4plusIvEEiEEDaPvRmT3_T4_T5_mT6_P12ihipStream_tbENKUlT_T0_E_clISt17integral_constantIbLb0EEST_IbLb1EEEEDaSP_SQ_EUlSP_E0_NS1_11comp_targetILNS1_3genE0ELNS1_11target_archE4294967295ELNS1_3gpuE0ELNS1_3repE0EEENS1_30default_config_static_selectorELNS0_4arch9wavefront6targetE0EEEvT1_, .Lfunc_end75-_ZN7rocprim17ROCPRIM_400000_NS6detail17trampoline_kernelINS0_14default_configENS1_20scan_config_selectorIiEEZZNS1_9scan_implILNS1_25lookback_scan_determinismE0ELb0ELb0ES3_N6thrust23THRUST_200600_302600_NS6detail15normal_iteratorINS9_10device_ptrIiEEEESE_iNS9_4plusIvEEiEEDaPvRmT3_T4_T5_mT6_P12ihipStream_tbENKUlT_T0_E_clISt17integral_constantIbLb0EEST_IbLb1EEEEDaSP_SQ_EUlSP_E0_NS1_11comp_targetILNS1_3genE0ELNS1_11target_archE4294967295ELNS1_3gpuE0ELNS1_3repE0EEENS1_30default_config_static_selectorELNS0_4arch9wavefront6targetE0EEEvT1_
                                        ; -- End function
	.set _ZN7rocprim17ROCPRIM_400000_NS6detail17trampoline_kernelINS0_14default_configENS1_20scan_config_selectorIiEEZZNS1_9scan_implILNS1_25lookback_scan_determinismE0ELb0ELb0ES3_N6thrust23THRUST_200600_302600_NS6detail15normal_iteratorINS9_10device_ptrIiEEEESE_iNS9_4plusIvEEiEEDaPvRmT3_T4_T5_mT6_P12ihipStream_tbENKUlT_T0_E_clISt17integral_constantIbLb0EEST_IbLb1EEEEDaSP_SQ_EUlSP_E0_NS1_11comp_targetILNS1_3genE0ELNS1_11target_archE4294967295ELNS1_3gpuE0ELNS1_3repE0EEENS1_30default_config_static_selectorELNS0_4arch9wavefront6targetE0EEEvT1_.num_vgpr, 35
	.set _ZN7rocprim17ROCPRIM_400000_NS6detail17trampoline_kernelINS0_14default_configENS1_20scan_config_selectorIiEEZZNS1_9scan_implILNS1_25lookback_scan_determinismE0ELb0ELb0ES3_N6thrust23THRUST_200600_302600_NS6detail15normal_iteratorINS9_10device_ptrIiEEEESE_iNS9_4plusIvEEiEEDaPvRmT3_T4_T5_mT6_P12ihipStream_tbENKUlT_T0_E_clISt17integral_constantIbLb0EEST_IbLb1EEEEDaSP_SQ_EUlSP_E0_NS1_11comp_targetILNS1_3genE0ELNS1_11target_archE4294967295ELNS1_3gpuE0ELNS1_3repE0EEENS1_30default_config_static_selectorELNS0_4arch9wavefront6targetE0EEEvT1_.num_agpr, 0
	.set _ZN7rocprim17ROCPRIM_400000_NS6detail17trampoline_kernelINS0_14default_configENS1_20scan_config_selectorIiEEZZNS1_9scan_implILNS1_25lookback_scan_determinismE0ELb0ELb0ES3_N6thrust23THRUST_200600_302600_NS6detail15normal_iteratorINS9_10device_ptrIiEEEESE_iNS9_4plusIvEEiEEDaPvRmT3_T4_T5_mT6_P12ihipStream_tbENKUlT_T0_E_clISt17integral_constantIbLb0EEST_IbLb1EEEEDaSP_SQ_EUlSP_E0_NS1_11comp_targetILNS1_3genE0ELNS1_11target_archE4294967295ELNS1_3gpuE0ELNS1_3repE0EEENS1_30default_config_static_selectorELNS0_4arch9wavefront6targetE0EEEvT1_.numbered_sgpr, 20
	.set _ZN7rocprim17ROCPRIM_400000_NS6detail17trampoline_kernelINS0_14default_configENS1_20scan_config_selectorIiEEZZNS1_9scan_implILNS1_25lookback_scan_determinismE0ELb0ELb0ES3_N6thrust23THRUST_200600_302600_NS6detail15normal_iteratorINS9_10device_ptrIiEEEESE_iNS9_4plusIvEEiEEDaPvRmT3_T4_T5_mT6_P12ihipStream_tbENKUlT_T0_E_clISt17integral_constantIbLb0EEST_IbLb1EEEEDaSP_SQ_EUlSP_E0_NS1_11comp_targetILNS1_3genE0ELNS1_11target_archE4294967295ELNS1_3gpuE0ELNS1_3repE0EEENS1_30default_config_static_selectorELNS0_4arch9wavefront6targetE0EEEvT1_.num_named_barrier, 0
	.set _ZN7rocprim17ROCPRIM_400000_NS6detail17trampoline_kernelINS0_14default_configENS1_20scan_config_selectorIiEEZZNS1_9scan_implILNS1_25lookback_scan_determinismE0ELb0ELb0ES3_N6thrust23THRUST_200600_302600_NS6detail15normal_iteratorINS9_10device_ptrIiEEEESE_iNS9_4plusIvEEiEEDaPvRmT3_T4_T5_mT6_P12ihipStream_tbENKUlT_T0_E_clISt17integral_constantIbLb0EEST_IbLb1EEEEDaSP_SQ_EUlSP_E0_NS1_11comp_targetILNS1_3genE0ELNS1_11target_archE4294967295ELNS1_3gpuE0ELNS1_3repE0EEENS1_30default_config_static_selectorELNS0_4arch9wavefront6targetE0EEEvT1_.private_seg_size, 0
	.set _ZN7rocprim17ROCPRIM_400000_NS6detail17trampoline_kernelINS0_14default_configENS1_20scan_config_selectorIiEEZZNS1_9scan_implILNS1_25lookback_scan_determinismE0ELb0ELb0ES3_N6thrust23THRUST_200600_302600_NS6detail15normal_iteratorINS9_10device_ptrIiEEEESE_iNS9_4plusIvEEiEEDaPvRmT3_T4_T5_mT6_P12ihipStream_tbENKUlT_T0_E_clISt17integral_constantIbLb0EEST_IbLb1EEEEDaSP_SQ_EUlSP_E0_NS1_11comp_targetILNS1_3genE0ELNS1_11target_archE4294967295ELNS1_3gpuE0ELNS1_3repE0EEENS1_30default_config_static_selectorELNS0_4arch9wavefront6targetE0EEEvT1_.uses_vcc, 1
	.set _ZN7rocprim17ROCPRIM_400000_NS6detail17trampoline_kernelINS0_14default_configENS1_20scan_config_selectorIiEEZZNS1_9scan_implILNS1_25lookback_scan_determinismE0ELb0ELb0ES3_N6thrust23THRUST_200600_302600_NS6detail15normal_iteratorINS9_10device_ptrIiEEEESE_iNS9_4plusIvEEiEEDaPvRmT3_T4_T5_mT6_P12ihipStream_tbENKUlT_T0_E_clISt17integral_constantIbLb0EEST_IbLb1EEEEDaSP_SQ_EUlSP_E0_NS1_11comp_targetILNS1_3genE0ELNS1_11target_archE4294967295ELNS1_3gpuE0ELNS1_3repE0EEENS1_30default_config_static_selectorELNS0_4arch9wavefront6targetE0EEEvT1_.uses_flat_scratch, 0
	.set _ZN7rocprim17ROCPRIM_400000_NS6detail17trampoline_kernelINS0_14default_configENS1_20scan_config_selectorIiEEZZNS1_9scan_implILNS1_25lookback_scan_determinismE0ELb0ELb0ES3_N6thrust23THRUST_200600_302600_NS6detail15normal_iteratorINS9_10device_ptrIiEEEESE_iNS9_4plusIvEEiEEDaPvRmT3_T4_T5_mT6_P12ihipStream_tbENKUlT_T0_E_clISt17integral_constantIbLb0EEST_IbLb1EEEEDaSP_SQ_EUlSP_E0_NS1_11comp_targetILNS1_3genE0ELNS1_11target_archE4294967295ELNS1_3gpuE0ELNS1_3repE0EEENS1_30default_config_static_selectorELNS0_4arch9wavefront6targetE0EEEvT1_.has_dyn_sized_stack, 0
	.set _ZN7rocprim17ROCPRIM_400000_NS6detail17trampoline_kernelINS0_14default_configENS1_20scan_config_selectorIiEEZZNS1_9scan_implILNS1_25lookback_scan_determinismE0ELb0ELb0ES3_N6thrust23THRUST_200600_302600_NS6detail15normal_iteratorINS9_10device_ptrIiEEEESE_iNS9_4plusIvEEiEEDaPvRmT3_T4_T5_mT6_P12ihipStream_tbENKUlT_T0_E_clISt17integral_constantIbLb0EEST_IbLb1EEEEDaSP_SQ_EUlSP_E0_NS1_11comp_targetILNS1_3genE0ELNS1_11target_archE4294967295ELNS1_3gpuE0ELNS1_3repE0EEENS1_30default_config_static_selectorELNS0_4arch9wavefront6targetE0EEEvT1_.has_recursion, 0
	.set _ZN7rocprim17ROCPRIM_400000_NS6detail17trampoline_kernelINS0_14default_configENS1_20scan_config_selectorIiEEZZNS1_9scan_implILNS1_25lookback_scan_determinismE0ELb0ELb0ES3_N6thrust23THRUST_200600_302600_NS6detail15normal_iteratorINS9_10device_ptrIiEEEESE_iNS9_4plusIvEEiEEDaPvRmT3_T4_T5_mT6_P12ihipStream_tbENKUlT_T0_E_clISt17integral_constantIbLb0EEST_IbLb1EEEEDaSP_SQ_EUlSP_E0_NS1_11comp_targetILNS1_3genE0ELNS1_11target_archE4294967295ELNS1_3gpuE0ELNS1_3repE0EEENS1_30default_config_static_selectorELNS0_4arch9wavefront6targetE0EEEvT1_.has_indirect_call, 0
	.section	.AMDGPU.csdata,"",@progbits
; Kernel info:
; codeLenInByte = 2348
; TotalNumSgprs: 22
; NumVgprs: 35
; ScratchSize: 0
; MemoryBound: 0
; FloatMode: 240
; IeeeMode: 1
; LDSByteSize: 14336 bytes/workgroup (compile time only)
; SGPRBlocks: 0
; VGPRBlocks: 2
; NumSGPRsForWavesPerEU: 22
; NumVGPRsForWavesPerEU: 35
; NamedBarCnt: 0
; Occupancy: 16
; WaveLimiterHint : 0
; COMPUTE_PGM_RSRC2:SCRATCH_EN: 0
; COMPUTE_PGM_RSRC2:USER_SGPR: 2
; COMPUTE_PGM_RSRC2:TRAP_HANDLER: 0
; COMPUTE_PGM_RSRC2:TGID_X_EN: 1
; COMPUTE_PGM_RSRC2:TGID_Y_EN: 0
; COMPUTE_PGM_RSRC2:TGID_Z_EN: 0
; COMPUTE_PGM_RSRC2:TIDIG_COMP_CNT: 0
	.section	.text._ZN7rocprim17ROCPRIM_400000_NS6detail17trampoline_kernelINS0_14default_configENS1_20scan_config_selectorIiEEZZNS1_9scan_implILNS1_25lookback_scan_determinismE0ELb0ELb0ES3_N6thrust23THRUST_200600_302600_NS6detail15normal_iteratorINS9_10device_ptrIiEEEESE_iNS9_4plusIvEEiEEDaPvRmT3_T4_T5_mT6_P12ihipStream_tbENKUlT_T0_E_clISt17integral_constantIbLb0EEST_IbLb1EEEEDaSP_SQ_EUlSP_E0_NS1_11comp_targetILNS1_3genE5ELNS1_11target_archE942ELNS1_3gpuE9ELNS1_3repE0EEENS1_30default_config_static_selectorELNS0_4arch9wavefront6targetE0EEEvT1_,"axG",@progbits,_ZN7rocprim17ROCPRIM_400000_NS6detail17trampoline_kernelINS0_14default_configENS1_20scan_config_selectorIiEEZZNS1_9scan_implILNS1_25lookback_scan_determinismE0ELb0ELb0ES3_N6thrust23THRUST_200600_302600_NS6detail15normal_iteratorINS9_10device_ptrIiEEEESE_iNS9_4plusIvEEiEEDaPvRmT3_T4_T5_mT6_P12ihipStream_tbENKUlT_T0_E_clISt17integral_constantIbLb0EEST_IbLb1EEEEDaSP_SQ_EUlSP_E0_NS1_11comp_targetILNS1_3genE5ELNS1_11target_archE942ELNS1_3gpuE9ELNS1_3repE0EEENS1_30default_config_static_selectorELNS0_4arch9wavefront6targetE0EEEvT1_,comdat
	.protected	_ZN7rocprim17ROCPRIM_400000_NS6detail17trampoline_kernelINS0_14default_configENS1_20scan_config_selectorIiEEZZNS1_9scan_implILNS1_25lookback_scan_determinismE0ELb0ELb0ES3_N6thrust23THRUST_200600_302600_NS6detail15normal_iteratorINS9_10device_ptrIiEEEESE_iNS9_4plusIvEEiEEDaPvRmT3_T4_T5_mT6_P12ihipStream_tbENKUlT_T0_E_clISt17integral_constantIbLb0EEST_IbLb1EEEEDaSP_SQ_EUlSP_E0_NS1_11comp_targetILNS1_3genE5ELNS1_11target_archE942ELNS1_3gpuE9ELNS1_3repE0EEENS1_30default_config_static_selectorELNS0_4arch9wavefront6targetE0EEEvT1_ ; -- Begin function _ZN7rocprim17ROCPRIM_400000_NS6detail17trampoline_kernelINS0_14default_configENS1_20scan_config_selectorIiEEZZNS1_9scan_implILNS1_25lookback_scan_determinismE0ELb0ELb0ES3_N6thrust23THRUST_200600_302600_NS6detail15normal_iteratorINS9_10device_ptrIiEEEESE_iNS9_4plusIvEEiEEDaPvRmT3_T4_T5_mT6_P12ihipStream_tbENKUlT_T0_E_clISt17integral_constantIbLb0EEST_IbLb1EEEEDaSP_SQ_EUlSP_E0_NS1_11comp_targetILNS1_3genE5ELNS1_11target_archE942ELNS1_3gpuE9ELNS1_3repE0EEENS1_30default_config_static_selectorELNS0_4arch9wavefront6targetE0EEEvT1_
	.globl	_ZN7rocprim17ROCPRIM_400000_NS6detail17trampoline_kernelINS0_14default_configENS1_20scan_config_selectorIiEEZZNS1_9scan_implILNS1_25lookback_scan_determinismE0ELb0ELb0ES3_N6thrust23THRUST_200600_302600_NS6detail15normal_iteratorINS9_10device_ptrIiEEEESE_iNS9_4plusIvEEiEEDaPvRmT3_T4_T5_mT6_P12ihipStream_tbENKUlT_T0_E_clISt17integral_constantIbLb0EEST_IbLb1EEEEDaSP_SQ_EUlSP_E0_NS1_11comp_targetILNS1_3genE5ELNS1_11target_archE942ELNS1_3gpuE9ELNS1_3repE0EEENS1_30default_config_static_selectorELNS0_4arch9wavefront6targetE0EEEvT1_
	.p2align	8
	.type	_ZN7rocprim17ROCPRIM_400000_NS6detail17trampoline_kernelINS0_14default_configENS1_20scan_config_selectorIiEEZZNS1_9scan_implILNS1_25lookback_scan_determinismE0ELb0ELb0ES3_N6thrust23THRUST_200600_302600_NS6detail15normal_iteratorINS9_10device_ptrIiEEEESE_iNS9_4plusIvEEiEEDaPvRmT3_T4_T5_mT6_P12ihipStream_tbENKUlT_T0_E_clISt17integral_constantIbLb0EEST_IbLb1EEEEDaSP_SQ_EUlSP_E0_NS1_11comp_targetILNS1_3genE5ELNS1_11target_archE942ELNS1_3gpuE9ELNS1_3repE0EEENS1_30default_config_static_selectorELNS0_4arch9wavefront6targetE0EEEvT1_,@function
_ZN7rocprim17ROCPRIM_400000_NS6detail17trampoline_kernelINS0_14default_configENS1_20scan_config_selectorIiEEZZNS1_9scan_implILNS1_25lookback_scan_determinismE0ELb0ELb0ES3_N6thrust23THRUST_200600_302600_NS6detail15normal_iteratorINS9_10device_ptrIiEEEESE_iNS9_4plusIvEEiEEDaPvRmT3_T4_T5_mT6_P12ihipStream_tbENKUlT_T0_E_clISt17integral_constantIbLb0EEST_IbLb1EEEEDaSP_SQ_EUlSP_E0_NS1_11comp_targetILNS1_3genE5ELNS1_11target_archE942ELNS1_3gpuE9ELNS1_3repE0EEENS1_30default_config_static_selectorELNS0_4arch9wavefront6targetE0EEEvT1_: ; @_ZN7rocprim17ROCPRIM_400000_NS6detail17trampoline_kernelINS0_14default_configENS1_20scan_config_selectorIiEEZZNS1_9scan_implILNS1_25lookback_scan_determinismE0ELb0ELb0ES3_N6thrust23THRUST_200600_302600_NS6detail15normal_iteratorINS9_10device_ptrIiEEEESE_iNS9_4plusIvEEiEEDaPvRmT3_T4_T5_mT6_P12ihipStream_tbENKUlT_T0_E_clISt17integral_constantIbLb0EEST_IbLb1EEEEDaSP_SQ_EUlSP_E0_NS1_11comp_targetILNS1_3genE5ELNS1_11target_archE942ELNS1_3gpuE9ELNS1_3repE0EEENS1_30default_config_static_selectorELNS0_4arch9wavefront6targetE0EEEvT1_
; %bb.0:
	.section	.rodata,"a",@progbits
	.p2align	6, 0x0
	.amdhsa_kernel _ZN7rocprim17ROCPRIM_400000_NS6detail17trampoline_kernelINS0_14default_configENS1_20scan_config_selectorIiEEZZNS1_9scan_implILNS1_25lookback_scan_determinismE0ELb0ELb0ES3_N6thrust23THRUST_200600_302600_NS6detail15normal_iteratorINS9_10device_ptrIiEEEESE_iNS9_4plusIvEEiEEDaPvRmT3_T4_T5_mT6_P12ihipStream_tbENKUlT_T0_E_clISt17integral_constantIbLb0EEST_IbLb1EEEEDaSP_SQ_EUlSP_E0_NS1_11comp_targetILNS1_3genE5ELNS1_11target_archE942ELNS1_3gpuE9ELNS1_3repE0EEENS1_30default_config_static_selectorELNS0_4arch9wavefront6targetE0EEEvT1_
		.amdhsa_group_segment_fixed_size 0
		.amdhsa_private_segment_fixed_size 0
		.amdhsa_kernarg_size 32
		.amdhsa_user_sgpr_count 2
		.amdhsa_user_sgpr_dispatch_ptr 0
		.amdhsa_user_sgpr_queue_ptr 0
		.amdhsa_user_sgpr_kernarg_segment_ptr 1
		.amdhsa_user_sgpr_dispatch_id 0
		.amdhsa_user_sgpr_kernarg_preload_length 0
		.amdhsa_user_sgpr_kernarg_preload_offset 0
		.amdhsa_user_sgpr_private_segment_size 0
		.amdhsa_wavefront_size32 1
		.amdhsa_uses_dynamic_stack 0
		.amdhsa_enable_private_segment 0
		.amdhsa_system_sgpr_workgroup_id_x 1
		.amdhsa_system_sgpr_workgroup_id_y 0
		.amdhsa_system_sgpr_workgroup_id_z 0
		.amdhsa_system_sgpr_workgroup_info 0
		.amdhsa_system_vgpr_workitem_id 0
		.amdhsa_next_free_vgpr 1
		.amdhsa_next_free_sgpr 1
		.amdhsa_named_barrier_count 0
		.amdhsa_reserve_vcc 0
		.amdhsa_float_round_mode_32 0
		.amdhsa_float_round_mode_16_64 0
		.amdhsa_float_denorm_mode_32 3
		.amdhsa_float_denorm_mode_16_64 3
		.amdhsa_fp16_overflow 0
		.amdhsa_memory_ordered 1
		.amdhsa_forward_progress 1
		.amdhsa_inst_pref_size 0
		.amdhsa_round_robin_scheduling 0
		.amdhsa_exception_fp_ieee_invalid_op 0
		.amdhsa_exception_fp_denorm_src 0
		.amdhsa_exception_fp_ieee_div_zero 0
		.amdhsa_exception_fp_ieee_overflow 0
		.amdhsa_exception_fp_ieee_underflow 0
		.amdhsa_exception_fp_ieee_inexact 0
		.amdhsa_exception_int_div_zero 0
	.end_amdhsa_kernel
	.section	.text._ZN7rocprim17ROCPRIM_400000_NS6detail17trampoline_kernelINS0_14default_configENS1_20scan_config_selectorIiEEZZNS1_9scan_implILNS1_25lookback_scan_determinismE0ELb0ELb0ES3_N6thrust23THRUST_200600_302600_NS6detail15normal_iteratorINS9_10device_ptrIiEEEESE_iNS9_4plusIvEEiEEDaPvRmT3_T4_T5_mT6_P12ihipStream_tbENKUlT_T0_E_clISt17integral_constantIbLb0EEST_IbLb1EEEEDaSP_SQ_EUlSP_E0_NS1_11comp_targetILNS1_3genE5ELNS1_11target_archE942ELNS1_3gpuE9ELNS1_3repE0EEENS1_30default_config_static_selectorELNS0_4arch9wavefront6targetE0EEEvT1_,"axG",@progbits,_ZN7rocprim17ROCPRIM_400000_NS6detail17trampoline_kernelINS0_14default_configENS1_20scan_config_selectorIiEEZZNS1_9scan_implILNS1_25lookback_scan_determinismE0ELb0ELb0ES3_N6thrust23THRUST_200600_302600_NS6detail15normal_iteratorINS9_10device_ptrIiEEEESE_iNS9_4plusIvEEiEEDaPvRmT3_T4_T5_mT6_P12ihipStream_tbENKUlT_T0_E_clISt17integral_constantIbLb0EEST_IbLb1EEEEDaSP_SQ_EUlSP_E0_NS1_11comp_targetILNS1_3genE5ELNS1_11target_archE942ELNS1_3gpuE9ELNS1_3repE0EEENS1_30default_config_static_selectorELNS0_4arch9wavefront6targetE0EEEvT1_,comdat
.Lfunc_end76:
	.size	_ZN7rocprim17ROCPRIM_400000_NS6detail17trampoline_kernelINS0_14default_configENS1_20scan_config_selectorIiEEZZNS1_9scan_implILNS1_25lookback_scan_determinismE0ELb0ELb0ES3_N6thrust23THRUST_200600_302600_NS6detail15normal_iteratorINS9_10device_ptrIiEEEESE_iNS9_4plusIvEEiEEDaPvRmT3_T4_T5_mT6_P12ihipStream_tbENKUlT_T0_E_clISt17integral_constantIbLb0EEST_IbLb1EEEEDaSP_SQ_EUlSP_E0_NS1_11comp_targetILNS1_3genE5ELNS1_11target_archE942ELNS1_3gpuE9ELNS1_3repE0EEENS1_30default_config_static_selectorELNS0_4arch9wavefront6targetE0EEEvT1_, .Lfunc_end76-_ZN7rocprim17ROCPRIM_400000_NS6detail17trampoline_kernelINS0_14default_configENS1_20scan_config_selectorIiEEZZNS1_9scan_implILNS1_25lookback_scan_determinismE0ELb0ELb0ES3_N6thrust23THRUST_200600_302600_NS6detail15normal_iteratorINS9_10device_ptrIiEEEESE_iNS9_4plusIvEEiEEDaPvRmT3_T4_T5_mT6_P12ihipStream_tbENKUlT_T0_E_clISt17integral_constantIbLb0EEST_IbLb1EEEEDaSP_SQ_EUlSP_E0_NS1_11comp_targetILNS1_3genE5ELNS1_11target_archE942ELNS1_3gpuE9ELNS1_3repE0EEENS1_30default_config_static_selectorELNS0_4arch9wavefront6targetE0EEEvT1_
                                        ; -- End function
	.set _ZN7rocprim17ROCPRIM_400000_NS6detail17trampoline_kernelINS0_14default_configENS1_20scan_config_selectorIiEEZZNS1_9scan_implILNS1_25lookback_scan_determinismE0ELb0ELb0ES3_N6thrust23THRUST_200600_302600_NS6detail15normal_iteratorINS9_10device_ptrIiEEEESE_iNS9_4plusIvEEiEEDaPvRmT3_T4_T5_mT6_P12ihipStream_tbENKUlT_T0_E_clISt17integral_constantIbLb0EEST_IbLb1EEEEDaSP_SQ_EUlSP_E0_NS1_11comp_targetILNS1_3genE5ELNS1_11target_archE942ELNS1_3gpuE9ELNS1_3repE0EEENS1_30default_config_static_selectorELNS0_4arch9wavefront6targetE0EEEvT1_.num_vgpr, 0
	.set _ZN7rocprim17ROCPRIM_400000_NS6detail17trampoline_kernelINS0_14default_configENS1_20scan_config_selectorIiEEZZNS1_9scan_implILNS1_25lookback_scan_determinismE0ELb0ELb0ES3_N6thrust23THRUST_200600_302600_NS6detail15normal_iteratorINS9_10device_ptrIiEEEESE_iNS9_4plusIvEEiEEDaPvRmT3_T4_T5_mT6_P12ihipStream_tbENKUlT_T0_E_clISt17integral_constantIbLb0EEST_IbLb1EEEEDaSP_SQ_EUlSP_E0_NS1_11comp_targetILNS1_3genE5ELNS1_11target_archE942ELNS1_3gpuE9ELNS1_3repE0EEENS1_30default_config_static_selectorELNS0_4arch9wavefront6targetE0EEEvT1_.num_agpr, 0
	.set _ZN7rocprim17ROCPRIM_400000_NS6detail17trampoline_kernelINS0_14default_configENS1_20scan_config_selectorIiEEZZNS1_9scan_implILNS1_25lookback_scan_determinismE0ELb0ELb0ES3_N6thrust23THRUST_200600_302600_NS6detail15normal_iteratorINS9_10device_ptrIiEEEESE_iNS9_4plusIvEEiEEDaPvRmT3_T4_T5_mT6_P12ihipStream_tbENKUlT_T0_E_clISt17integral_constantIbLb0EEST_IbLb1EEEEDaSP_SQ_EUlSP_E0_NS1_11comp_targetILNS1_3genE5ELNS1_11target_archE942ELNS1_3gpuE9ELNS1_3repE0EEENS1_30default_config_static_selectorELNS0_4arch9wavefront6targetE0EEEvT1_.numbered_sgpr, 0
	.set _ZN7rocprim17ROCPRIM_400000_NS6detail17trampoline_kernelINS0_14default_configENS1_20scan_config_selectorIiEEZZNS1_9scan_implILNS1_25lookback_scan_determinismE0ELb0ELb0ES3_N6thrust23THRUST_200600_302600_NS6detail15normal_iteratorINS9_10device_ptrIiEEEESE_iNS9_4plusIvEEiEEDaPvRmT3_T4_T5_mT6_P12ihipStream_tbENKUlT_T0_E_clISt17integral_constantIbLb0EEST_IbLb1EEEEDaSP_SQ_EUlSP_E0_NS1_11comp_targetILNS1_3genE5ELNS1_11target_archE942ELNS1_3gpuE9ELNS1_3repE0EEENS1_30default_config_static_selectorELNS0_4arch9wavefront6targetE0EEEvT1_.num_named_barrier, 0
	.set _ZN7rocprim17ROCPRIM_400000_NS6detail17trampoline_kernelINS0_14default_configENS1_20scan_config_selectorIiEEZZNS1_9scan_implILNS1_25lookback_scan_determinismE0ELb0ELb0ES3_N6thrust23THRUST_200600_302600_NS6detail15normal_iteratorINS9_10device_ptrIiEEEESE_iNS9_4plusIvEEiEEDaPvRmT3_T4_T5_mT6_P12ihipStream_tbENKUlT_T0_E_clISt17integral_constantIbLb0EEST_IbLb1EEEEDaSP_SQ_EUlSP_E0_NS1_11comp_targetILNS1_3genE5ELNS1_11target_archE942ELNS1_3gpuE9ELNS1_3repE0EEENS1_30default_config_static_selectorELNS0_4arch9wavefront6targetE0EEEvT1_.private_seg_size, 0
	.set _ZN7rocprim17ROCPRIM_400000_NS6detail17trampoline_kernelINS0_14default_configENS1_20scan_config_selectorIiEEZZNS1_9scan_implILNS1_25lookback_scan_determinismE0ELb0ELb0ES3_N6thrust23THRUST_200600_302600_NS6detail15normal_iteratorINS9_10device_ptrIiEEEESE_iNS9_4plusIvEEiEEDaPvRmT3_T4_T5_mT6_P12ihipStream_tbENKUlT_T0_E_clISt17integral_constantIbLb0EEST_IbLb1EEEEDaSP_SQ_EUlSP_E0_NS1_11comp_targetILNS1_3genE5ELNS1_11target_archE942ELNS1_3gpuE9ELNS1_3repE0EEENS1_30default_config_static_selectorELNS0_4arch9wavefront6targetE0EEEvT1_.uses_vcc, 0
	.set _ZN7rocprim17ROCPRIM_400000_NS6detail17trampoline_kernelINS0_14default_configENS1_20scan_config_selectorIiEEZZNS1_9scan_implILNS1_25lookback_scan_determinismE0ELb0ELb0ES3_N6thrust23THRUST_200600_302600_NS6detail15normal_iteratorINS9_10device_ptrIiEEEESE_iNS9_4plusIvEEiEEDaPvRmT3_T4_T5_mT6_P12ihipStream_tbENKUlT_T0_E_clISt17integral_constantIbLb0EEST_IbLb1EEEEDaSP_SQ_EUlSP_E0_NS1_11comp_targetILNS1_3genE5ELNS1_11target_archE942ELNS1_3gpuE9ELNS1_3repE0EEENS1_30default_config_static_selectorELNS0_4arch9wavefront6targetE0EEEvT1_.uses_flat_scratch, 0
	.set _ZN7rocprim17ROCPRIM_400000_NS6detail17trampoline_kernelINS0_14default_configENS1_20scan_config_selectorIiEEZZNS1_9scan_implILNS1_25lookback_scan_determinismE0ELb0ELb0ES3_N6thrust23THRUST_200600_302600_NS6detail15normal_iteratorINS9_10device_ptrIiEEEESE_iNS9_4plusIvEEiEEDaPvRmT3_T4_T5_mT6_P12ihipStream_tbENKUlT_T0_E_clISt17integral_constantIbLb0EEST_IbLb1EEEEDaSP_SQ_EUlSP_E0_NS1_11comp_targetILNS1_3genE5ELNS1_11target_archE942ELNS1_3gpuE9ELNS1_3repE0EEENS1_30default_config_static_selectorELNS0_4arch9wavefront6targetE0EEEvT1_.has_dyn_sized_stack, 0
	.set _ZN7rocprim17ROCPRIM_400000_NS6detail17trampoline_kernelINS0_14default_configENS1_20scan_config_selectorIiEEZZNS1_9scan_implILNS1_25lookback_scan_determinismE0ELb0ELb0ES3_N6thrust23THRUST_200600_302600_NS6detail15normal_iteratorINS9_10device_ptrIiEEEESE_iNS9_4plusIvEEiEEDaPvRmT3_T4_T5_mT6_P12ihipStream_tbENKUlT_T0_E_clISt17integral_constantIbLb0EEST_IbLb1EEEEDaSP_SQ_EUlSP_E0_NS1_11comp_targetILNS1_3genE5ELNS1_11target_archE942ELNS1_3gpuE9ELNS1_3repE0EEENS1_30default_config_static_selectorELNS0_4arch9wavefront6targetE0EEEvT1_.has_recursion, 0
	.set _ZN7rocprim17ROCPRIM_400000_NS6detail17trampoline_kernelINS0_14default_configENS1_20scan_config_selectorIiEEZZNS1_9scan_implILNS1_25lookback_scan_determinismE0ELb0ELb0ES3_N6thrust23THRUST_200600_302600_NS6detail15normal_iteratorINS9_10device_ptrIiEEEESE_iNS9_4plusIvEEiEEDaPvRmT3_T4_T5_mT6_P12ihipStream_tbENKUlT_T0_E_clISt17integral_constantIbLb0EEST_IbLb1EEEEDaSP_SQ_EUlSP_E0_NS1_11comp_targetILNS1_3genE5ELNS1_11target_archE942ELNS1_3gpuE9ELNS1_3repE0EEENS1_30default_config_static_selectorELNS0_4arch9wavefront6targetE0EEEvT1_.has_indirect_call, 0
	.section	.AMDGPU.csdata,"",@progbits
; Kernel info:
; codeLenInByte = 0
; TotalNumSgprs: 0
; NumVgprs: 0
; ScratchSize: 0
; MemoryBound: 0
; FloatMode: 240
; IeeeMode: 1
; LDSByteSize: 0 bytes/workgroup (compile time only)
; SGPRBlocks: 0
; VGPRBlocks: 0
; NumSGPRsForWavesPerEU: 1
; NumVGPRsForWavesPerEU: 1
; NamedBarCnt: 0
; Occupancy: 16
; WaveLimiterHint : 0
; COMPUTE_PGM_RSRC2:SCRATCH_EN: 0
; COMPUTE_PGM_RSRC2:USER_SGPR: 2
; COMPUTE_PGM_RSRC2:TRAP_HANDLER: 0
; COMPUTE_PGM_RSRC2:TGID_X_EN: 1
; COMPUTE_PGM_RSRC2:TGID_Y_EN: 0
; COMPUTE_PGM_RSRC2:TGID_Z_EN: 0
; COMPUTE_PGM_RSRC2:TIDIG_COMP_CNT: 0
	.section	.text._ZN7rocprim17ROCPRIM_400000_NS6detail17trampoline_kernelINS0_14default_configENS1_20scan_config_selectorIiEEZZNS1_9scan_implILNS1_25lookback_scan_determinismE0ELb0ELb0ES3_N6thrust23THRUST_200600_302600_NS6detail15normal_iteratorINS9_10device_ptrIiEEEESE_iNS9_4plusIvEEiEEDaPvRmT3_T4_T5_mT6_P12ihipStream_tbENKUlT_T0_E_clISt17integral_constantIbLb0EEST_IbLb1EEEEDaSP_SQ_EUlSP_E0_NS1_11comp_targetILNS1_3genE4ELNS1_11target_archE910ELNS1_3gpuE8ELNS1_3repE0EEENS1_30default_config_static_selectorELNS0_4arch9wavefront6targetE0EEEvT1_,"axG",@progbits,_ZN7rocprim17ROCPRIM_400000_NS6detail17trampoline_kernelINS0_14default_configENS1_20scan_config_selectorIiEEZZNS1_9scan_implILNS1_25lookback_scan_determinismE0ELb0ELb0ES3_N6thrust23THRUST_200600_302600_NS6detail15normal_iteratorINS9_10device_ptrIiEEEESE_iNS9_4plusIvEEiEEDaPvRmT3_T4_T5_mT6_P12ihipStream_tbENKUlT_T0_E_clISt17integral_constantIbLb0EEST_IbLb1EEEEDaSP_SQ_EUlSP_E0_NS1_11comp_targetILNS1_3genE4ELNS1_11target_archE910ELNS1_3gpuE8ELNS1_3repE0EEENS1_30default_config_static_selectorELNS0_4arch9wavefront6targetE0EEEvT1_,comdat
	.protected	_ZN7rocprim17ROCPRIM_400000_NS6detail17trampoline_kernelINS0_14default_configENS1_20scan_config_selectorIiEEZZNS1_9scan_implILNS1_25lookback_scan_determinismE0ELb0ELb0ES3_N6thrust23THRUST_200600_302600_NS6detail15normal_iteratorINS9_10device_ptrIiEEEESE_iNS9_4plusIvEEiEEDaPvRmT3_T4_T5_mT6_P12ihipStream_tbENKUlT_T0_E_clISt17integral_constantIbLb0EEST_IbLb1EEEEDaSP_SQ_EUlSP_E0_NS1_11comp_targetILNS1_3genE4ELNS1_11target_archE910ELNS1_3gpuE8ELNS1_3repE0EEENS1_30default_config_static_selectorELNS0_4arch9wavefront6targetE0EEEvT1_ ; -- Begin function _ZN7rocprim17ROCPRIM_400000_NS6detail17trampoline_kernelINS0_14default_configENS1_20scan_config_selectorIiEEZZNS1_9scan_implILNS1_25lookback_scan_determinismE0ELb0ELb0ES3_N6thrust23THRUST_200600_302600_NS6detail15normal_iteratorINS9_10device_ptrIiEEEESE_iNS9_4plusIvEEiEEDaPvRmT3_T4_T5_mT6_P12ihipStream_tbENKUlT_T0_E_clISt17integral_constantIbLb0EEST_IbLb1EEEEDaSP_SQ_EUlSP_E0_NS1_11comp_targetILNS1_3genE4ELNS1_11target_archE910ELNS1_3gpuE8ELNS1_3repE0EEENS1_30default_config_static_selectorELNS0_4arch9wavefront6targetE0EEEvT1_
	.globl	_ZN7rocprim17ROCPRIM_400000_NS6detail17trampoline_kernelINS0_14default_configENS1_20scan_config_selectorIiEEZZNS1_9scan_implILNS1_25lookback_scan_determinismE0ELb0ELb0ES3_N6thrust23THRUST_200600_302600_NS6detail15normal_iteratorINS9_10device_ptrIiEEEESE_iNS9_4plusIvEEiEEDaPvRmT3_T4_T5_mT6_P12ihipStream_tbENKUlT_T0_E_clISt17integral_constantIbLb0EEST_IbLb1EEEEDaSP_SQ_EUlSP_E0_NS1_11comp_targetILNS1_3genE4ELNS1_11target_archE910ELNS1_3gpuE8ELNS1_3repE0EEENS1_30default_config_static_selectorELNS0_4arch9wavefront6targetE0EEEvT1_
	.p2align	8
	.type	_ZN7rocprim17ROCPRIM_400000_NS6detail17trampoline_kernelINS0_14default_configENS1_20scan_config_selectorIiEEZZNS1_9scan_implILNS1_25lookback_scan_determinismE0ELb0ELb0ES3_N6thrust23THRUST_200600_302600_NS6detail15normal_iteratorINS9_10device_ptrIiEEEESE_iNS9_4plusIvEEiEEDaPvRmT3_T4_T5_mT6_P12ihipStream_tbENKUlT_T0_E_clISt17integral_constantIbLb0EEST_IbLb1EEEEDaSP_SQ_EUlSP_E0_NS1_11comp_targetILNS1_3genE4ELNS1_11target_archE910ELNS1_3gpuE8ELNS1_3repE0EEENS1_30default_config_static_selectorELNS0_4arch9wavefront6targetE0EEEvT1_,@function
_ZN7rocprim17ROCPRIM_400000_NS6detail17trampoline_kernelINS0_14default_configENS1_20scan_config_selectorIiEEZZNS1_9scan_implILNS1_25lookback_scan_determinismE0ELb0ELb0ES3_N6thrust23THRUST_200600_302600_NS6detail15normal_iteratorINS9_10device_ptrIiEEEESE_iNS9_4plusIvEEiEEDaPvRmT3_T4_T5_mT6_P12ihipStream_tbENKUlT_T0_E_clISt17integral_constantIbLb0EEST_IbLb1EEEEDaSP_SQ_EUlSP_E0_NS1_11comp_targetILNS1_3genE4ELNS1_11target_archE910ELNS1_3gpuE8ELNS1_3repE0EEENS1_30default_config_static_selectorELNS0_4arch9wavefront6targetE0EEEvT1_: ; @_ZN7rocprim17ROCPRIM_400000_NS6detail17trampoline_kernelINS0_14default_configENS1_20scan_config_selectorIiEEZZNS1_9scan_implILNS1_25lookback_scan_determinismE0ELb0ELb0ES3_N6thrust23THRUST_200600_302600_NS6detail15normal_iteratorINS9_10device_ptrIiEEEESE_iNS9_4plusIvEEiEEDaPvRmT3_T4_T5_mT6_P12ihipStream_tbENKUlT_T0_E_clISt17integral_constantIbLb0EEST_IbLb1EEEEDaSP_SQ_EUlSP_E0_NS1_11comp_targetILNS1_3genE4ELNS1_11target_archE910ELNS1_3gpuE8ELNS1_3repE0EEENS1_30default_config_static_selectorELNS0_4arch9wavefront6targetE0EEEvT1_
; %bb.0:
	.section	.rodata,"a",@progbits
	.p2align	6, 0x0
	.amdhsa_kernel _ZN7rocprim17ROCPRIM_400000_NS6detail17trampoline_kernelINS0_14default_configENS1_20scan_config_selectorIiEEZZNS1_9scan_implILNS1_25lookback_scan_determinismE0ELb0ELb0ES3_N6thrust23THRUST_200600_302600_NS6detail15normal_iteratorINS9_10device_ptrIiEEEESE_iNS9_4plusIvEEiEEDaPvRmT3_T4_T5_mT6_P12ihipStream_tbENKUlT_T0_E_clISt17integral_constantIbLb0EEST_IbLb1EEEEDaSP_SQ_EUlSP_E0_NS1_11comp_targetILNS1_3genE4ELNS1_11target_archE910ELNS1_3gpuE8ELNS1_3repE0EEENS1_30default_config_static_selectorELNS0_4arch9wavefront6targetE0EEEvT1_
		.amdhsa_group_segment_fixed_size 0
		.amdhsa_private_segment_fixed_size 0
		.amdhsa_kernarg_size 32
		.amdhsa_user_sgpr_count 2
		.amdhsa_user_sgpr_dispatch_ptr 0
		.amdhsa_user_sgpr_queue_ptr 0
		.amdhsa_user_sgpr_kernarg_segment_ptr 1
		.amdhsa_user_sgpr_dispatch_id 0
		.amdhsa_user_sgpr_kernarg_preload_length 0
		.amdhsa_user_sgpr_kernarg_preload_offset 0
		.amdhsa_user_sgpr_private_segment_size 0
		.amdhsa_wavefront_size32 1
		.amdhsa_uses_dynamic_stack 0
		.amdhsa_enable_private_segment 0
		.amdhsa_system_sgpr_workgroup_id_x 1
		.amdhsa_system_sgpr_workgroup_id_y 0
		.amdhsa_system_sgpr_workgroup_id_z 0
		.amdhsa_system_sgpr_workgroup_info 0
		.amdhsa_system_vgpr_workitem_id 0
		.amdhsa_next_free_vgpr 1
		.amdhsa_next_free_sgpr 1
		.amdhsa_named_barrier_count 0
		.amdhsa_reserve_vcc 0
		.amdhsa_float_round_mode_32 0
		.amdhsa_float_round_mode_16_64 0
		.amdhsa_float_denorm_mode_32 3
		.amdhsa_float_denorm_mode_16_64 3
		.amdhsa_fp16_overflow 0
		.amdhsa_memory_ordered 1
		.amdhsa_forward_progress 1
		.amdhsa_inst_pref_size 0
		.amdhsa_round_robin_scheduling 0
		.amdhsa_exception_fp_ieee_invalid_op 0
		.amdhsa_exception_fp_denorm_src 0
		.amdhsa_exception_fp_ieee_div_zero 0
		.amdhsa_exception_fp_ieee_overflow 0
		.amdhsa_exception_fp_ieee_underflow 0
		.amdhsa_exception_fp_ieee_inexact 0
		.amdhsa_exception_int_div_zero 0
	.end_amdhsa_kernel
	.section	.text._ZN7rocprim17ROCPRIM_400000_NS6detail17trampoline_kernelINS0_14default_configENS1_20scan_config_selectorIiEEZZNS1_9scan_implILNS1_25lookback_scan_determinismE0ELb0ELb0ES3_N6thrust23THRUST_200600_302600_NS6detail15normal_iteratorINS9_10device_ptrIiEEEESE_iNS9_4plusIvEEiEEDaPvRmT3_T4_T5_mT6_P12ihipStream_tbENKUlT_T0_E_clISt17integral_constantIbLb0EEST_IbLb1EEEEDaSP_SQ_EUlSP_E0_NS1_11comp_targetILNS1_3genE4ELNS1_11target_archE910ELNS1_3gpuE8ELNS1_3repE0EEENS1_30default_config_static_selectorELNS0_4arch9wavefront6targetE0EEEvT1_,"axG",@progbits,_ZN7rocprim17ROCPRIM_400000_NS6detail17trampoline_kernelINS0_14default_configENS1_20scan_config_selectorIiEEZZNS1_9scan_implILNS1_25lookback_scan_determinismE0ELb0ELb0ES3_N6thrust23THRUST_200600_302600_NS6detail15normal_iteratorINS9_10device_ptrIiEEEESE_iNS9_4plusIvEEiEEDaPvRmT3_T4_T5_mT6_P12ihipStream_tbENKUlT_T0_E_clISt17integral_constantIbLb0EEST_IbLb1EEEEDaSP_SQ_EUlSP_E0_NS1_11comp_targetILNS1_3genE4ELNS1_11target_archE910ELNS1_3gpuE8ELNS1_3repE0EEENS1_30default_config_static_selectorELNS0_4arch9wavefront6targetE0EEEvT1_,comdat
.Lfunc_end77:
	.size	_ZN7rocprim17ROCPRIM_400000_NS6detail17trampoline_kernelINS0_14default_configENS1_20scan_config_selectorIiEEZZNS1_9scan_implILNS1_25lookback_scan_determinismE0ELb0ELb0ES3_N6thrust23THRUST_200600_302600_NS6detail15normal_iteratorINS9_10device_ptrIiEEEESE_iNS9_4plusIvEEiEEDaPvRmT3_T4_T5_mT6_P12ihipStream_tbENKUlT_T0_E_clISt17integral_constantIbLb0EEST_IbLb1EEEEDaSP_SQ_EUlSP_E0_NS1_11comp_targetILNS1_3genE4ELNS1_11target_archE910ELNS1_3gpuE8ELNS1_3repE0EEENS1_30default_config_static_selectorELNS0_4arch9wavefront6targetE0EEEvT1_, .Lfunc_end77-_ZN7rocprim17ROCPRIM_400000_NS6detail17trampoline_kernelINS0_14default_configENS1_20scan_config_selectorIiEEZZNS1_9scan_implILNS1_25lookback_scan_determinismE0ELb0ELb0ES3_N6thrust23THRUST_200600_302600_NS6detail15normal_iteratorINS9_10device_ptrIiEEEESE_iNS9_4plusIvEEiEEDaPvRmT3_T4_T5_mT6_P12ihipStream_tbENKUlT_T0_E_clISt17integral_constantIbLb0EEST_IbLb1EEEEDaSP_SQ_EUlSP_E0_NS1_11comp_targetILNS1_3genE4ELNS1_11target_archE910ELNS1_3gpuE8ELNS1_3repE0EEENS1_30default_config_static_selectorELNS0_4arch9wavefront6targetE0EEEvT1_
                                        ; -- End function
	.set _ZN7rocprim17ROCPRIM_400000_NS6detail17trampoline_kernelINS0_14default_configENS1_20scan_config_selectorIiEEZZNS1_9scan_implILNS1_25lookback_scan_determinismE0ELb0ELb0ES3_N6thrust23THRUST_200600_302600_NS6detail15normal_iteratorINS9_10device_ptrIiEEEESE_iNS9_4plusIvEEiEEDaPvRmT3_T4_T5_mT6_P12ihipStream_tbENKUlT_T0_E_clISt17integral_constantIbLb0EEST_IbLb1EEEEDaSP_SQ_EUlSP_E0_NS1_11comp_targetILNS1_3genE4ELNS1_11target_archE910ELNS1_3gpuE8ELNS1_3repE0EEENS1_30default_config_static_selectorELNS0_4arch9wavefront6targetE0EEEvT1_.num_vgpr, 0
	.set _ZN7rocprim17ROCPRIM_400000_NS6detail17trampoline_kernelINS0_14default_configENS1_20scan_config_selectorIiEEZZNS1_9scan_implILNS1_25lookback_scan_determinismE0ELb0ELb0ES3_N6thrust23THRUST_200600_302600_NS6detail15normal_iteratorINS9_10device_ptrIiEEEESE_iNS9_4plusIvEEiEEDaPvRmT3_T4_T5_mT6_P12ihipStream_tbENKUlT_T0_E_clISt17integral_constantIbLb0EEST_IbLb1EEEEDaSP_SQ_EUlSP_E0_NS1_11comp_targetILNS1_3genE4ELNS1_11target_archE910ELNS1_3gpuE8ELNS1_3repE0EEENS1_30default_config_static_selectorELNS0_4arch9wavefront6targetE0EEEvT1_.num_agpr, 0
	.set _ZN7rocprim17ROCPRIM_400000_NS6detail17trampoline_kernelINS0_14default_configENS1_20scan_config_selectorIiEEZZNS1_9scan_implILNS1_25lookback_scan_determinismE0ELb0ELb0ES3_N6thrust23THRUST_200600_302600_NS6detail15normal_iteratorINS9_10device_ptrIiEEEESE_iNS9_4plusIvEEiEEDaPvRmT3_T4_T5_mT6_P12ihipStream_tbENKUlT_T0_E_clISt17integral_constantIbLb0EEST_IbLb1EEEEDaSP_SQ_EUlSP_E0_NS1_11comp_targetILNS1_3genE4ELNS1_11target_archE910ELNS1_3gpuE8ELNS1_3repE0EEENS1_30default_config_static_selectorELNS0_4arch9wavefront6targetE0EEEvT1_.numbered_sgpr, 0
	.set _ZN7rocprim17ROCPRIM_400000_NS6detail17trampoline_kernelINS0_14default_configENS1_20scan_config_selectorIiEEZZNS1_9scan_implILNS1_25lookback_scan_determinismE0ELb0ELb0ES3_N6thrust23THRUST_200600_302600_NS6detail15normal_iteratorINS9_10device_ptrIiEEEESE_iNS9_4plusIvEEiEEDaPvRmT3_T4_T5_mT6_P12ihipStream_tbENKUlT_T0_E_clISt17integral_constantIbLb0EEST_IbLb1EEEEDaSP_SQ_EUlSP_E0_NS1_11comp_targetILNS1_3genE4ELNS1_11target_archE910ELNS1_3gpuE8ELNS1_3repE0EEENS1_30default_config_static_selectorELNS0_4arch9wavefront6targetE0EEEvT1_.num_named_barrier, 0
	.set _ZN7rocprim17ROCPRIM_400000_NS6detail17trampoline_kernelINS0_14default_configENS1_20scan_config_selectorIiEEZZNS1_9scan_implILNS1_25lookback_scan_determinismE0ELb0ELb0ES3_N6thrust23THRUST_200600_302600_NS6detail15normal_iteratorINS9_10device_ptrIiEEEESE_iNS9_4plusIvEEiEEDaPvRmT3_T4_T5_mT6_P12ihipStream_tbENKUlT_T0_E_clISt17integral_constantIbLb0EEST_IbLb1EEEEDaSP_SQ_EUlSP_E0_NS1_11comp_targetILNS1_3genE4ELNS1_11target_archE910ELNS1_3gpuE8ELNS1_3repE0EEENS1_30default_config_static_selectorELNS0_4arch9wavefront6targetE0EEEvT1_.private_seg_size, 0
	.set _ZN7rocprim17ROCPRIM_400000_NS6detail17trampoline_kernelINS0_14default_configENS1_20scan_config_selectorIiEEZZNS1_9scan_implILNS1_25lookback_scan_determinismE0ELb0ELb0ES3_N6thrust23THRUST_200600_302600_NS6detail15normal_iteratorINS9_10device_ptrIiEEEESE_iNS9_4plusIvEEiEEDaPvRmT3_T4_T5_mT6_P12ihipStream_tbENKUlT_T0_E_clISt17integral_constantIbLb0EEST_IbLb1EEEEDaSP_SQ_EUlSP_E0_NS1_11comp_targetILNS1_3genE4ELNS1_11target_archE910ELNS1_3gpuE8ELNS1_3repE0EEENS1_30default_config_static_selectorELNS0_4arch9wavefront6targetE0EEEvT1_.uses_vcc, 0
	.set _ZN7rocprim17ROCPRIM_400000_NS6detail17trampoline_kernelINS0_14default_configENS1_20scan_config_selectorIiEEZZNS1_9scan_implILNS1_25lookback_scan_determinismE0ELb0ELb0ES3_N6thrust23THRUST_200600_302600_NS6detail15normal_iteratorINS9_10device_ptrIiEEEESE_iNS9_4plusIvEEiEEDaPvRmT3_T4_T5_mT6_P12ihipStream_tbENKUlT_T0_E_clISt17integral_constantIbLb0EEST_IbLb1EEEEDaSP_SQ_EUlSP_E0_NS1_11comp_targetILNS1_3genE4ELNS1_11target_archE910ELNS1_3gpuE8ELNS1_3repE0EEENS1_30default_config_static_selectorELNS0_4arch9wavefront6targetE0EEEvT1_.uses_flat_scratch, 0
	.set _ZN7rocprim17ROCPRIM_400000_NS6detail17trampoline_kernelINS0_14default_configENS1_20scan_config_selectorIiEEZZNS1_9scan_implILNS1_25lookback_scan_determinismE0ELb0ELb0ES3_N6thrust23THRUST_200600_302600_NS6detail15normal_iteratorINS9_10device_ptrIiEEEESE_iNS9_4plusIvEEiEEDaPvRmT3_T4_T5_mT6_P12ihipStream_tbENKUlT_T0_E_clISt17integral_constantIbLb0EEST_IbLb1EEEEDaSP_SQ_EUlSP_E0_NS1_11comp_targetILNS1_3genE4ELNS1_11target_archE910ELNS1_3gpuE8ELNS1_3repE0EEENS1_30default_config_static_selectorELNS0_4arch9wavefront6targetE0EEEvT1_.has_dyn_sized_stack, 0
	.set _ZN7rocprim17ROCPRIM_400000_NS6detail17trampoline_kernelINS0_14default_configENS1_20scan_config_selectorIiEEZZNS1_9scan_implILNS1_25lookback_scan_determinismE0ELb0ELb0ES3_N6thrust23THRUST_200600_302600_NS6detail15normal_iteratorINS9_10device_ptrIiEEEESE_iNS9_4plusIvEEiEEDaPvRmT3_T4_T5_mT6_P12ihipStream_tbENKUlT_T0_E_clISt17integral_constantIbLb0EEST_IbLb1EEEEDaSP_SQ_EUlSP_E0_NS1_11comp_targetILNS1_3genE4ELNS1_11target_archE910ELNS1_3gpuE8ELNS1_3repE0EEENS1_30default_config_static_selectorELNS0_4arch9wavefront6targetE0EEEvT1_.has_recursion, 0
	.set _ZN7rocprim17ROCPRIM_400000_NS6detail17trampoline_kernelINS0_14default_configENS1_20scan_config_selectorIiEEZZNS1_9scan_implILNS1_25lookback_scan_determinismE0ELb0ELb0ES3_N6thrust23THRUST_200600_302600_NS6detail15normal_iteratorINS9_10device_ptrIiEEEESE_iNS9_4plusIvEEiEEDaPvRmT3_T4_T5_mT6_P12ihipStream_tbENKUlT_T0_E_clISt17integral_constantIbLb0EEST_IbLb1EEEEDaSP_SQ_EUlSP_E0_NS1_11comp_targetILNS1_3genE4ELNS1_11target_archE910ELNS1_3gpuE8ELNS1_3repE0EEENS1_30default_config_static_selectorELNS0_4arch9wavefront6targetE0EEEvT1_.has_indirect_call, 0
	.section	.AMDGPU.csdata,"",@progbits
; Kernel info:
; codeLenInByte = 0
; TotalNumSgprs: 0
; NumVgprs: 0
; ScratchSize: 0
; MemoryBound: 0
; FloatMode: 240
; IeeeMode: 1
; LDSByteSize: 0 bytes/workgroup (compile time only)
; SGPRBlocks: 0
; VGPRBlocks: 0
; NumSGPRsForWavesPerEU: 1
; NumVGPRsForWavesPerEU: 1
; NamedBarCnt: 0
; Occupancy: 16
; WaveLimiterHint : 0
; COMPUTE_PGM_RSRC2:SCRATCH_EN: 0
; COMPUTE_PGM_RSRC2:USER_SGPR: 2
; COMPUTE_PGM_RSRC2:TRAP_HANDLER: 0
; COMPUTE_PGM_RSRC2:TGID_X_EN: 1
; COMPUTE_PGM_RSRC2:TGID_Y_EN: 0
; COMPUTE_PGM_RSRC2:TGID_Z_EN: 0
; COMPUTE_PGM_RSRC2:TIDIG_COMP_CNT: 0
	.section	.text._ZN7rocprim17ROCPRIM_400000_NS6detail17trampoline_kernelINS0_14default_configENS1_20scan_config_selectorIiEEZZNS1_9scan_implILNS1_25lookback_scan_determinismE0ELb0ELb0ES3_N6thrust23THRUST_200600_302600_NS6detail15normal_iteratorINS9_10device_ptrIiEEEESE_iNS9_4plusIvEEiEEDaPvRmT3_T4_T5_mT6_P12ihipStream_tbENKUlT_T0_E_clISt17integral_constantIbLb0EEST_IbLb1EEEEDaSP_SQ_EUlSP_E0_NS1_11comp_targetILNS1_3genE3ELNS1_11target_archE908ELNS1_3gpuE7ELNS1_3repE0EEENS1_30default_config_static_selectorELNS0_4arch9wavefront6targetE0EEEvT1_,"axG",@progbits,_ZN7rocprim17ROCPRIM_400000_NS6detail17trampoline_kernelINS0_14default_configENS1_20scan_config_selectorIiEEZZNS1_9scan_implILNS1_25lookback_scan_determinismE0ELb0ELb0ES3_N6thrust23THRUST_200600_302600_NS6detail15normal_iteratorINS9_10device_ptrIiEEEESE_iNS9_4plusIvEEiEEDaPvRmT3_T4_T5_mT6_P12ihipStream_tbENKUlT_T0_E_clISt17integral_constantIbLb0EEST_IbLb1EEEEDaSP_SQ_EUlSP_E0_NS1_11comp_targetILNS1_3genE3ELNS1_11target_archE908ELNS1_3gpuE7ELNS1_3repE0EEENS1_30default_config_static_selectorELNS0_4arch9wavefront6targetE0EEEvT1_,comdat
	.protected	_ZN7rocprim17ROCPRIM_400000_NS6detail17trampoline_kernelINS0_14default_configENS1_20scan_config_selectorIiEEZZNS1_9scan_implILNS1_25lookback_scan_determinismE0ELb0ELb0ES3_N6thrust23THRUST_200600_302600_NS6detail15normal_iteratorINS9_10device_ptrIiEEEESE_iNS9_4plusIvEEiEEDaPvRmT3_T4_T5_mT6_P12ihipStream_tbENKUlT_T0_E_clISt17integral_constantIbLb0EEST_IbLb1EEEEDaSP_SQ_EUlSP_E0_NS1_11comp_targetILNS1_3genE3ELNS1_11target_archE908ELNS1_3gpuE7ELNS1_3repE0EEENS1_30default_config_static_selectorELNS0_4arch9wavefront6targetE0EEEvT1_ ; -- Begin function _ZN7rocprim17ROCPRIM_400000_NS6detail17trampoline_kernelINS0_14default_configENS1_20scan_config_selectorIiEEZZNS1_9scan_implILNS1_25lookback_scan_determinismE0ELb0ELb0ES3_N6thrust23THRUST_200600_302600_NS6detail15normal_iteratorINS9_10device_ptrIiEEEESE_iNS9_4plusIvEEiEEDaPvRmT3_T4_T5_mT6_P12ihipStream_tbENKUlT_T0_E_clISt17integral_constantIbLb0EEST_IbLb1EEEEDaSP_SQ_EUlSP_E0_NS1_11comp_targetILNS1_3genE3ELNS1_11target_archE908ELNS1_3gpuE7ELNS1_3repE0EEENS1_30default_config_static_selectorELNS0_4arch9wavefront6targetE0EEEvT1_
	.globl	_ZN7rocprim17ROCPRIM_400000_NS6detail17trampoline_kernelINS0_14default_configENS1_20scan_config_selectorIiEEZZNS1_9scan_implILNS1_25lookback_scan_determinismE0ELb0ELb0ES3_N6thrust23THRUST_200600_302600_NS6detail15normal_iteratorINS9_10device_ptrIiEEEESE_iNS9_4plusIvEEiEEDaPvRmT3_T4_T5_mT6_P12ihipStream_tbENKUlT_T0_E_clISt17integral_constantIbLb0EEST_IbLb1EEEEDaSP_SQ_EUlSP_E0_NS1_11comp_targetILNS1_3genE3ELNS1_11target_archE908ELNS1_3gpuE7ELNS1_3repE0EEENS1_30default_config_static_selectorELNS0_4arch9wavefront6targetE0EEEvT1_
	.p2align	8
	.type	_ZN7rocprim17ROCPRIM_400000_NS6detail17trampoline_kernelINS0_14default_configENS1_20scan_config_selectorIiEEZZNS1_9scan_implILNS1_25lookback_scan_determinismE0ELb0ELb0ES3_N6thrust23THRUST_200600_302600_NS6detail15normal_iteratorINS9_10device_ptrIiEEEESE_iNS9_4plusIvEEiEEDaPvRmT3_T4_T5_mT6_P12ihipStream_tbENKUlT_T0_E_clISt17integral_constantIbLb0EEST_IbLb1EEEEDaSP_SQ_EUlSP_E0_NS1_11comp_targetILNS1_3genE3ELNS1_11target_archE908ELNS1_3gpuE7ELNS1_3repE0EEENS1_30default_config_static_selectorELNS0_4arch9wavefront6targetE0EEEvT1_,@function
_ZN7rocprim17ROCPRIM_400000_NS6detail17trampoline_kernelINS0_14default_configENS1_20scan_config_selectorIiEEZZNS1_9scan_implILNS1_25lookback_scan_determinismE0ELb0ELb0ES3_N6thrust23THRUST_200600_302600_NS6detail15normal_iteratorINS9_10device_ptrIiEEEESE_iNS9_4plusIvEEiEEDaPvRmT3_T4_T5_mT6_P12ihipStream_tbENKUlT_T0_E_clISt17integral_constantIbLb0EEST_IbLb1EEEEDaSP_SQ_EUlSP_E0_NS1_11comp_targetILNS1_3genE3ELNS1_11target_archE908ELNS1_3gpuE7ELNS1_3repE0EEENS1_30default_config_static_selectorELNS0_4arch9wavefront6targetE0EEEvT1_: ; @_ZN7rocprim17ROCPRIM_400000_NS6detail17trampoline_kernelINS0_14default_configENS1_20scan_config_selectorIiEEZZNS1_9scan_implILNS1_25lookback_scan_determinismE0ELb0ELb0ES3_N6thrust23THRUST_200600_302600_NS6detail15normal_iteratorINS9_10device_ptrIiEEEESE_iNS9_4plusIvEEiEEDaPvRmT3_T4_T5_mT6_P12ihipStream_tbENKUlT_T0_E_clISt17integral_constantIbLb0EEST_IbLb1EEEEDaSP_SQ_EUlSP_E0_NS1_11comp_targetILNS1_3genE3ELNS1_11target_archE908ELNS1_3gpuE7ELNS1_3repE0EEENS1_30default_config_static_selectorELNS0_4arch9wavefront6targetE0EEEvT1_
; %bb.0:
	.section	.rodata,"a",@progbits
	.p2align	6, 0x0
	.amdhsa_kernel _ZN7rocprim17ROCPRIM_400000_NS6detail17trampoline_kernelINS0_14default_configENS1_20scan_config_selectorIiEEZZNS1_9scan_implILNS1_25lookback_scan_determinismE0ELb0ELb0ES3_N6thrust23THRUST_200600_302600_NS6detail15normal_iteratorINS9_10device_ptrIiEEEESE_iNS9_4plusIvEEiEEDaPvRmT3_T4_T5_mT6_P12ihipStream_tbENKUlT_T0_E_clISt17integral_constantIbLb0EEST_IbLb1EEEEDaSP_SQ_EUlSP_E0_NS1_11comp_targetILNS1_3genE3ELNS1_11target_archE908ELNS1_3gpuE7ELNS1_3repE0EEENS1_30default_config_static_selectorELNS0_4arch9wavefront6targetE0EEEvT1_
		.amdhsa_group_segment_fixed_size 0
		.amdhsa_private_segment_fixed_size 0
		.amdhsa_kernarg_size 32
		.amdhsa_user_sgpr_count 2
		.amdhsa_user_sgpr_dispatch_ptr 0
		.amdhsa_user_sgpr_queue_ptr 0
		.amdhsa_user_sgpr_kernarg_segment_ptr 1
		.amdhsa_user_sgpr_dispatch_id 0
		.amdhsa_user_sgpr_kernarg_preload_length 0
		.amdhsa_user_sgpr_kernarg_preload_offset 0
		.amdhsa_user_sgpr_private_segment_size 0
		.amdhsa_wavefront_size32 1
		.amdhsa_uses_dynamic_stack 0
		.amdhsa_enable_private_segment 0
		.amdhsa_system_sgpr_workgroup_id_x 1
		.amdhsa_system_sgpr_workgroup_id_y 0
		.amdhsa_system_sgpr_workgroup_id_z 0
		.amdhsa_system_sgpr_workgroup_info 0
		.amdhsa_system_vgpr_workitem_id 0
		.amdhsa_next_free_vgpr 1
		.amdhsa_next_free_sgpr 1
		.amdhsa_named_barrier_count 0
		.amdhsa_reserve_vcc 0
		.amdhsa_float_round_mode_32 0
		.amdhsa_float_round_mode_16_64 0
		.amdhsa_float_denorm_mode_32 3
		.amdhsa_float_denorm_mode_16_64 3
		.amdhsa_fp16_overflow 0
		.amdhsa_memory_ordered 1
		.amdhsa_forward_progress 1
		.amdhsa_inst_pref_size 0
		.amdhsa_round_robin_scheduling 0
		.amdhsa_exception_fp_ieee_invalid_op 0
		.amdhsa_exception_fp_denorm_src 0
		.amdhsa_exception_fp_ieee_div_zero 0
		.amdhsa_exception_fp_ieee_overflow 0
		.amdhsa_exception_fp_ieee_underflow 0
		.amdhsa_exception_fp_ieee_inexact 0
		.amdhsa_exception_int_div_zero 0
	.end_amdhsa_kernel
	.section	.text._ZN7rocprim17ROCPRIM_400000_NS6detail17trampoline_kernelINS0_14default_configENS1_20scan_config_selectorIiEEZZNS1_9scan_implILNS1_25lookback_scan_determinismE0ELb0ELb0ES3_N6thrust23THRUST_200600_302600_NS6detail15normal_iteratorINS9_10device_ptrIiEEEESE_iNS9_4plusIvEEiEEDaPvRmT3_T4_T5_mT6_P12ihipStream_tbENKUlT_T0_E_clISt17integral_constantIbLb0EEST_IbLb1EEEEDaSP_SQ_EUlSP_E0_NS1_11comp_targetILNS1_3genE3ELNS1_11target_archE908ELNS1_3gpuE7ELNS1_3repE0EEENS1_30default_config_static_selectorELNS0_4arch9wavefront6targetE0EEEvT1_,"axG",@progbits,_ZN7rocprim17ROCPRIM_400000_NS6detail17trampoline_kernelINS0_14default_configENS1_20scan_config_selectorIiEEZZNS1_9scan_implILNS1_25lookback_scan_determinismE0ELb0ELb0ES3_N6thrust23THRUST_200600_302600_NS6detail15normal_iteratorINS9_10device_ptrIiEEEESE_iNS9_4plusIvEEiEEDaPvRmT3_T4_T5_mT6_P12ihipStream_tbENKUlT_T0_E_clISt17integral_constantIbLb0EEST_IbLb1EEEEDaSP_SQ_EUlSP_E0_NS1_11comp_targetILNS1_3genE3ELNS1_11target_archE908ELNS1_3gpuE7ELNS1_3repE0EEENS1_30default_config_static_selectorELNS0_4arch9wavefront6targetE0EEEvT1_,comdat
.Lfunc_end78:
	.size	_ZN7rocprim17ROCPRIM_400000_NS6detail17trampoline_kernelINS0_14default_configENS1_20scan_config_selectorIiEEZZNS1_9scan_implILNS1_25lookback_scan_determinismE0ELb0ELb0ES3_N6thrust23THRUST_200600_302600_NS6detail15normal_iteratorINS9_10device_ptrIiEEEESE_iNS9_4plusIvEEiEEDaPvRmT3_T4_T5_mT6_P12ihipStream_tbENKUlT_T0_E_clISt17integral_constantIbLb0EEST_IbLb1EEEEDaSP_SQ_EUlSP_E0_NS1_11comp_targetILNS1_3genE3ELNS1_11target_archE908ELNS1_3gpuE7ELNS1_3repE0EEENS1_30default_config_static_selectorELNS0_4arch9wavefront6targetE0EEEvT1_, .Lfunc_end78-_ZN7rocprim17ROCPRIM_400000_NS6detail17trampoline_kernelINS0_14default_configENS1_20scan_config_selectorIiEEZZNS1_9scan_implILNS1_25lookback_scan_determinismE0ELb0ELb0ES3_N6thrust23THRUST_200600_302600_NS6detail15normal_iteratorINS9_10device_ptrIiEEEESE_iNS9_4plusIvEEiEEDaPvRmT3_T4_T5_mT6_P12ihipStream_tbENKUlT_T0_E_clISt17integral_constantIbLb0EEST_IbLb1EEEEDaSP_SQ_EUlSP_E0_NS1_11comp_targetILNS1_3genE3ELNS1_11target_archE908ELNS1_3gpuE7ELNS1_3repE0EEENS1_30default_config_static_selectorELNS0_4arch9wavefront6targetE0EEEvT1_
                                        ; -- End function
	.set _ZN7rocprim17ROCPRIM_400000_NS6detail17trampoline_kernelINS0_14default_configENS1_20scan_config_selectorIiEEZZNS1_9scan_implILNS1_25lookback_scan_determinismE0ELb0ELb0ES3_N6thrust23THRUST_200600_302600_NS6detail15normal_iteratorINS9_10device_ptrIiEEEESE_iNS9_4plusIvEEiEEDaPvRmT3_T4_T5_mT6_P12ihipStream_tbENKUlT_T0_E_clISt17integral_constantIbLb0EEST_IbLb1EEEEDaSP_SQ_EUlSP_E0_NS1_11comp_targetILNS1_3genE3ELNS1_11target_archE908ELNS1_3gpuE7ELNS1_3repE0EEENS1_30default_config_static_selectorELNS0_4arch9wavefront6targetE0EEEvT1_.num_vgpr, 0
	.set _ZN7rocprim17ROCPRIM_400000_NS6detail17trampoline_kernelINS0_14default_configENS1_20scan_config_selectorIiEEZZNS1_9scan_implILNS1_25lookback_scan_determinismE0ELb0ELb0ES3_N6thrust23THRUST_200600_302600_NS6detail15normal_iteratorINS9_10device_ptrIiEEEESE_iNS9_4plusIvEEiEEDaPvRmT3_T4_T5_mT6_P12ihipStream_tbENKUlT_T0_E_clISt17integral_constantIbLb0EEST_IbLb1EEEEDaSP_SQ_EUlSP_E0_NS1_11comp_targetILNS1_3genE3ELNS1_11target_archE908ELNS1_3gpuE7ELNS1_3repE0EEENS1_30default_config_static_selectorELNS0_4arch9wavefront6targetE0EEEvT1_.num_agpr, 0
	.set _ZN7rocprim17ROCPRIM_400000_NS6detail17trampoline_kernelINS0_14default_configENS1_20scan_config_selectorIiEEZZNS1_9scan_implILNS1_25lookback_scan_determinismE0ELb0ELb0ES3_N6thrust23THRUST_200600_302600_NS6detail15normal_iteratorINS9_10device_ptrIiEEEESE_iNS9_4plusIvEEiEEDaPvRmT3_T4_T5_mT6_P12ihipStream_tbENKUlT_T0_E_clISt17integral_constantIbLb0EEST_IbLb1EEEEDaSP_SQ_EUlSP_E0_NS1_11comp_targetILNS1_3genE3ELNS1_11target_archE908ELNS1_3gpuE7ELNS1_3repE0EEENS1_30default_config_static_selectorELNS0_4arch9wavefront6targetE0EEEvT1_.numbered_sgpr, 0
	.set _ZN7rocprim17ROCPRIM_400000_NS6detail17trampoline_kernelINS0_14default_configENS1_20scan_config_selectorIiEEZZNS1_9scan_implILNS1_25lookback_scan_determinismE0ELb0ELb0ES3_N6thrust23THRUST_200600_302600_NS6detail15normal_iteratorINS9_10device_ptrIiEEEESE_iNS9_4plusIvEEiEEDaPvRmT3_T4_T5_mT6_P12ihipStream_tbENKUlT_T0_E_clISt17integral_constantIbLb0EEST_IbLb1EEEEDaSP_SQ_EUlSP_E0_NS1_11comp_targetILNS1_3genE3ELNS1_11target_archE908ELNS1_3gpuE7ELNS1_3repE0EEENS1_30default_config_static_selectorELNS0_4arch9wavefront6targetE0EEEvT1_.num_named_barrier, 0
	.set _ZN7rocprim17ROCPRIM_400000_NS6detail17trampoline_kernelINS0_14default_configENS1_20scan_config_selectorIiEEZZNS1_9scan_implILNS1_25lookback_scan_determinismE0ELb0ELb0ES3_N6thrust23THRUST_200600_302600_NS6detail15normal_iteratorINS9_10device_ptrIiEEEESE_iNS9_4plusIvEEiEEDaPvRmT3_T4_T5_mT6_P12ihipStream_tbENKUlT_T0_E_clISt17integral_constantIbLb0EEST_IbLb1EEEEDaSP_SQ_EUlSP_E0_NS1_11comp_targetILNS1_3genE3ELNS1_11target_archE908ELNS1_3gpuE7ELNS1_3repE0EEENS1_30default_config_static_selectorELNS0_4arch9wavefront6targetE0EEEvT1_.private_seg_size, 0
	.set _ZN7rocprim17ROCPRIM_400000_NS6detail17trampoline_kernelINS0_14default_configENS1_20scan_config_selectorIiEEZZNS1_9scan_implILNS1_25lookback_scan_determinismE0ELb0ELb0ES3_N6thrust23THRUST_200600_302600_NS6detail15normal_iteratorINS9_10device_ptrIiEEEESE_iNS9_4plusIvEEiEEDaPvRmT3_T4_T5_mT6_P12ihipStream_tbENKUlT_T0_E_clISt17integral_constantIbLb0EEST_IbLb1EEEEDaSP_SQ_EUlSP_E0_NS1_11comp_targetILNS1_3genE3ELNS1_11target_archE908ELNS1_3gpuE7ELNS1_3repE0EEENS1_30default_config_static_selectorELNS0_4arch9wavefront6targetE0EEEvT1_.uses_vcc, 0
	.set _ZN7rocprim17ROCPRIM_400000_NS6detail17trampoline_kernelINS0_14default_configENS1_20scan_config_selectorIiEEZZNS1_9scan_implILNS1_25lookback_scan_determinismE0ELb0ELb0ES3_N6thrust23THRUST_200600_302600_NS6detail15normal_iteratorINS9_10device_ptrIiEEEESE_iNS9_4plusIvEEiEEDaPvRmT3_T4_T5_mT6_P12ihipStream_tbENKUlT_T0_E_clISt17integral_constantIbLb0EEST_IbLb1EEEEDaSP_SQ_EUlSP_E0_NS1_11comp_targetILNS1_3genE3ELNS1_11target_archE908ELNS1_3gpuE7ELNS1_3repE0EEENS1_30default_config_static_selectorELNS0_4arch9wavefront6targetE0EEEvT1_.uses_flat_scratch, 0
	.set _ZN7rocprim17ROCPRIM_400000_NS6detail17trampoline_kernelINS0_14default_configENS1_20scan_config_selectorIiEEZZNS1_9scan_implILNS1_25lookback_scan_determinismE0ELb0ELb0ES3_N6thrust23THRUST_200600_302600_NS6detail15normal_iteratorINS9_10device_ptrIiEEEESE_iNS9_4plusIvEEiEEDaPvRmT3_T4_T5_mT6_P12ihipStream_tbENKUlT_T0_E_clISt17integral_constantIbLb0EEST_IbLb1EEEEDaSP_SQ_EUlSP_E0_NS1_11comp_targetILNS1_3genE3ELNS1_11target_archE908ELNS1_3gpuE7ELNS1_3repE0EEENS1_30default_config_static_selectorELNS0_4arch9wavefront6targetE0EEEvT1_.has_dyn_sized_stack, 0
	.set _ZN7rocprim17ROCPRIM_400000_NS6detail17trampoline_kernelINS0_14default_configENS1_20scan_config_selectorIiEEZZNS1_9scan_implILNS1_25lookback_scan_determinismE0ELb0ELb0ES3_N6thrust23THRUST_200600_302600_NS6detail15normal_iteratorINS9_10device_ptrIiEEEESE_iNS9_4plusIvEEiEEDaPvRmT3_T4_T5_mT6_P12ihipStream_tbENKUlT_T0_E_clISt17integral_constantIbLb0EEST_IbLb1EEEEDaSP_SQ_EUlSP_E0_NS1_11comp_targetILNS1_3genE3ELNS1_11target_archE908ELNS1_3gpuE7ELNS1_3repE0EEENS1_30default_config_static_selectorELNS0_4arch9wavefront6targetE0EEEvT1_.has_recursion, 0
	.set _ZN7rocprim17ROCPRIM_400000_NS6detail17trampoline_kernelINS0_14default_configENS1_20scan_config_selectorIiEEZZNS1_9scan_implILNS1_25lookback_scan_determinismE0ELb0ELb0ES3_N6thrust23THRUST_200600_302600_NS6detail15normal_iteratorINS9_10device_ptrIiEEEESE_iNS9_4plusIvEEiEEDaPvRmT3_T4_T5_mT6_P12ihipStream_tbENKUlT_T0_E_clISt17integral_constantIbLb0EEST_IbLb1EEEEDaSP_SQ_EUlSP_E0_NS1_11comp_targetILNS1_3genE3ELNS1_11target_archE908ELNS1_3gpuE7ELNS1_3repE0EEENS1_30default_config_static_selectorELNS0_4arch9wavefront6targetE0EEEvT1_.has_indirect_call, 0
	.section	.AMDGPU.csdata,"",@progbits
; Kernel info:
; codeLenInByte = 0
; TotalNumSgprs: 0
; NumVgprs: 0
; ScratchSize: 0
; MemoryBound: 0
; FloatMode: 240
; IeeeMode: 1
; LDSByteSize: 0 bytes/workgroup (compile time only)
; SGPRBlocks: 0
; VGPRBlocks: 0
; NumSGPRsForWavesPerEU: 1
; NumVGPRsForWavesPerEU: 1
; NamedBarCnt: 0
; Occupancy: 16
; WaveLimiterHint : 0
; COMPUTE_PGM_RSRC2:SCRATCH_EN: 0
; COMPUTE_PGM_RSRC2:USER_SGPR: 2
; COMPUTE_PGM_RSRC2:TRAP_HANDLER: 0
; COMPUTE_PGM_RSRC2:TGID_X_EN: 1
; COMPUTE_PGM_RSRC2:TGID_Y_EN: 0
; COMPUTE_PGM_RSRC2:TGID_Z_EN: 0
; COMPUTE_PGM_RSRC2:TIDIG_COMP_CNT: 0
	.section	.text._ZN7rocprim17ROCPRIM_400000_NS6detail17trampoline_kernelINS0_14default_configENS1_20scan_config_selectorIiEEZZNS1_9scan_implILNS1_25lookback_scan_determinismE0ELb0ELb0ES3_N6thrust23THRUST_200600_302600_NS6detail15normal_iteratorINS9_10device_ptrIiEEEESE_iNS9_4plusIvEEiEEDaPvRmT3_T4_T5_mT6_P12ihipStream_tbENKUlT_T0_E_clISt17integral_constantIbLb0EEST_IbLb1EEEEDaSP_SQ_EUlSP_E0_NS1_11comp_targetILNS1_3genE2ELNS1_11target_archE906ELNS1_3gpuE6ELNS1_3repE0EEENS1_30default_config_static_selectorELNS0_4arch9wavefront6targetE0EEEvT1_,"axG",@progbits,_ZN7rocprim17ROCPRIM_400000_NS6detail17trampoline_kernelINS0_14default_configENS1_20scan_config_selectorIiEEZZNS1_9scan_implILNS1_25lookback_scan_determinismE0ELb0ELb0ES3_N6thrust23THRUST_200600_302600_NS6detail15normal_iteratorINS9_10device_ptrIiEEEESE_iNS9_4plusIvEEiEEDaPvRmT3_T4_T5_mT6_P12ihipStream_tbENKUlT_T0_E_clISt17integral_constantIbLb0EEST_IbLb1EEEEDaSP_SQ_EUlSP_E0_NS1_11comp_targetILNS1_3genE2ELNS1_11target_archE906ELNS1_3gpuE6ELNS1_3repE0EEENS1_30default_config_static_selectorELNS0_4arch9wavefront6targetE0EEEvT1_,comdat
	.protected	_ZN7rocprim17ROCPRIM_400000_NS6detail17trampoline_kernelINS0_14default_configENS1_20scan_config_selectorIiEEZZNS1_9scan_implILNS1_25lookback_scan_determinismE0ELb0ELb0ES3_N6thrust23THRUST_200600_302600_NS6detail15normal_iteratorINS9_10device_ptrIiEEEESE_iNS9_4plusIvEEiEEDaPvRmT3_T4_T5_mT6_P12ihipStream_tbENKUlT_T0_E_clISt17integral_constantIbLb0EEST_IbLb1EEEEDaSP_SQ_EUlSP_E0_NS1_11comp_targetILNS1_3genE2ELNS1_11target_archE906ELNS1_3gpuE6ELNS1_3repE0EEENS1_30default_config_static_selectorELNS0_4arch9wavefront6targetE0EEEvT1_ ; -- Begin function _ZN7rocprim17ROCPRIM_400000_NS6detail17trampoline_kernelINS0_14default_configENS1_20scan_config_selectorIiEEZZNS1_9scan_implILNS1_25lookback_scan_determinismE0ELb0ELb0ES3_N6thrust23THRUST_200600_302600_NS6detail15normal_iteratorINS9_10device_ptrIiEEEESE_iNS9_4plusIvEEiEEDaPvRmT3_T4_T5_mT6_P12ihipStream_tbENKUlT_T0_E_clISt17integral_constantIbLb0EEST_IbLb1EEEEDaSP_SQ_EUlSP_E0_NS1_11comp_targetILNS1_3genE2ELNS1_11target_archE906ELNS1_3gpuE6ELNS1_3repE0EEENS1_30default_config_static_selectorELNS0_4arch9wavefront6targetE0EEEvT1_
	.globl	_ZN7rocprim17ROCPRIM_400000_NS6detail17trampoline_kernelINS0_14default_configENS1_20scan_config_selectorIiEEZZNS1_9scan_implILNS1_25lookback_scan_determinismE0ELb0ELb0ES3_N6thrust23THRUST_200600_302600_NS6detail15normal_iteratorINS9_10device_ptrIiEEEESE_iNS9_4plusIvEEiEEDaPvRmT3_T4_T5_mT6_P12ihipStream_tbENKUlT_T0_E_clISt17integral_constantIbLb0EEST_IbLb1EEEEDaSP_SQ_EUlSP_E0_NS1_11comp_targetILNS1_3genE2ELNS1_11target_archE906ELNS1_3gpuE6ELNS1_3repE0EEENS1_30default_config_static_selectorELNS0_4arch9wavefront6targetE0EEEvT1_
	.p2align	8
	.type	_ZN7rocprim17ROCPRIM_400000_NS6detail17trampoline_kernelINS0_14default_configENS1_20scan_config_selectorIiEEZZNS1_9scan_implILNS1_25lookback_scan_determinismE0ELb0ELb0ES3_N6thrust23THRUST_200600_302600_NS6detail15normal_iteratorINS9_10device_ptrIiEEEESE_iNS9_4plusIvEEiEEDaPvRmT3_T4_T5_mT6_P12ihipStream_tbENKUlT_T0_E_clISt17integral_constantIbLb0EEST_IbLb1EEEEDaSP_SQ_EUlSP_E0_NS1_11comp_targetILNS1_3genE2ELNS1_11target_archE906ELNS1_3gpuE6ELNS1_3repE0EEENS1_30default_config_static_selectorELNS0_4arch9wavefront6targetE0EEEvT1_,@function
_ZN7rocprim17ROCPRIM_400000_NS6detail17trampoline_kernelINS0_14default_configENS1_20scan_config_selectorIiEEZZNS1_9scan_implILNS1_25lookback_scan_determinismE0ELb0ELb0ES3_N6thrust23THRUST_200600_302600_NS6detail15normal_iteratorINS9_10device_ptrIiEEEESE_iNS9_4plusIvEEiEEDaPvRmT3_T4_T5_mT6_P12ihipStream_tbENKUlT_T0_E_clISt17integral_constantIbLb0EEST_IbLb1EEEEDaSP_SQ_EUlSP_E0_NS1_11comp_targetILNS1_3genE2ELNS1_11target_archE906ELNS1_3gpuE6ELNS1_3repE0EEENS1_30default_config_static_selectorELNS0_4arch9wavefront6targetE0EEEvT1_: ; @_ZN7rocprim17ROCPRIM_400000_NS6detail17trampoline_kernelINS0_14default_configENS1_20scan_config_selectorIiEEZZNS1_9scan_implILNS1_25lookback_scan_determinismE0ELb0ELb0ES3_N6thrust23THRUST_200600_302600_NS6detail15normal_iteratorINS9_10device_ptrIiEEEESE_iNS9_4plusIvEEiEEDaPvRmT3_T4_T5_mT6_P12ihipStream_tbENKUlT_T0_E_clISt17integral_constantIbLb0EEST_IbLb1EEEEDaSP_SQ_EUlSP_E0_NS1_11comp_targetILNS1_3genE2ELNS1_11target_archE906ELNS1_3gpuE6ELNS1_3repE0EEENS1_30default_config_static_selectorELNS0_4arch9wavefront6targetE0EEEvT1_
; %bb.0:
	.section	.rodata,"a",@progbits
	.p2align	6, 0x0
	.amdhsa_kernel _ZN7rocprim17ROCPRIM_400000_NS6detail17trampoline_kernelINS0_14default_configENS1_20scan_config_selectorIiEEZZNS1_9scan_implILNS1_25lookback_scan_determinismE0ELb0ELb0ES3_N6thrust23THRUST_200600_302600_NS6detail15normal_iteratorINS9_10device_ptrIiEEEESE_iNS9_4plusIvEEiEEDaPvRmT3_T4_T5_mT6_P12ihipStream_tbENKUlT_T0_E_clISt17integral_constantIbLb0EEST_IbLb1EEEEDaSP_SQ_EUlSP_E0_NS1_11comp_targetILNS1_3genE2ELNS1_11target_archE906ELNS1_3gpuE6ELNS1_3repE0EEENS1_30default_config_static_selectorELNS0_4arch9wavefront6targetE0EEEvT1_
		.amdhsa_group_segment_fixed_size 0
		.amdhsa_private_segment_fixed_size 0
		.amdhsa_kernarg_size 32
		.amdhsa_user_sgpr_count 2
		.amdhsa_user_sgpr_dispatch_ptr 0
		.amdhsa_user_sgpr_queue_ptr 0
		.amdhsa_user_sgpr_kernarg_segment_ptr 1
		.amdhsa_user_sgpr_dispatch_id 0
		.amdhsa_user_sgpr_kernarg_preload_length 0
		.amdhsa_user_sgpr_kernarg_preload_offset 0
		.amdhsa_user_sgpr_private_segment_size 0
		.amdhsa_wavefront_size32 1
		.amdhsa_uses_dynamic_stack 0
		.amdhsa_enable_private_segment 0
		.amdhsa_system_sgpr_workgroup_id_x 1
		.amdhsa_system_sgpr_workgroup_id_y 0
		.amdhsa_system_sgpr_workgroup_id_z 0
		.amdhsa_system_sgpr_workgroup_info 0
		.amdhsa_system_vgpr_workitem_id 0
		.amdhsa_next_free_vgpr 1
		.amdhsa_next_free_sgpr 1
		.amdhsa_named_barrier_count 0
		.amdhsa_reserve_vcc 0
		.amdhsa_float_round_mode_32 0
		.amdhsa_float_round_mode_16_64 0
		.amdhsa_float_denorm_mode_32 3
		.amdhsa_float_denorm_mode_16_64 3
		.amdhsa_fp16_overflow 0
		.amdhsa_memory_ordered 1
		.amdhsa_forward_progress 1
		.amdhsa_inst_pref_size 0
		.amdhsa_round_robin_scheduling 0
		.amdhsa_exception_fp_ieee_invalid_op 0
		.amdhsa_exception_fp_denorm_src 0
		.amdhsa_exception_fp_ieee_div_zero 0
		.amdhsa_exception_fp_ieee_overflow 0
		.amdhsa_exception_fp_ieee_underflow 0
		.amdhsa_exception_fp_ieee_inexact 0
		.amdhsa_exception_int_div_zero 0
	.end_amdhsa_kernel
	.section	.text._ZN7rocprim17ROCPRIM_400000_NS6detail17trampoline_kernelINS0_14default_configENS1_20scan_config_selectorIiEEZZNS1_9scan_implILNS1_25lookback_scan_determinismE0ELb0ELb0ES3_N6thrust23THRUST_200600_302600_NS6detail15normal_iteratorINS9_10device_ptrIiEEEESE_iNS9_4plusIvEEiEEDaPvRmT3_T4_T5_mT6_P12ihipStream_tbENKUlT_T0_E_clISt17integral_constantIbLb0EEST_IbLb1EEEEDaSP_SQ_EUlSP_E0_NS1_11comp_targetILNS1_3genE2ELNS1_11target_archE906ELNS1_3gpuE6ELNS1_3repE0EEENS1_30default_config_static_selectorELNS0_4arch9wavefront6targetE0EEEvT1_,"axG",@progbits,_ZN7rocprim17ROCPRIM_400000_NS6detail17trampoline_kernelINS0_14default_configENS1_20scan_config_selectorIiEEZZNS1_9scan_implILNS1_25lookback_scan_determinismE0ELb0ELb0ES3_N6thrust23THRUST_200600_302600_NS6detail15normal_iteratorINS9_10device_ptrIiEEEESE_iNS9_4plusIvEEiEEDaPvRmT3_T4_T5_mT6_P12ihipStream_tbENKUlT_T0_E_clISt17integral_constantIbLb0EEST_IbLb1EEEEDaSP_SQ_EUlSP_E0_NS1_11comp_targetILNS1_3genE2ELNS1_11target_archE906ELNS1_3gpuE6ELNS1_3repE0EEENS1_30default_config_static_selectorELNS0_4arch9wavefront6targetE0EEEvT1_,comdat
.Lfunc_end79:
	.size	_ZN7rocprim17ROCPRIM_400000_NS6detail17trampoline_kernelINS0_14default_configENS1_20scan_config_selectorIiEEZZNS1_9scan_implILNS1_25lookback_scan_determinismE0ELb0ELb0ES3_N6thrust23THRUST_200600_302600_NS6detail15normal_iteratorINS9_10device_ptrIiEEEESE_iNS9_4plusIvEEiEEDaPvRmT3_T4_T5_mT6_P12ihipStream_tbENKUlT_T0_E_clISt17integral_constantIbLb0EEST_IbLb1EEEEDaSP_SQ_EUlSP_E0_NS1_11comp_targetILNS1_3genE2ELNS1_11target_archE906ELNS1_3gpuE6ELNS1_3repE0EEENS1_30default_config_static_selectorELNS0_4arch9wavefront6targetE0EEEvT1_, .Lfunc_end79-_ZN7rocprim17ROCPRIM_400000_NS6detail17trampoline_kernelINS0_14default_configENS1_20scan_config_selectorIiEEZZNS1_9scan_implILNS1_25lookback_scan_determinismE0ELb0ELb0ES3_N6thrust23THRUST_200600_302600_NS6detail15normal_iteratorINS9_10device_ptrIiEEEESE_iNS9_4plusIvEEiEEDaPvRmT3_T4_T5_mT6_P12ihipStream_tbENKUlT_T0_E_clISt17integral_constantIbLb0EEST_IbLb1EEEEDaSP_SQ_EUlSP_E0_NS1_11comp_targetILNS1_3genE2ELNS1_11target_archE906ELNS1_3gpuE6ELNS1_3repE0EEENS1_30default_config_static_selectorELNS0_4arch9wavefront6targetE0EEEvT1_
                                        ; -- End function
	.set _ZN7rocprim17ROCPRIM_400000_NS6detail17trampoline_kernelINS0_14default_configENS1_20scan_config_selectorIiEEZZNS1_9scan_implILNS1_25lookback_scan_determinismE0ELb0ELb0ES3_N6thrust23THRUST_200600_302600_NS6detail15normal_iteratorINS9_10device_ptrIiEEEESE_iNS9_4plusIvEEiEEDaPvRmT3_T4_T5_mT6_P12ihipStream_tbENKUlT_T0_E_clISt17integral_constantIbLb0EEST_IbLb1EEEEDaSP_SQ_EUlSP_E0_NS1_11comp_targetILNS1_3genE2ELNS1_11target_archE906ELNS1_3gpuE6ELNS1_3repE0EEENS1_30default_config_static_selectorELNS0_4arch9wavefront6targetE0EEEvT1_.num_vgpr, 0
	.set _ZN7rocprim17ROCPRIM_400000_NS6detail17trampoline_kernelINS0_14default_configENS1_20scan_config_selectorIiEEZZNS1_9scan_implILNS1_25lookback_scan_determinismE0ELb0ELb0ES3_N6thrust23THRUST_200600_302600_NS6detail15normal_iteratorINS9_10device_ptrIiEEEESE_iNS9_4plusIvEEiEEDaPvRmT3_T4_T5_mT6_P12ihipStream_tbENKUlT_T0_E_clISt17integral_constantIbLb0EEST_IbLb1EEEEDaSP_SQ_EUlSP_E0_NS1_11comp_targetILNS1_3genE2ELNS1_11target_archE906ELNS1_3gpuE6ELNS1_3repE0EEENS1_30default_config_static_selectorELNS0_4arch9wavefront6targetE0EEEvT1_.num_agpr, 0
	.set _ZN7rocprim17ROCPRIM_400000_NS6detail17trampoline_kernelINS0_14default_configENS1_20scan_config_selectorIiEEZZNS1_9scan_implILNS1_25lookback_scan_determinismE0ELb0ELb0ES3_N6thrust23THRUST_200600_302600_NS6detail15normal_iteratorINS9_10device_ptrIiEEEESE_iNS9_4plusIvEEiEEDaPvRmT3_T4_T5_mT6_P12ihipStream_tbENKUlT_T0_E_clISt17integral_constantIbLb0EEST_IbLb1EEEEDaSP_SQ_EUlSP_E0_NS1_11comp_targetILNS1_3genE2ELNS1_11target_archE906ELNS1_3gpuE6ELNS1_3repE0EEENS1_30default_config_static_selectorELNS0_4arch9wavefront6targetE0EEEvT1_.numbered_sgpr, 0
	.set _ZN7rocprim17ROCPRIM_400000_NS6detail17trampoline_kernelINS0_14default_configENS1_20scan_config_selectorIiEEZZNS1_9scan_implILNS1_25lookback_scan_determinismE0ELb0ELb0ES3_N6thrust23THRUST_200600_302600_NS6detail15normal_iteratorINS9_10device_ptrIiEEEESE_iNS9_4plusIvEEiEEDaPvRmT3_T4_T5_mT6_P12ihipStream_tbENKUlT_T0_E_clISt17integral_constantIbLb0EEST_IbLb1EEEEDaSP_SQ_EUlSP_E0_NS1_11comp_targetILNS1_3genE2ELNS1_11target_archE906ELNS1_3gpuE6ELNS1_3repE0EEENS1_30default_config_static_selectorELNS0_4arch9wavefront6targetE0EEEvT1_.num_named_barrier, 0
	.set _ZN7rocprim17ROCPRIM_400000_NS6detail17trampoline_kernelINS0_14default_configENS1_20scan_config_selectorIiEEZZNS1_9scan_implILNS1_25lookback_scan_determinismE0ELb0ELb0ES3_N6thrust23THRUST_200600_302600_NS6detail15normal_iteratorINS9_10device_ptrIiEEEESE_iNS9_4plusIvEEiEEDaPvRmT3_T4_T5_mT6_P12ihipStream_tbENKUlT_T0_E_clISt17integral_constantIbLb0EEST_IbLb1EEEEDaSP_SQ_EUlSP_E0_NS1_11comp_targetILNS1_3genE2ELNS1_11target_archE906ELNS1_3gpuE6ELNS1_3repE0EEENS1_30default_config_static_selectorELNS0_4arch9wavefront6targetE0EEEvT1_.private_seg_size, 0
	.set _ZN7rocprim17ROCPRIM_400000_NS6detail17trampoline_kernelINS0_14default_configENS1_20scan_config_selectorIiEEZZNS1_9scan_implILNS1_25lookback_scan_determinismE0ELb0ELb0ES3_N6thrust23THRUST_200600_302600_NS6detail15normal_iteratorINS9_10device_ptrIiEEEESE_iNS9_4plusIvEEiEEDaPvRmT3_T4_T5_mT6_P12ihipStream_tbENKUlT_T0_E_clISt17integral_constantIbLb0EEST_IbLb1EEEEDaSP_SQ_EUlSP_E0_NS1_11comp_targetILNS1_3genE2ELNS1_11target_archE906ELNS1_3gpuE6ELNS1_3repE0EEENS1_30default_config_static_selectorELNS0_4arch9wavefront6targetE0EEEvT1_.uses_vcc, 0
	.set _ZN7rocprim17ROCPRIM_400000_NS6detail17trampoline_kernelINS0_14default_configENS1_20scan_config_selectorIiEEZZNS1_9scan_implILNS1_25lookback_scan_determinismE0ELb0ELb0ES3_N6thrust23THRUST_200600_302600_NS6detail15normal_iteratorINS9_10device_ptrIiEEEESE_iNS9_4plusIvEEiEEDaPvRmT3_T4_T5_mT6_P12ihipStream_tbENKUlT_T0_E_clISt17integral_constantIbLb0EEST_IbLb1EEEEDaSP_SQ_EUlSP_E0_NS1_11comp_targetILNS1_3genE2ELNS1_11target_archE906ELNS1_3gpuE6ELNS1_3repE0EEENS1_30default_config_static_selectorELNS0_4arch9wavefront6targetE0EEEvT1_.uses_flat_scratch, 0
	.set _ZN7rocprim17ROCPRIM_400000_NS6detail17trampoline_kernelINS0_14default_configENS1_20scan_config_selectorIiEEZZNS1_9scan_implILNS1_25lookback_scan_determinismE0ELb0ELb0ES3_N6thrust23THRUST_200600_302600_NS6detail15normal_iteratorINS9_10device_ptrIiEEEESE_iNS9_4plusIvEEiEEDaPvRmT3_T4_T5_mT6_P12ihipStream_tbENKUlT_T0_E_clISt17integral_constantIbLb0EEST_IbLb1EEEEDaSP_SQ_EUlSP_E0_NS1_11comp_targetILNS1_3genE2ELNS1_11target_archE906ELNS1_3gpuE6ELNS1_3repE0EEENS1_30default_config_static_selectorELNS0_4arch9wavefront6targetE0EEEvT1_.has_dyn_sized_stack, 0
	.set _ZN7rocprim17ROCPRIM_400000_NS6detail17trampoline_kernelINS0_14default_configENS1_20scan_config_selectorIiEEZZNS1_9scan_implILNS1_25lookback_scan_determinismE0ELb0ELb0ES3_N6thrust23THRUST_200600_302600_NS6detail15normal_iteratorINS9_10device_ptrIiEEEESE_iNS9_4plusIvEEiEEDaPvRmT3_T4_T5_mT6_P12ihipStream_tbENKUlT_T0_E_clISt17integral_constantIbLb0EEST_IbLb1EEEEDaSP_SQ_EUlSP_E0_NS1_11comp_targetILNS1_3genE2ELNS1_11target_archE906ELNS1_3gpuE6ELNS1_3repE0EEENS1_30default_config_static_selectorELNS0_4arch9wavefront6targetE0EEEvT1_.has_recursion, 0
	.set _ZN7rocprim17ROCPRIM_400000_NS6detail17trampoline_kernelINS0_14default_configENS1_20scan_config_selectorIiEEZZNS1_9scan_implILNS1_25lookback_scan_determinismE0ELb0ELb0ES3_N6thrust23THRUST_200600_302600_NS6detail15normal_iteratorINS9_10device_ptrIiEEEESE_iNS9_4plusIvEEiEEDaPvRmT3_T4_T5_mT6_P12ihipStream_tbENKUlT_T0_E_clISt17integral_constantIbLb0EEST_IbLb1EEEEDaSP_SQ_EUlSP_E0_NS1_11comp_targetILNS1_3genE2ELNS1_11target_archE906ELNS1_3gpuE6ELNS1_3repE0EEENS1_30default_config_static_selectorELNS0_4arch9wavefront6targetE0EEEvT1_.has_indirect_call, 0
	.section	.AMDGPU.csdata,"",@progbits
; Kernel info:
; codeLenInByte = 0
; TotalNumSgprs: 0
; NumVgprs: 0
; ScratchSize: 0
; MemoryBound: 0
; FloatMode: 240
; IeeeMode: 1
; LDSByteSize: 0 bytes/workgroup (compile time only)
; SGPRBlocks: 0
; VGPRBlocks: 0
; NumSGPRsForWavesPerEU: 1
; NumVGPRsForWavesPerEU: 1
; NamedBarCnt: 0
; Occupancy: 16
; WaveLimiterHint : 0
; COMPUTE_PGM_RSRC2:SCRATCH_EN: 0
; COMPUTE_PGM_RSRC2:USER_SGPR: 2
; COMPUTE_PGM_RSRC2:TRAP_HANDLER: 0
; COMPUTE_PGM_RSRC2:TGID_X_EN: 1
; COMPUTE_PGM_RSRC2:TGID_Y_EN: 0
; COMPUTE_PGM_RSRC2:TGID_Z_EN: 0
; COMPUTE_PGM_RSRC2:TIDIG_COMP_CNT: 0
	.section	.text._ZN7rocprim17ROCPRIM_400000_NS6detail17trampoline_kernelINS0_14default_configENS1_20scan_config_selectorIiEEZZNS1_9scan_implILNS1_25lookback_scan_determinismE0ELb0ELb0ES3_N6thrust23THRUST_200600_302600_NS6detail15normal_iteratorINS9_10device_ptrIiEEEESE_iNS9_4plusIvEEiEEDaPvRmT3_T4_T5_mT6_P12ihipStream_tbENKUlT_T0_E_clISt17integral_constantIbLb0EEST_IbLb1EEEEDaSP_SQ_EUlSP_E0_NS1_11comp_targetILNS1_3genE10ELNS1_11target_archE1201ELNS1_3gpuE5ELNS1_3repE0EEENS1_30default_config_static_selectorELNS0_4arch9wavefront6targetE0EEEvT1_,"axG",@progbits,_ZN7rocprim17ROCPRIM_400000_NS6detail17trampoline_kernelINS0_14default_configENS1_20scan_config_selectorIiEEZZNS1_9scan_implILNS1_25lookback_scan_determinismE0ELb0ELb0ES3_N6thrust23THRUST_200600_302600_NS6detail15normal_iteratorINS9_10device_ptrIiEEEESE_iNS9_4plusIvEEiEEDaPvRmT3_T4_T5_mT6_P12ihipStream_tbENKUlT_T0_E_clISt17integral_constantIbLb0EEST_IbLb1EEEEDaSP_SQ_EUlSP_E0_NS1_11comp_targetILNS1_3genE10ELNS1_11target_archE1201ELNS1_3gpuE5ELNS1_3repE0EEENS1_30default_config_static_selectorELNS0_4arch9wavefront6targetE0EEEvT1_,comdat
	.protected	_ZN7rocprim17ROCPRIM_400000_NS6detail17trampoline_kernelINS0_14default_configENS1_20scan_config_selectorIiEEZZNS1_9scan_implILNS1_25lookback_scan_determinismE0ELb0ELb0ES3_N6thrust23THRUST_200600_302600_NS6detail15normal_iteratorINS9_10device_ptrIiEEEESE_iNS9_4plusIvEEiEEDaPvRmT3_T4_T5_mT6_P12ihipStream_tbENKUlT_T0_E_clISt17integral_constantIbLb0EEST_IbLb1EEEEDaSP_SQ_EUlSP_E0_NS1_11comp_targetILNS1_3genE10ELNS1_11target_archE1201ELNS1_3gpuE5ELNS1_3repE0EEENS1_30default_config_static_selectorELNS0_4arch9wavefront6targetE0EEEvT1_ ; -- Begin function _ZN7rocprim17ROCPRIM_400000_NS6detail17trampoline_kernelINS0_14default_configENS1_20scan_config_selectorIiEEZZNS1_9scan_implILNS1_25lookback_scan_determinismE0ELb0ELb0ES3_N6thrust23THRUST_200600_302600_NS6detail15normal_iteratorINS9_10device_ptrIiEEEESE_iNS9_4plusIvEEiEEDaPvRmT3_T4_T5_mT6_P12ihipStream_tbENKUlT_T0_E_clISt17integral_constantIbLb0EEST_IbLb1EEEEDaSP_SQ_EUlSP_E0_NS1_11comp_targetILNS1_3genE10ELNS1_11target_archE1201ELNS1_3gpuE5ELNS1_3repE0EEENS1_30default_config_static_selectorELNS0_4arch9wavefront6targetE0EEEvT1_
	.globl	_ZN7rocprim17ROCPRIM_400000_NS6detail17trampoline_kernelINS0_14default_configENS1_20scan_config_selectorIiEEZZNS1_9scan_implILNS1_25lookback_scan_determinismE0ELb0ELb0ES3_N6thrust23THRUST_200600_302600_NS6detail15normal_iteratorINS9_10device_ptrIiEEEESE_iNS9_4plusIvEEiEEDaPvRmT3_T4_T5_mT6_P12ihipStream_tbENKUlT_T0_E_clISt17integral_constantIbLb0EEST_IbLb1EEEEDaSP_SQ_EUlSP_E0_NS1_11comp_targetILNS1_3genE10ELNS1_11target_archE1201ELNS1_3gpuE5ELNS1_3repE0EEENS1_30default_config_static_selectorELNS0_4arch9wavefront6targetE0EEEvT1_
	.p2align	8
	.type	_ZN7rocprim17ROCPRIM_400000_NS6detail17trampoline_kernelINS0_14default_configENS1_20scan_config_selectorIiEEZZNS1_9scan_implILNS1_25lookback_scan_determinismE0ELb0ELb0ES3_N6thrust23THRUST_200600_302600_NS6detail15normal_iteratorINS9_10device_ptrIiEEEESE_iNS9_4plusIvEEiEEDaPvRmT3_T4_T5_mT6_P12ihipStream_tbENKUlT_T0_E_clISt17integral_constantIbLb0EEST_IbLb1EEEEDaSP_SQ_EUlSP_E0_NS1_11comp_targetILNS1_3genE10ELNS1_11target_archE1201ELNS1_3gpuE5ELNS1_3repE0EEENS1_30default_config_static_selectorELNS0_4arch9wavefront6targetE0EEEvT1_,@function
_ZN7rocprim17ROCPRIM_400000_NS6detail17trampoline_kernelINS0_14default_configENS1_20scan_config_selectorIiEEZZNS1_9scan_implILNS1_25lookback_scan_determinismE0ELb0ELb0ES3_N6thrust23THRUST_200600_302600_NS6detail15normal_iteratorINS9_10device_ptrIiEEEESE_iNS9_4plusIvEEiEEDaPvRmT3_T4_T5_mT6_P12ihipStream_tbENKUlT_T0_E_clISt17integral_constantIbLb0EEST_IbLb1EEEEDaSP_SQ_EUlSP_E0_NS1_11comp_targetILNS1_3genE10ELNS1_11target_archE1201ELNS1_3gpuE5ELNS1_3repE0EEENS1_30default_config_static_selectorELNS0_4arch9wavefront6targetE0EEEvT1_: ; @_ZN7rocprim17ROCPRIM_400000_NS6detail17trampoline_kernelINS0_14default_configENS1_20scan_config_selectorIiEEZZNS1_9scan_implILNS1_25lookback_scan_determinismE0ELb0ELb0ES3_N6thrust23THRUST_200600_302600_NS6detail15normal_iteratorINS9_10device_ptrIiEEEESE_iNS9_4plusIvEEiEEDaPvRmT3_T4_T5_mT6_P12ihipStream_tbENKUlT_T0_E_clISt17integral_constantIbLb0EEST_IbLb1EEEEDaSP_SQ_EUlSP_E0_NS1_11comp_targetILNS1_3genE10ELNS1_11target_archE1201ELNS1_3gpuE5ELNS1_3repE0EEENS1_30default_config_static_selectorELNS0_4arch9wavefront6targetE0EEEvT1_
; %bb.0:
	.section	.rodata,"a",@progbits
	.p2align	6, 0x0
	.amdhsa_kernel _ZN7rocprim17ROCPRIM_400000_NS6detail17trampoline_kernelINS0_14default_configENS1_20scan_config_selectorIiEEZZNS1_9scan_implILNS1_25lookback_scan_determinismE0ELb0ELb0ES3_N6thrust23THRUST_200600_302600_NS6detail15normal_iteratorINS9_10device_ptrIiEEEESE_iNS9_4plusIvEEiEEDaPvRmT3_T4_T5_mT6_P12ihipStream_tbENKUlT_T0_E_clISt17integral_constantIbLb0EEST_IbLb1EEEEDaSP_SQ_EUlSP_E0_NS1_11comp_targetILNS1_3genE10ELNS1_11target_archE1201ELNS1_3gpuE5ELNS1_3repE0EEENS1_30default_config_static_selectorELNS0_4arch9wavefront6targetE0EEEvT1_
		.amdhsa_group_segment_fixed_size 0
		.amdhsa_private_segment_fixed_size 0
		.amdhsa_kernarg_size 32
		.amdhsa_user_sgpr_count 2
		.amdhsa_user_sgpr_dispatch_ptr 0
		.amdhsa_user_sgpr_queue_ptr 0
		.amdhsa_user_sgpr_kernarg_segment_ptr 1
		.amdhsa_user_sgpr_dispatch_id 0
		.amdhsa_user_sgpr_kernarg_preload_length 0
		.amdhsa_user_sgpr_kernarg_preload_offset 0
		.amdhsa_user_sgpr_private_segment_size 0
		.amdhsa_wavefront_size32 1
		.amdhsa_uses_dynamic_stack 0
		.amdhsa_enable_private_segment 0
		.amdhsa_system_sgpr_workgroup_id_x 1
		.amdhsa_system_sgpr_workgroup_id_y 0
		.amdhsa_system_sgpr_workgroup_id_z 0
		.amdhsa_system_sgpr_workgroup_info 0
		.amdhsa_system_vgpr_workitem_id 0
		.amdhsa_next_free_vgpr 1
		.amdhsa_next_free_sgpr 1
		.amdhsa_named_barrier_count 0
		.amdhsa_reserve_vcc 0
		.amdhsa_float_round_mode_32 0
		.amdhsa_float_round_mode_16_64 0
		.amdhsa_float_denorm_mode_32 3
		.amdhsa_float_denorm_mode_16_64 3
		.amdhsa_fp16_overflow 0
		.amdhsa_memory_ordered 1
		.amdhsa_forward_progress 1
		.amdhsa_inst_pref_size 0
		.amdhsa_round_robin_scheduling 0
		.amdhsa_exception_fp_ieee_invalid_op 0
		.amdhsa_exception_fp_denorm_src 0
		.amdhsa_exception_fp_ieee_div_zero 0
		.amdhsa_exception_fp_ieee_overflow 0
		.amdhsa_exception_fp_ieee_underflow 0
		.amdhsa_exception_fp_ieee_inexact 0
		.amdhsa_exception_int_div_zero 0
	.end_amdhsa_kernel
	.section	.text._ZN7rocprim17ROCPRIM_400000_NS6detail17trampoline_kernelINS0_14default_configENS1_20scan_config_selectorIiEEZZNS1_9scan_implILNS1_25lookback_scan_determinismE0ELb0ELb0ES3_N6thrust23THRUST_200600_302600_NS6detail15normal_iteratorINS9_10device_ptrIiEEEESE_iNS9_4plusIvEEiEEDaPvRmT3_T4_T5_mT6_P12ihipStream_tbENKUlT_T0_E_clISt17integral_constantIbLb0EEST_IbLb1EEEEDaSP_SQ_EUlSP_E0_NS1_11comp_targetILNS1_3genE10ELNS1_11target_archE1201ELNS1_3gpuE5ELNS1_3repE0EEENS1_30default_config_static_selectorELNS0_4arch9wavefront6targetE0EEEvT1_,"axG",@progbits,_ZN7rocprim17ROCPRIM_400000_NS6detail17trampoline_kernelINS0_14default_configENS1_20scan_config_selectorIiEEZZNS1_9scan_implILNS1_25lookback_scan_determinismE0ELb0ELb0ES3_N6thrust23THRUST_200600_302600_NS6detail15normal_iteratorINS9_10device_ptrIiEEEESE_iNS9_4plusIvEEiEEDaPvRmT3_T4_T5_mT6_P12ihipStream_tbENKUlT_T0_E_clISt17integral_constantIbLb0EEST_IbLb1EEEEDaSP_SQ_EUlSP_E0_NS1_11comp_targetILNS1_3genE10ELNS1_11target_archE1201ELNS1_3gpuE5ELNS1_3repE0EEENS1_30default_config_static_selectorELNS0_4arch9wavefront6targetE0EEEvT1_,comdat
.Lfunc_end80:
	.size	_ZN7rocprim17ROCPRIM_400000_NS6detail17trampoline_kernelINS0_14default_configENS1_20scan_config_selectorIiEEZZNS1_9scan_implILNS1_25lookback_scan_determinismE0ELb0ELb0ES3_N6thrust23THRUST_200600_302600_NS6detail15normal_iteratorINS9_10device_ptrIiEEEESE_iNS9_4plusIvEEiEEDaPvRmT3_T4_T5_mT6_P12ihipStream_tbENKUlT_T0_E_clISt17integral_constantIbLb0EEST_IbLb1EEEEDaSP_SQ_EUlSP_E0_NS1_11comp_targetILNS1_3genE10ELNS1_11target_archE1201ELNS1_3gpuE5ELNS1_3repE0EEENS1_30default_config_static_selectorELNS0_4arch9wavefront6targetE0EEEvT1_, .Lfunc_end80-_ZN7rocprim17ROCPRIM_400000_NS6detail17trampoline_kernelINS0_14default_configENS1_20scan_config_selectorIiEEZZNS1_9scan_implILNS1_25lookback_scan_determinismE0ELb0ELb0ES3_N6thrust23THRUST_200600_302600_NS6detail15normal_iteratorINS9_10device_ptrIiEEEESE_iNS9_4plusIvEEiEEDaPvRmT3_T4_T5_mT6_P12ihipStream_tbENKUlT_T0_E_clISt17integral_constantIbLb0EEST_IbLb1EEEEDaSP_SQ_EUlSP_E0_NS1_11comp_targetILNS1_3genE10ELNS1_11target_archE1201ELNS1_3gpuE5ELNS1_3repE0EEENS1_30default_config_static_selectorELNS0_4arch9wavefront6targetE0EEEvT1_
                                        ; -- End function
	.set _ZN7rocprim17ROCPRIM_400000_NS6detail17trampoline_kernelINS0_14default_configENS1_20scan_config_selectorIiEEZZNS1_9scan_implILNS1_25lookback_scan_determinismE0ELb0ELb0ES3_N6thrust23THRUST_200600_302600_NS6detail15normal_iteratorINS9_10device_ptrIiEEEESE_iNS9_4plusIvEEiEEDaPvRmT3_T4_T5_mT6_P12ihipStream_tbENKUlT_T0_E_clISt17integral_constantIbLb0EEST_IbLb1EEEEDaSP_SQ_EUlSP_E0_NS1_11comp_targetILNS1_3genE10ELNS1_11target_archE1201ELNS1_3gpuE5ELNS1_3repE0EEENS1_30default_config_static_selectorELNS0_4arch9wavefront6targetE0EEEvT1_.num_vgpr, 0
	.set _ZN7rocprim17ROCPRIM_400000_NS6detail17trampoline_kernelINS0_14default_configENS1_20scan_config_selectorIiEEZZNS1_9scan_implILNS1_25lookback_scan_determinismE0ELb0ELb0ES3_N6thrust23THRUST_200600_302600_NS6detail15normal_iteratorINS9_10device_ptrIiEEEESE_iNS9_4plusIvEEiEEDaPvRmT3_T4_T5_mT6_P12ihipStream_tbENKUlT_T0_E_clISt17integral_constantIbLb0EEST_IbLb1EEEEDaSP_SQ_EUlSP_E0_NS1_11comp_targetILNS1_3genE10ELNS1_11target_archE1201ELNS1_3gpuE5ELNS1_3repE0EEENS1_30default_config_static_selectorELNS0_4arch9wavefront6targetE0EEEvT1_.num_agpr, 0
	.set _ZN7rocprim17ROCPRIM_400000_NS6detail17trampoline_kernelINS0_14default_configENS1_20scan_config_selectorIiEEZZNS1_9scan_implILNS1_25lookback_scan_determinismE0ELb0ELb0ES3_N6thrust23THRUST_200600_302600_NS6detail15normal_iteratorINS9_10device_ptrIiEEEESE_iNS9_4plusIvEEiEEDaPvRmT3_T4_T5_mT6_P12ihipStream_tbENKUlT_T0_E_clISt17integral_constantIbLb0EEST_IbLb1EEEEDaSP_SQ_EUlSP_E0_NS1_11comp_targetILNS1_3genE10ELNS1_11target_archE1201ELNS1_3gpuE5ELNS1_3repE0EEENS1_30default_config_static_selectorELNS0_4arch9wavefront6targetE0EEEvT1_.numbered_sgpr, 0
	.set _ZN7rocprim17ROCPRIM_400000_NS6detail17trampoline_kernelINS0_14default_configENS1_20scan_config_selectorIiEEZZNS1_9scan_implILNS1_25lookback_scan_determinismE0ELb0ELb0ES3_N6thrust23THRUST_200600_302600_NS6detail15normal_iteratorINS9_10device_ptrIiEEEESE_iNS9_4plusIvEEiEEDaPvRmT3_T4_T5_mT6_P12ihipStream_tbENKUlT_T0_E_clISt17integral_constantIbLb0EEST_IbLb1EEEEDaSP_SQ_EUlSP_E0_NS1_11comp_targetILNS1_3genE10ELNS1_11target_archE1201ELNS1_3gpuE5ELNS1_3repE0EEENS1_30default_config_static_selectorELNS0_4arch9wavefront6targetE0EEEvT1_.num_named_barrier, 0
	.set _ZN7rocprim17ROCPRIM_400000_NS6detail17trampoline_kernelINS0_14default_configENS1_20scan_config_selectorIiEEZZNS1_9scan_implILNS1_25lookback_scan_determinismE0ELb0ELb0ES3_N6thrust23THRUST_200600_302600_NS6detail15normal_iteratorINS9_10device_ptrIiEEEESE_iNS9_4plusIvEEiEEDaPvRmT3_T4_T5_mT6_P12ihipStream_tbENKUlT_T0_E_clISt17integral_constantIbLb0EEST_IbLb1EEEEDaSP_SQ_EUlSP_E0_NS1_11comp_targetILNS1_3genE10ELNS1_11target_archE1201ELNS1_3gpuE5ELNS1_3repE0EEENS1_30default_config_static_selectorELNS0_4arch9wavefront6targetE0EEEvT1_.private_seg_size, 0
	.set _ZN7rocprim17ROCPRIM_400000_NS6detail17trampoline_kernelINS0_14default_configENS1_20scan_config_selectorIiEEZZNS1_9scan_implILNS1_25lookback_scan_determinismE0ELb0ELb0ES3_N6thrust23THRUST_200600_302600_NS6detail15normal_iteratorINS9_10device_ptrIiEEEESE_iNS9_4plusIvEEiEEDaPvRmT3_T4_T5_mT6_P12ihipStream_tbENKUlT_T0_E_clISt17integral_constantIbLb0EEST_IbLb1EEEEDaSP_SQ_EUlSP_E0_NS1_11comp_targetILNS1_3genE10ELNS1_11target_archE1201ELNS1_3gpuE5ELNS1_3repE0EEENS1_30default_config_static_selectorELNS0_4arch9wavefront6targetE0EEEvT1_.uses_vcc, 0
	.set _ZN7rocprim17ROCPRIM_400000_NS6detail17trampoline_kernelINS0_14default_configENS1_20scan_config_selectorIiEEZZNS1_9scan_implILNS1_25lookback_scan_determinismE0ELb0ELb0ES3_N6thrust23THRUST_200600_302600_NS6detail15normal_iteratorINS9_10device_ptrIiEEEESE_iNS9_4plusIvEEiEEDaPvRmT3_T4_T5_mT6_P12ihipStream_tbENKUlT_T0_E_clISt17integral_constantIbLb0EEST_IbLb1EEEEDaSP_SQ_EUlSP_E0_NS1_11comp_targetILNS1_3genE10ELNS1_11target_archE1201ELNS1_3gpuE5ELNS1_3repE0EEENS1_30default_config_static_selectorELNS0_4arch9wavefront6targetE0EEEvT1_.uses_flat_scratch, 0
	.set _ZN7rocprim17ROCPRIM_400000_NS6detail17trampoline_kernelINS0_14default_configENS1_20scan_config_selectorIiEEZZNS1_9scan_implILNS1_25lookback_scan_determinismE0ELb0ELb0ES3_N6thrust23THRUST_200600_302600_NS6detail15normal_iteratorINS9_10device_ptrIiEEEESE_iNS9_4plusIvEEiEEDaPvRmT3_T4_T5_mT6_P12ihipStream_tbENKUlT_T0_E_clISt17integral_constantIbLb0EEST_IbLb1EEEEDaSP_SQ_EUlSP_E0_NS1_11comp_targetILNS1_3genE10ELNS1_11target_archE1201ELNS1_3gpuE5ELNS1_3repE0EEENS1_30default_config_static_selectorELNS0_4arch9wavefront6targetE0EEEvT1_.has_dyn_sized_stack, 0
	.set _ZN7rocprim17ROCPRIM_400000_NS6detail17trampoline_kernelINS0_14default_configENS1_20scan_config_selectorIiEEZZNS1_9scan_implILNS1_25lookback_scan_determinismE0ELb0ELb0ES3_N6thrust23THRUST_200600_302600_NS6detail15normal_iteratorINS9_10device_ptrIiEEEESE_iNS9_4plusIvEEiEEDaPvRmT3_T4_T5_mT6_P12ihipStream_tbENKUlT_T0_E_clISt17integral_constantIbLb0EEST_IbLb1EEEEDaSP_SQ_EUlSP_E0_NS1_11comp_targetILNS1_3genE10ELNS1_11target_archE1201ELNS1_3gpuE5ELNS1_3repE0EEENS1_30default_config_static_selectorELNS0_4arch9wavefront6targetE0EEEvT1_.has_recursion, 0
	.set _ZN7rocprim17ROCPRIM_400000_NS6detail17trampoline_kernelINS0_14default_configENS1_20scan_config_selectorIiEEZZNS1_9scan_implILNS1_25lookback_scan_determinismE0ELb0ELb0ES3_N6thrust23THRUST_200600_302600_NS6detail15normal_iteratorINS9_10device_ptrIiEEEESE_iNS9_4plusIvEEiEEDaPvRmT3_T4_T5_mT6_P12ihipStream_tbENKUlT_T0_E_clISt17integral_constantIbLb0EEST_IbLb1EEEEDaSP_SQ_EUlSP_E0_NS1_11comp_targetILNS1_3genE10ELNS1_11target_archE1201ELNS1_3gpuE5ELNS1_3repE0EEENS1_30default_config_static_selectorELNS0_4arch9wavefront6targetE0EEEvT1_.has_indirect_call, 0
	.section	.AMDGPU.csdata,"",@progbits
; Kernel info:
; codeLenInByte = 0
; TotalNumSgprs: 0
; NumVgprs: 0
; ScratchSize: 0
; MemoryBound: 0
; FloatMode: 240
; IeeeMode: 1
; LDSByteSize: 0 bytes/workgroup (compile time only)
; SGPRBlocks: 0
; VGPRBlocks: 0
; NumSGPRsForWavesPerEU: 1
; NumVGPRsForWavesPerEU: 1
; NamedBarCnt: 0
; Occupancy: 16
; WaveLimiterHint : 0
; COMPUTE_PGM_RSRC2:SCRATCH_EN: 0
; COMPUTE_PGM_RSRC2:USER_SGPR: 2
; COMPUTE_PGM_RSRC2:TRAP_HANDLER: 0
; COMPUTE_PGM_RSRC2:TGID_X_EN: 1
; COMPUTE_PGM_RSRC2:TGID_Y_EN: 0
; COMPUTE_PGM_RSRC2:TGID_Z_EN: 0
; COMPUTE_PGM_RSRC2:TIDIG_COMP_CNT: 0
	.section	.text._ZN7rocprim17ROCPRIM_400000_NS6detail17trampoline_kernelINS0_14default_configENS1_20scan_config_selectorIiEEZZNS1_9scan_implILNS1_25lookback_scan_determinismE0ELb0ELb0ES3_N6thrust23THRUST_200600_302600_NS6detail15normal_iteratorINS9_10device_ptrIiEEEESE_iNS9_4plusIvEEiEEDaPvRmT3_T4_T5_mT6_P12ihipStream_tbENKUlT_T0_E_clISt17integral_constantIbLb0EEST_IbLb1EEEEDaSP_SQ_EUlSP_E0_NS1_11comp_targetILNS1_3genE10ELNS1_11target_archE1200ELNS1_3gpuE4ELNS1_3repE0EEENS1_30default_config_static_selectorELNS0_4arch9wavefront6targetE0EEEvT1_,"axG",@progbits,_ZN7rocprim17ROCPRIM_400000_NS6detail17trampoline_kernelINS0_14default_configENS1_20scan_config_selectorIiEEZZNS1_9scan_implILNS1_25lookback_scan_determinismE0ELb0ELb0ES3_N6thrust23THRUST_200600_302600_NS6detail15normal_iteratorINS9_10device_ptrIiEEEESE_iNS9_4plusIvEEiEEDaPvRmT3_T4_T5_mT6_P12ihipStream_tbENKUlT_T0_E_clISt17integral_constantIbLb0EEST_IbLb1EEEEDaSP_SQ_EUlSP_E0_NS1_11comp_targetILNS1_3genE10ELNS1_11target_archE1200ELNS1_3gpuE4ELNS1_3repE0EEENS1_30default_config_static_selectorELNS0_4arch9wavefront6targetE0EEEvT1_,comdat
	.protected	_ZN7rocprim17ROCPRIM_400000_NS6detail17trampoline_kernelINS0_14default_configENS1_20scan_config_selectorIiEEZZNS1_9scan_implILNS1_25lookback_scan_determinismE0ELb0ELb0ES3_N6thrust23THRUST_200600_302600_NS6detail15normal_iteratorINS9_10device_ptrIiEEEESE_iNS9_4plusIvEEiEEDaPvRmT3_T4_T5_mT6_P12ihipStream_tbENKUlT_T0_E_clISt17integral_constantIbLb0EEST_IbLb1EEEEDaSP_SQ_EUlSP_E0_NS1_11comp_targetILNS1_3genE10ELNS1_11target_archE1200ELNS1_3gpuE4ELNS1_3repE0EEENS1_30default_config_static_selectorELNS0_4arch9wavefront6targetE0EEEvT1_ ; -- Begin function _ZN7rocprim17ROCPRIM_400000_NS6detail17trampoline_kernelINS0_14default_configENS1_20scan_config_selectorIiEEZZNS1_9scan_implILNS1_25lookback_scan_determinismE0ELb0ELb0ES3_N6thrust23THRUST_200600_302600_NS6detail15normal_iteratorINS9_10device_ptrIiEEEESE_iNS9_4plusIvEEiEEDaPvRmT3_T4_T5_mT6_P12ihipStream_tbENKUlT_T0_E_clISt17integral_constantIbLb0EEST_IbLb1EEEEDaSP_SQ_EUlSP_E0_NS1_11comp_targetILNS1_3genE10ELNS1_11target_archE1200ELNS1_3gpuE4ELNS1_3repE0EEENS1_30default_config_static_selectorELNS0_4arch9wavefront6targetE0EEEvT1_
	.globl	_ZN7rocprim17ROCPRIM_400000_NS6detail17trampoline_kernelINS0_14default_configENS1_20scan_config_selectorIiEEZZNS1_9scan_implILNS1_25lookback_scan_determinismE0ELb0ELb0ES3_N6thrust23THRUST_200600_302600_NS6detail15normal_iteratorINS9_10device_ptrIiEEEESE_iNS9_4plusIvEEiEEDaPvRmT3_T4_T5_mT6_P12ihipStream_tbENKUlT_T0_E_clISt17integral_constantIbLb0EEST_IbLb1EEEEDaSP_SQ_EUlSP_E0_NS1_11comp_targetILNS1_3genE10ELNS1_11target_archE1200ELNS1_3gpuE4ELNS1_3repE0EEENS1_30default_config_static_selectorELNS0_4arch9wavefront6targetE0EEEvT1_
	.p2align	8
	.type	_ZN7rocprim17ROCPRIM_400000_NS6detail17trampoline_kernelINS0_14default_configENS1_20scan_config_selectorIiEEZZNS1_9scan_implILNS1_25lookback_scan_determinismE0ELb0ELb0ES3_N6thrust23THRUST_200600_302600_NS6detail15normal_iteratorINS9_10device_ptrIiEEEESE_iNS9_4plusIvEEiEEDaPvRmT3_T4_T5_mT6_P12ihipStream_tbENKUlT_T0_E_clISt17integral_constantIbLb0EEST_IbLb1EEEEDaSP_SQ_EUlSP_E0_NS1_11comp_targetILNS1_3genE10ELNS1_11target_archE1200ELNS1_3gpuE4ELNS1_3repE0EEENS1_30default_config_static_selectorELNS0_4arch9wavefront6targetE0EEEvT1_,@function
_ZN7rocprim17ROCPRIM_400000_NS6detail17trampoline_kernelINS0_14default_configENS1_20scan_config_selectorIiEEZZNS1_9scan_implILNS1_25lookback_scan_determinismE0ELb0ELb0ES3_N6thrust23THRUST_200600_302600_NS6detail15normal_iteratorINS9_10device_ptrIiEEEESE_iNS9_4plusIvEEiEEDaPvRmT3_T4_T5_mT6_P12ihipStream_tbENKUlT_T0_E_clISt17integral_constantIbLb0EEST_IbLb1EEEEDaSP_SQ_EUlSP_E0_NS1_11comp_targetILNS1_3genE10ELNS1_11target_archE1200ELNS1_3gpuE4ELNS1_3repE0EEENS1_30default_config_static_selectorELNS0_4arch9wavefront6targetE0EEEvT1_: ; @_ZN7rocprim17ROCPRIM_400000_NS6detail17trampoline_kernelINS0_14default_configENS1_20scan_config_selectorIiEEZZNS1_9scan_implILNS1_25lookback_scan_determinismE0ELb0ELb0ES3_N6thrust23THRUST_200600_302600_NS6detail15normal_iteratorINS9_10device_ptrIiEEEESE_iNS9_4plusIvEEiEEDaPvRmT3_T4_T5_mT6_P12ihipStream_tbENKUlT_T0_E_clISt17integral_constantIbLb0EEST_IbLb1EEEEDaSP_SQ_EUlSP_E0_NS1_11comp_targetILNS1_3genE10ELNS1_11target_archE1200ELNS1_3gpuE4ELNS1_3repE0EEENS1_30default_config_static_selectorELNS0_4arch9wavefront6targetE0EEEvT1_
; %bb.0:
	.section	.rodata,"a",@progbits
	.p2align	6, 0x0
	.amdhsa_kernel _ZN7rocprim17ROCPRIM_400000_NS6detail17trampoline_kernelINS0_14default_configENS1_20scan_config_selectorIiEEZZNS1_9scan_implILNS1_25lookback_scan_determinismE0ELb0ELb0ES3_N6thrust23THRUST_200600_302600_NS6detail15normal_iteratorINS9_10device_ptrIiEEEESE_iNS9_4plusIvEEiEEDaPvRmT3_T4_T5_mT6_P12ihipStream_tbENKUlT_T0_E_clISt17integral_constantIbLb0EEST_IbLb1EEEEDaSP_SQ_EUlSP_E0_NS1_11comp_targetILNS1_3genE10ELNS1_11target_archE1200ELNS1_3gpuE4ELNS1_3repE0EEENS1_30default_config_static_selectorELNS0_4arch9wavefront6targetE0EEEvT1_
		.amdhsa_group_segment_fixed_size 0
		.amdhsa_private_segment_fixed_size 0
		.amdhsa_kernarg_size 32
		.amdhsa_user_sgpr_count 2
		.amdhsa_user_sgpr_dispatch_ptr 0
		.amdhsa_user_sgpr_queue_ptr 0
		.amdhsa_user_sgpr_kernarg_segment_ptr 1
		.amdhsa_user_sgpr_dispatch_id 0
		.amdhsa_user_sgpr_kernarg_preload_length 0
		.amdhsa_user_sgpr_kernarg_preload_offset 0
		.amdhsa_user_sgpr_private_segment_size 0
		.amdhsa_wavefront_size32 1
		.amdhsa_uses_dynamic_stack 0
		.amdhsa_enable_private_segment 0
		.amdhsa_system_sgpr_workgroup_id_x 1
		.amdhsa_system_sgpr_workgroup_id_y 0
		.amdhsa_system_sgpr_workgroup_id_z 0
		.amdhsa_system_sgpr_workgroup_info 0
		.amdhsa_system_vgpr_workitem_id 0
		.amdhsa_next_free_vgpr 1
		.amdhsa_next_free_sgpr 1
		.amdhsa_named_barrier_count 0
		.amdhsa_reserve_vcc 0
		.amdhsa_float_round_mode_32 0
		.amdhsa_float_round_mode_16_64 0
		.amdhsa_float_denorm_mode_32 3
		.amdhsa_float_denorm_mode_16_64 3
		.amdhsa_fp16_overflow 0
		.amdhsa_memory_ordered 1
		.amdhsa_forward_progress 1
		.amdhsa_inst_pref_size 0
		.amdhsa_round_robin_scheduling 0
		.amdhsa_exception_fp_ieee_invalid_op 0
		.amdhsa_exception_fp_denorm_src 0
		.amdhsa_exception_fp_ieee_div_zero 0
		.amdhsa_exception_fp_ieee_overflow 0
		.amdhsa_exception_fp_ieee_underflow 0
		.amdhsa_exception_fp_ieee_inexact 0
		.amdhsa_exception_int_div_zero 0
	.end_amdhsa_kernel
	.section	.text._ZN7rocprim17ROCPRIM_400000_NS6detail17trampoline_kernelINS0_14default_configENS1_20scan_config_selectorIiEEZZNS1_9scan_implILNS1_25lookback_scan_determinismE0ELb0ELb0ES3_N6thrust23THRUST_200600_302600_NS6detail15normal_iteratorINS9_10device_ptrIiEEEESE_iNS9_4plusIvEEiEEDaPvRmT3_T4_T5_mT6_P12ihipStream_tbENKUlT_T0_E_clISt17integral_constantIbLb0EEST_IbLb1EEEEDaSP_SQ_EUlSP_E0_NS1_11comp_targetILNS1_3genE10ELNS1_11target_archE1200ELNS1_3gpuE4ELNS1_3repE0EEENS1_30default_config_static_selectorELNS0_4arch9wavefront6targetE0EEEvT1_,"axG",@progbits,_ZN7rocprim17ROCPRIM_400000_NS6detail17trampoline_kernelINS0_14default_configENS1_20scan_config_selectorIiEEZZNS1_9scan_implILNS1_25lookback_scan_determinismE0ELb0ELb0ES3_N6thrust23THRUST_200600_302600_NS6detail15normal_iteratorINS9_10device_ptrIiEEEESE_iNS9_4plusIvEEiEEDaPvRmT3_T4_T5_mT6_P12ihipStream_tbENKUlT_T0_E_clISt17integral_constantIbLb0EEST_IbLb1EEEEDaSP_SQ_EUlSP_E0_NS1_11comp_targetILNS1_3genE10ELNS1_11target_archE1200ELNS1_3gpuE4ELNS1_3repE0EEENS1_30default_config_static_selectorELNS0_4arch9wavefront6targetE0EEEvT1_,comdat
.Lfunc_end81:
	.size	_ZN7rocprim17ROCPRIM_400000_NS6detail17trampoline_kernelINS0_14default_configENS1_20scan_config_selectorIiEEZZNS1_9scan_implILNS1_25lookback_scan_determinismE0ELb0ELb0ES3_N6thrust23THRUST_200600_302600_NS6detail15normal_iteratorINS9_10device_ptrIiEEEESE_iNS9_4plusIvEEiEEDaPvRmT3_T4_T5_mT6_P12ihipStream_tbENKUlT_T0_E_clISt17integral_constantIbLb0EEST_IbLb1EEEEDaSP_SQ_EUlSP_E0_NS1_11comp_targetILNS1_3genE10ELNS1_11target_archE1200ELNS1_3gpuE4ELNS1_3repE0EEENS1_30default_config_static_selectorELNS0_4arch9wavefront6targetE0EEEvT1_, .Lfunc_end81-_ZN7rocprim17ROCPRIM_400000_NS6detail17trampoline_kernelINS0_14default_configENS1_20scan_config_selectorIiEEZZNS1_9scan_implILNS1_25lookback_scan_determinismE0ELb0ELb0ES3_N6thrust23THRUST_200600_302600_NS6detail15normal_iteratorINS9_10device_ptrIiEEEESE_iNS9_4plusIvEEiEEDaPvRmT3_T4_T5_mT6_P12ihipStream_tbENKUlT_T0_E_clISt17integral_constantIbLb0EEST_IbLb1EEEEDaSP_SQ_EUlSP_E0_NS1_11comp_targetILNS1_3genE10ELNS1_11target_archE1200ELNS1_3gpuE4ELNS1_3repE0EEENS1_30default_config_static_selectorELNS0_4arch9wavefront6targetE0EEEvT1_
                                        ; -- End function
	.set _ZN7rocprim17ROCPRIM_400000_NS6detail17trampoline_kernelINS0_14default_configENS1_20scan_config_selectorIiEEZZNS1_9scan_implILNS1_25lookback_scan_determinismE0ELb0ELb0ES3_N6thrust23THRUST_200600_302600_NS6detail15normal_iteratorINS9_10device_ptrIiEEEESE_iNS9_4plusIvEEiEEDaPvRmT3_T4_T5_mT6_P12ihipStream_tbENKUlT_T0_E_clISt17integral_constantIbLb0EEST_IbLb1EEEEDaSP_SQ_EUlSP_E0_NS1_11comp_targetILNS1_3genE10ELNS1_11target_archE1200ELNS1_3gpuE4ELNS1_3repE0EEENS1_30default_config_static_selectorELNS0_4arch9wavefront6targetE0EEEvT1_.num_vgpr, 0
	.set _ZN7rocprim17ROCPRIM_400000_NS6detail17trampoline_kernelINS0_14default_configENS1_20scan_config_selectorIiEEZZNS1_9scan_implILNS1_25lookback_scan_determinismE0ELb0ELb0ES3_N6thrust23THRUST_200600_302600_NS6detail15normal_iteratorINS9_10device_ptrIiEEEESE_iNS9_4plusIvEEiEEDaPvRmT3_T4_T5_mT6_P12ihipStream_tbENKUlT_T0_E_clISt17integral_constantIbLb0EEST_IbLb1EEEEDaSP_SQ_EUlSP_E0_NS1_11comp_targetILNS1_3genE10ELNS1_11target_archE1200ELNS1_3gpuE4ELNS1_3repE0EEENS1_30default_config_static_selectorELNS0_4arch9wavefront6targetE0EEEvT1_.num_agpr, 0
	.set _ZN7rocprim17ROCPRIM_400000_NS6detail17trampoline_kernelINS0_14default_configENS1_20scan_config_selectorIiEEZZNS1_9scan_implILNS1_25lookback_scan_determinismE0ELb0ELb0ES3_N6thrust23THRUST_200600_302600_NS6detail15normal_iteratorINS9_10device_ptrIiEEEESE_iNS9_4plusIvEEiEEDaPvRmT3_T4_T5_mT6_P12ihipStream_tbENKUlT_T0_E_clISt17integral_constantIbLb0EEST_IbLb1EEEEDaSP_SQ_EUlSP_E0_NS1_11comp_targetILNS1_3genE10ELNS1_11target_archE1200ELNS1_3gpuE4ELNS1_3repE0EEENS1_30default_config_static_selectorELNS0_4arch9wavefront6targetE0EEEvT1_.numbered_sgpr, 0
	.set _ZN7rocprim17ROCPRIM_400000_NS6detail17trampoline_kernelINS0_14default_configENS1_20scan_config_selectorIiEEZZNS1_9scan_implILNS1_25lookback_scan_determinismE0ELb0ELb0ES3_N6thrust23THRUST_200600_302600_NS6detail15normal_iteratorINS9_10device_ptrIiEEEESE_iNS9_4plusIvEEiEEDaPvRmT3_T4_T5_mT6_P12ihipStream_tbENKUlT_T0_E_clISt17integral_constantIbLb0EEST_IbLb1EEEEDaSP_SQ_EUlSP_E0_NS1_11comp_targetILNS1_3genE10ELNS1_11target_archE1200ELNS1_3gpuE4ELNS1_3repE0EEENS1_30default_config_static_selectorELNS0_4arch9wavefront6targetE0EEEvT1_.num_named_barrier, 0
	.set _ZN7rocprim17ROCPRIM_400000_NS6detail17trampoline_kernelINS0_14default_configENS1_20scan_config_selectorIiEEZZNS1_9scan_implILNS1_25lookback_scan_determinismE0ELb0ELb0ES3_N6thrust23THRUST_200600_302600_NS6detail15normal_iteratorINS9_10device_ptrIiEEEESE_iNS9_4plusIvEEiEEDaPvRmT3_T4_T5_mT6_P12ihipStream_tbENKUlT_T0_E_clISt17integral_constantIbLb0EEST_IbLb1EEEEDaSP_SQ_EUlSP_E0_NS1_11comp_targetILNS1_3genE10ELNS1_11target_archE1200ELNS1_3gpuE4ELNS1_3repE0EEENS1_30default_config_static_selectorELNS0_4arch9wavefront6targetE0EEEvT1_.private_seg_size, 0
	.set _ZN7rocprim17ROCPRIM_400000_NS6detail17trampoline_kernelINS0_14default_configENS1_20scan_config_selectorIiEEZZNS1_9scan_implILNS1_25lookback_scan_determinismE0ELb0ELb0ES3_N6thrust23THRUST_200600_302600_NS6detail15normal_iteratorINS9_10device_ptrIiEEEESE_iNS9_4plusIvEEiEEDaPvRmT3_T4_T5_mT6_P12ihipStream_tbENKUlT_T0_E_clISt17integral_constantIbLb0EEST_IbLb1EEEEDaSP_SQ_EUlSP_E0_NS1_11comp_targetILNS1_3genE10ELNS1_11target_archE1200ELNS1_3gpuE4ELNS1_3repE0EEENS1_30default_config_static_selectorELNS0_4arch9wavefront6targetE0EEEvT1_.uses_vcc, 0
	.set _ZN7rocprim17ROCPRIM_400000_NS6detail17trampoline_kernelINS0_14default_configENS1_20scan_config_selectorIiEEZZNS1_9scan_implILNS1_25lookback_scan_determinismE0ELb0ELb0ES3_N6thrust23THRUST_200600_302600_NS6detail15normal_iteratorINS9_10device_ptrIiEEEESE_iNS9_4plusIvEEiEEDaPvRmT3_T4_T5_mT6_P12ihipStream_tbENKUlT_T0_E_clISt17integral_constantIbLb0EEST_IbLb1EEEEDaSP_SQ_EUlSP_E0_NS1_11comp_targetILNS1_3genE10ELNS1_11target_archE1200ELNS1_3gpuE4ELNS1_3repE0EEENS1_30default_config_static_selectorELNS0_4arch9wavefront6targetE0EEEvT1_.uses_flat_scratch, 0
	.set _ZN7rocprim17ROCPRIM_400000_NS6detail17trampoline_kernelINS0_14default_configENS1_20scan_config_selectorIiEEZZNS1_9scan_implILNS1_25lookback_scan_determinismE0ELb0ELb0ES3_N6thrust23THRUST_200600_302600_NS6detail15normal_iteratorINS9_10device_ptrIiEEEESE_iNS9_4plusIvEEiEEDaPvRmT3_T4_T5_mT6_P12ihipStream_tbENKUlT_T0_E_clISt17integral_constantIbLb0EEST_IbLb1EEEEDaSP_SQ_EUlSP_E0_NS1_11comp_targetILNS1_3genE10ELNS1_11target_archE1200ELNS1_3gpuE4ELNS1_3repE0EEENS1_30default_config_static_selectorELNS0_4arch9wavefront6targetE0EEEvT1_.has_dyn_sized_stack, 0
	.set _ZN7rocprim17ROCPRIM_400000_NS6detail17trampoline_kernelINS0_14default_configENS1_20scan_config_selectorIiEEZZNS1_9scan_implILNS1_25lookback_scan_determinismE0ELb0ELb0ES3_N6thrust23THRUST_200600_302600_NS6detail15normal_iteratorINS9_10device_ptrIiEEEESE_iNS9_4plusIvEEiEEDaPvRmT3_T4_T5_mT6_P12ihipStream_tbENKUlT_T0_E_clISt17integral_constantIbLb0EEST_IbLb1EEEEDaSP_SQ_EUlSP_E0_NS1_11comp_targetILNS1_3genE10ELNS1_11target_archE1200ELNS1_3gpuE4ELNS1_3repE0EEENS1_30default_config_static_selectorELNS0_4arch9wavefront6targetE0EEEvT1_.has_recursion, 0
	.set _ZN7rocprim17ROCPRIM_400000_NS6detail17trampoline_kernelINS0_14default_configENS1_20scan_config_selectorIiEEZZNS1_9scan_implILNS1_25lookback_scan_determinismE0ELb0ELb0ES3_N6thrust23THRUST_200600_302600_NS6detail15normal_iteratorINS9_10device_ptrIiEEEESE_iNS9_4plusIvEEiEEDaPvRmT3_T4_T5_mT6_P12ihipStream_tbENKUlT_T0_E_clISt17integral_constantIbLb0EEST_IbLb1EEEEDaSP_SQ_EUlSP_E0_NS1_11comp_targetILNS1_3genE10ELNS1_11target_archE1200ELNS1_3gpuE4ELNS1_3repE0EEENS1_30default_config_static_selectorELNS0_4arch9wavefront6targetE0EEEvT1_.has_indirect_call, 0
	.section	.AMDGPU.csdata,"",@progbits
; Kernel info:
; codeLenInByte = 0
; TotalNumSgprs: 0
; NumVgprs: 0
; ScratchSize: 0
; MemoryBound: 0
; FloatMode: 240
; IeeeMode: 1
; LDSByteSize: 0 bytes/workgroup (compile time only)
; SGPRBlocks: 0
; VGPRBlocks: 0
; NumSGPRsForWavesPerEU: 1
; NumVGPRsForWavesPerEU: 1
; NamedBarCnt: 0
; Occupancy: 16
; WaveLimiterHint : 0
; COMPUTE_PGM_RSRC2:SCRATCH_EN: 0
; COMPUTE_PGM_RSRC2:USER_SGPR: 2
; COMPUTE_PGM_RSRC2:TRAP_HANDLER: 0
; COMPUTE_PGM_RSRC2:TGID_X_EN: 1
; COMPUTE_PGM_RSRC2:TGID_Y_EN: 0
; COMPUTE_PGM_RSRC2:TGID_Z_EN: 0
; COMPUTE_PGM_RSRC2:TIDIG_COMP_CNT: 0
	.section	.text._ZN7rocprim17ROCPRIM_400000_NS6detail17trampoline_kernelINS0_14default_configENS1_20scan_config_selectorIiEEZZNS1_9scan_implILNS1_25lookback_scan_determinismE0ELb0ELb0ES3_N6thrust23THRUST_200600_302600_NS6detail15normal_iteratorINS9_10device_ptrIiEEEESE_iNS9_4plusIvEEiEEDaPvRmT3_T4_T5_mT6_P12ihipStream_tbENKUlT_T0_E_clISt17integral_constantIbLb0EEST_IbLb1EEEEDaSP_SQ_EUlSP_E0_NS1_11comp_targetILNS1_3genE9ELNS1_11target_archE1100ELNS1_3gpuE3ELNS1_3repE0EEENS1_30default_config_static_selectorELNS0_4arch9wavefront6targetE0EEEvT1_,"axG",@progbits,_ZN7rocprim17ROCPRIM_400000_NS6detail17trampoline_kernelINS0_14default_configENS1_20scan_config_selectorIiEEZZNS1_9scan_implILNS1_25lookback_scan_determinismE0ELb0ELb0ES3_N6thrust23THRUST_200600_302600_NS6detail15normal_iteratorINS9_10device_ptrIiEEEESE_iNS9_4plusIvEEiEEDaPvRmT3_T4_T5_mT6_P12ihipStream_tbENKUlT_T0_E_clISt17integral_constantIbLb0EEST_IbLb1EEEEDaSP_SQ_EUlSP_E0_NS1_11comp_targetILNS1_3genE9ELNS1_11target_archE1100ELNS1_3gpuE3ELNS1_3repE0EEENS1_30default_config_static_selectorELNS0_4arch9wavefront6targetE0EEEvT1_,comdat
	.protected	_ZN7rocprim17ROCPRIM_400000_NS6detail17trampoline_kernelINS0_14default_configENS1_20scan_config_selectorIiEEZZNS1_9scan_implILNS1_25lookback_scan_determinismE0ELb0ELb0ES3_N6thrust23THRUST_200600_302600_NS6detail15normal_iteratorINS9_10device_ptrIiEEEESE_iNS9_4plusIvEEiEEDaPvRmT3_T4_T5_mT6_P12ihipStream_tbENKUlT_T0_E_clISt17integral_constantIbLb0EEST_IbLb1EEEEDaSP_SQ_EUlSP_E0_NS1_11comp_targetILNS1_3genE9ELNS1_11target_archE1100ELNS1_3gpuE3ELNS1_3repE0EEENS1_30default_config_static_selectorELNS0_4arch9wavefront6targetE0EEEvT1_ ; -- Begin function _ZN7rocprim17ROCPRIM_400000_NS6detail17trampoline_kernelINS0_14default_configENS1_20scan_config_selectorIiEEZZNS1_9scan_implILNS1_25lookback_scan_determinismE0ELb0ELb0ES3_N6thrust23THRUST_200600_302600_NS6detail15normal_iteratorINS9_10device_ptrIiEEEESE_iNS9_4plusIvEEiEEDaPvRmT3_T4_T5_mT6_P12ihipStream_tbENKUlT_T0_E_clISt17integral_constantIbLb0EEST_IbLb1EEEEDaSP_SQ_EUlSP_E0_NS1_11comp_targetILNS1_3genE9ELNS1_11target_archE1100ELNS1_3gpuE3ELNS1_3repE0EEENS1_30default_config_static_selectorELNS0_4arch9wavefront6targetE0EEEvT1_
	.globl	_ZN7rocprim17ROCPRIM_400000_NS6detail17trampoline_kernelINS0_14default_configENS1_20scan_config_selectorIiEEZZNS1_9scan_implILNS1_25lookback_scan_determinismE0ELb0ELb0ES3_N6thrust23THRUST_200600_302600_NS6detail15normal_iteratorINS9_10device_ptrIiEEEESE_iNS9_4plusIvEEiEEDaPvRmT3_T4_T5_mT6_P12ihipStream_tbENKUlT_T0_E_clISt17integral_constantIbLb0EEST_IbLb1EEEEDaSP_SQ_EUlSP_E0_NS1_11comp_targetILNS1_3genE9ELNS1_11target_archE1100ELNS1_3gpuE3ELNS1_3repE0EEENS1_30default_config_static_selectorELNS0_4arch9wavefront6targetE0EEEvT1_
	.p2align	8
	.type	_ZN7rocprim17ROCPRIM_400000_NS6detail17trampoline_kernelINS0_14default_configENS1_20scan_config_selectorIiEEZZNS1_9scan_implILNS1_25lookback_scan_determinismE0ELb0ELb0ES3_N6thrust23THRUST_200600_302600_NS6detail15normal_iteratorINS9_10device_ptrIiEEEESE_iNS9_4plusIvEEiEEDaPvRmT3_T4_T5_mT6_P12ihipStream_tbENKUlT_T0_E_clISt17integral_constantIbLb0EEST_IbLb1EEEEDaSP_SQ_EUlSP_E0_NS1_11comp_targetILNS1_3genE9ELNS1_11target_archE1100ELNS1_3gpuE3ELNS1_3repE0EEENS1_30default_config_static_selectorELNS0_4arch9wavefront6targetE0EEEvT1_,@function
_ZN7rocprim17ROCPRIM_400000_NS6detail17trampoline_kernelINS0_14default_configENS1_20scan_config_selectorIiEEZZNS1_9scan_implILNS1_25lookback_scan_determinismE0ELb0ELb0ES3_N6thrust23THRUST_200600_302600_NS6detail15normal_iteratorINS9_10device_ptrIiEEEESE_iNS9_4plusIvEEiEEDaPvRmT3_T4_T5_mT6_P12ihipStream_tbENKUlT_T0_E_clISt17integral_constantIbLb0EEST_IbLb1EEEEDaSP_SQ_EUlSP_E0_NS1_11comp_targetILNS1_3genE9ELNS1_11target_archE1100ELNS1_3gpuE3ELNS1_3repE0EEENS1_30default_config_static_selectorELNS0_4arch9wavefront6targetE0EEEvT1_: ; @_ZN7rocprim17ROCPRIM_400000_NS6detail17trampoline_kernelINS0_14default_configENS1_20scan_config_selectorIiEEZZNS1_9scan_implILNS1_25lookback_scan_determinismE0ELb0ELb0ES3_N6thrust23THRUST_200600_302600_NS6detail15normal_iteratorINS9_10device_ptrIiEEEESE_iNS9_4plusIvEEiEEDaPvRmT3_T4_T5_mT6_P12ihipStream_tbENKUlT_T0_E_clISt17integral_constantIbLb0EEST_IbLb1EEEEDaSP_SQ_EUlSP_E0_NS1_11comp_targetILNS1_3genE9ELNS1_11target_archE1100ELNS1_3gpuE3ELNS1_3repE0EEENS1_30default_config_static_selectorELNS0_4arch9wavefront6targetE0EEEvT1_
; %bb.0:
	.section	.rodata,"a",@progbits
	.p2align	6, 0x0
	.amdhsa_kernel _ZN7rocprim17ROCPRIM_400000_NS6detail17trampoline_kernelINS0_14default_configENS1_20scan_config_selectorIiEEZZNS1_9scan_implILNS1_25lookback_scan_determinismE0ELb0ELb0ES3_N6thrust23THRUST_200600_302600_NS6detail15normal_iteratorINS9_10device_ptrIiEEEESE_iNS9_4plusIvEEiEEDaPvRmT3_T4_T5_mT6_P12ihipStream_tbENKUlT_T0_E_clISt17integral_constantIbLb0EEST_IbLb1EEEEDaSP_SQ_EUlSP_E0_NS1_11comp_targetILNS1_3genE9ELNS1_11target_archE1100ELNS1_3gpuE3ELNS1_3repE0EEENS1_30default_config_static_selectorELNS0_4arch9wavefront6targetE0EEEvT1_
		.amdhsa_group_segment_fixed_size 0
		.amdhsa_private_segment_fixed_size 0
		.amdhsa_kernarg_size 32
		.amdhsa_user_sgpr_count 2
		.amdhsa_user_sgpr_dispatch_ptr 0
		.amdhsa_user_sgpr_queue_ptr 0
		.amdhsa_user_sgpr_kernarg_segment_ptr 1
		.amdhsa_user_sgpr_dispatch_id 0
		.amdhsa_user_sgpr_kernarg_preload_length 0
		.amdhsa_user_sgpr_kernarg_preload_offset 0
		.amdhsa_user_sgpr_private_segment_size 0
		.amdhsa_wavefront_size32 1
		.amdhsa_uses_dynamic_stack 0
		.amdhsa_enable_private_segment 0
		.amdhsa_system_sgpr_workgroup_id_x 1
		.amdhsa_system_sgpr_workgroup_id_y 0
		.amdhsa_system_sgpr_workgroup_id_z 0
		.amdhsa_system_sgpr_workgroup_info 0
		.amdhsa_system_vgpr_workitem_id 0
		.amdhsa_next_free_vgpr 1
		.amdhsa_next_free_sgpr 1
		.amdhsa_named_barrier_count 0
		.amdhsa_reserve_vcc 0
		.amdhsa_float_round_mode_32 0
		.amdhsa_float_round_mode_16_64 0
		.amdhsa_float_denorm_mode_32 3
		.amdhsa_float_denorm_mode_16_64 3
		.amdhsa_fp16_overflow 0
		.amdhsa_memory_ordered 1
		.amdhsa_forward_progress 1
		.amdhsa_inst_pref_size 0
		.amdhsa_round_robin_scheduling 0
		.amdhsa_exception_fp_ieee_invalid_op 0
		.amdhsa_exception_fp_denorm_src 0
		.amdhsa_exception_fp_ieee_div_zero 0
		.amdhsa_exception_fp_ieee_overflow 0
		.amdhsa_exception_fp_ieee_underflow 0
		.amdhsa_exception_fp_ieee_inexact 0
		.amdhsa_exception_int_div_zero 0
	.end_amdhsa_kernel
	.section	.text._ZN7rocprim17ROCPRIM_400000_NS6detail17trampoline_kernelINS0_14default_configENS1_20scan_config_selectorIiEEZZNS1_9scan_implILNS1_25lookback_scan_determinismE0ELb0ELb0ES3_N6thrust23THRUST_200600_302600_NS6detail15normal_iteratorINS9_10device_ptrIiEEEESE_iNS9_4plusIvEEiEEDaPvRmT3_T4_T5_mT6_P12ihipStream_tbENKUlT_T0_E_clISt17integral_constantIbLb0EEST_IbLb1EEEEDaSP_SQ_EUlSP_E0_NS1_11comp_targetILNS1_3genE9ELNS1_11target_archE1100ELNS1_3gpuE3ELNS1_3repE0EEENS1_30default_config_static_selectorELNS0_4arch9wavefront6targetE0EEEvT1_,"axG",@progbits,_ZN7rocprim17ROCPRIM_400000_NS6detail17trampoline_kernelINS0_14default_configENS1_20scan_config_selectorIiEEZZNS1_9scan_implILNS1_25lookback_scan_determinismE0ELb0ELb0ES3_N6thrust23THRUST_200600_302600_NS6detail15normal_iteratorINS9_10device_ptrIiEEEESE_iNS9_4plusIvEEiEEDaPvRmT3_T4_T5_mT6_P12ihipStream_tbENKUlT_T0_E_clISt17integral_constantIbLb0EEST_IbLb1EEEEDaSP_SQ_EUlSP_E0_NS1_11comp_targetILNS1_3genE9ELNS1_11target_archE1100ELNS1_3gpuE3ELNS1_3repE0EEENS1_30default_config_static_selectorELNS0_4arch9wavefront6targetE0EEEvT1_,comdat
.Lfunc_end82:
	.size	_ZN7rocprim17ROCPRIM_400000_NS6detail17trampoline_kernelINS0_14default_configENS1_20scan_config_selectorIiEEZZNS1_9scan_implILNS1_25lookback_scan_determinismE0ELb0ELb0ES3_N6thrust23THRUST_200600_302600_NS6detail15normal_iteratorINS9_10device_ptrIiEEEESE_iNS9_4plusIvEEiEEDaPvRmT3_T4_T5_mT6_P12ihipStream_tbENKUlT_T0_E_clISt17integral_constantIbLb0EEST_IbLb1EEEEDaSP_SQ_EUlSP_E0_NS1_11comp_targetILNS1_3genE9ELNS1_11target_archE1100ELNS1_3gpuE3ELNS1_3repE0EEENS1_30default_config_static_selectorELNS0_4arch9wavefront6targetE0EEEvT1_, .Lfunc_end82-_ZN7rocprim17ROCPRIM_400000_NS6detail17trampoline_kernelINS0_14default_configENS1_20scan_config_selectorIiEEZZNS1_9scan_implILNS1_25lookback_scan_determinismE0ELb0ELb0ES3_N6thrust23THRUST_200600_302600_NS6detail15normal_iteratorINS9_10device_ptrIiEEEESE_iNS9_4plusIvEEiEEDaPvRmT3_T4_T5_mT6_P12ihipStream_tbENKUlT_T0_E_clISt17integral_constantIbLb0EEST_IbLb1EEEEDaSP_SQ_EUlSP_E0_NS1_11comp_targetILNS1_3genE9ELNS1_11target_archE1100ELNS1_3gpuE3ELNS1_3repE0EEENS1_30default_config_static_selectorELNS0_4arch9wavefront6targetE0EEEvT1_
                                        ; -- End function
	.set _ZN7rocprim17ROCPRIM_400000_NS6detail17trampoline_kernelINS0_14default_configENS1_20scan_config_selectorIiEEZZNS1_9scan_implILNS1_25lookback_scan_determinismE0ELb0ELb0ES3_N6thrust23THRUST_200600_302600_NS6detail15normal_iteratorINS9_10device_ptrIiEEEESE_iNS9_4plusIvEEiEEDaPvRmT3_T4_T5_mT6_P12ihipStream_tbENKUlT_T0_E_clISt17integral_constantIbLb0EEST_IbLb1EEEEDaSP_SQ_EUlSP_E0_NS1_11comp_targetILNS1_3genE9ELNS1_11target_archE1100ELNS1_3gpuE3ELNS1_3repE0EEENS1_30default_config_static_selectorELNS0_4arch9wavefront6targetE0EEEvT1_.num_vgpr, 0
	.set _ZN7rocprim17ROCPRIM_400000_NS6detail17trampoline_kernelINS0_14default_configENS1_20scan_config_selectorIiEEZZNS1_9scan_implILNS1_25lookback_scan_determinismE0ELb0ELb0ES3_N6thrust23THRUST_200600_302600_NS6detail15normal_iteratorINS9_10device_ptrIiEEEESE_iNS9_4plusIvEEiEEDaPvRmT3_T4_T5_mT6_P12ihipStream_tbENKUlT_T0_E_clISt17integral_constantIbLb0EEST_IbLb1EEEEDaSP_SQ_EUlSP_E0_NS1_11comp_targetILNS1_3genE9ELNS1_11target_archE1100ELNS1_3gpuE3ELNS1_3repE0EEENS1_30default_config_static_selectorELNS0_4arch9wavefront6targetE0EEEvT1_.num_agpr, 0
	.set _ZN7rocprim17ROCPRIM_400000_NS6detail17trampoline_kernelINS0_14default_configENS1_20scan_config_selectorIiEEZZNS1_9scan_implILNS1_25lookback_scan_determinismE0ELb0ELb0ES3_N6thrust23THRUST_200600_302600_NS6detail15normal_iteratorINS9_10device_ptrIiEEEESE_iNS9_4plusIvEEiEEDaPvRmT3_T4_T5_mT6_P12ihipStream_tbENKUlT_T0_E_clISt17integral_constantIbLb0EEST_IbLb1EEEEDaSP_SQ_EUlSP_E0_NS1_11comp_targetILNS1_3genE9ELNS1_11target_archE1100ELNS1_3gpuE3ELNS1_3repE0EEENS1_30default_config_static_selectorELNS0_4arch9wavefront6targetE0EEEvT1_.numbered_sgpr, 0
	.set _ZN7rocprim17ROCPRIM_400000_NS6detail17trampoline_kernelINS0_14default_configENS1_20scan_config_selectorIiEEZZNS1_9scan_implILNS1_25lookback_scan_determinismE0ELb0ELb0ES3_N6thrust23THRUST_200600_302600_NS6detail15normal_iteratorINS9_10device_ptrIiEEEESE_iNS9_4plusIvEEiEEDaPvRmT3_T4_T5_mT6_P12ihipStream_tbENKUlT_T0_E_clISt17integral_constantIbLb0EEST_IbLb1EEEEDaSP_SQ_EUlSP_E0_NS1_11comp_targetILNS1_3genE9ELNS1_11target_archE1100ELNS1_3gpuE3ELNS1_3repE0EEENS1_30default_config_static_selectorELNS0_4arch9wavefront6targetE0EEEvT1_.num_named_barrier, 0
	.set _ZN7rocprim17ROCPRIM_400000_NS6detail17trampoline_kernelINS0_14default_configENS1_20scan_config_selectorIiEEZZNS1_9scan_implILNS1_25lookback_scan_determinismE0ELb0ELb0ES3_N6thrust23THRUST_200600_302600_NS6detail15normal_iteratorINS9_10device_ptrIiEEEESE_iNS9_4plusIvEEiEEDaPvRmT3_T4_T5_mT6_P12ihipStream_tbENKUlT_T0_E_clISt17integral_constantIbLb0EEST_IbLb1EEEEDaSP_SQ_EUlSP_E0_NS1_11comp_targetILNS1_3genE9ELNS1_11target_archE1100ELNS1_3gpuE3ELNS1_3repE0EEENS1_30default_config_static_selectorELNS0_4arch9wavefront6targetE0EEEvT1_.private_seg_size, 0
	.set _ZN7rocprim17ROCPRIM_400000_NS6detail17trampoline_kernelINS0_14default_configENS1_20scan_config_selectorIiEEZZNS1_9scan_implILNS1_25lookback_scan_determinismE0ELb0ELb0ES3_N6thrust23THRUST_200600_302600_NS6detail15normal_iteratorINS9_10device_ptrIiEEEESE_iNS9_4plusIvEEiEEDaPvRmT3_T4_T5_mT6_P12ihipStream_tbENKUlT_T0_E_clISt17integral_constantIbLb0EEST_IbLb1EEEEDaSP_SQ_EUlSP_E0_NS1_11comp_targetILNS1_3genE9ELNS1_11target_archE1100ELNS1_3gpuE3ELNS1_3repE0EEENS1_30default_config_static_selectorELNS0_4arch9wavefront6targetE0EEEvT1_.uses_vcc, 0
	.set _ZN7rocprim17ROCPRIM_400000_NS6detail17trampoline_kernelINS0_14default_configENS1_20scan_config_selectorIiEEZZNS1_9scan_implILNS1_25lookback_scan_determinismE0ELb0ELb0ES3_N6thrust23THRUST_200600_302600_NS6detail15normal_iteratorINS9_10device_ptrIiEEEESE_iNS9_4plusIvEEiEEDaPvRmT3_T4_T5_mT6_P12ihipStream_tbENKUlT_T0_E_clISt17integral_constantIbLb0EEST_IbLb1EEEEDaSP_SQ_EUlSP_E0_NS1_11comp_targetILNS1_3genE9ELNS1_11target_archE1100ELNS1_3gpuE3ELNS1_3repE0EEENS1_30default_config_static_selectorELNS0_4arch9wavefront6targetE0EEEvT1_.uses_flat_scratch, 0
	.set _ZN7rocprim17ROCPRIM_400000_NS6detail17trampoline_kernelINS0_14default_configENS1_20scan_config_selectorIiEEZZNS1_9scan_implILNS1_25lookback_scan_determinismE0ELb0ELb0ES3_N6thrust23THRUST_200600_302600_NS6detail15normal_iteratorINS9_10device_ptrIiEEEESE_iNS9_4plusIvEEiEEDaPvRmT3_T4_T5_mT6_P12ihipStream_tbENKUlT_T0_E_clISt17integral_constantIbLb0EEST_IbLb1EEEEDaSP_SQ_EUlSP_E0_NS1_11comp_targetILNS1_3genE9ELNS1_11target_archE1100ELNS1_3gpuE3ELNS1_3repE0EEENS1_30default_config_static_selectorELNS0_4arch9wavefront6targetE0EEEvT1_.has_dyn_sized_stack, 0
	.set _ZN7rocprim17ROCPRIM_400000_NS6detail17trampoline_kernelINS0_14default_configENS1_20scan_config_selectorIiEEZZNS1_9scan_implILNS1_25lookback_scan_determinismE0ELb0ELb0ES3_N6thrust23THRUST_200600_302600_NS6detail15normal_iteratorINS9_10device_ptrIiEEEESE_iNS9_4plusIvEEiEEDaPvRmT3_T4_T5_mT6_P12ihipStream_tbENKUlT_T0_E_clISt17integral_constantIbLb0EEST_IbLb1EEEEDaSP_SQ_EUlSP_E0_NS1_11comp_targetILNS1_3genE9ELNS1_11target_archE1100ELNS1_3gpuE3ELNS1_3repE0EEENS1_30default_config_static_selectorELNS0_4arch9wavefront6targetE0EEEvT1_.has_recursion, 0
	.set _ZN7rocprim17ROCPRIM_400000_NS6detail17trampoline_kernelINS0_14default_configENS1_20scan_config_selectorIiEEZZNS1_9scan_implILNS1_25lookback_scan_determinismE0ELb0ELb0ES3_N6thrust23THRUST_200600_302600_NS6detail15normal_iteratorINS9_10device_ptrIiEEEESE_iNS9_4plusIvEEiEEDaPvRmT3_T4_T5_mT6_P12ihipStream_tbENKUlT_T0_E_clISt17integral_constantIbLb0EEST_IbLb1EEEEDaSP_SQ_EUlSP_E0_NS1_11comp_targetILNS1_3genE9ELNS1_11target_archE1100ELNS1_3gpuE3ELNS1_3repE0EEENS1_30default_config_static_selectorELNS0_4arch9wavefront6targetE0EEEvT1_.has_indirect_call, 0
	.section	.AMDGPU.csdata,"",@progbits
; Kernel info:
; codeLenInByte = 0
; TotalNumSgprs: 0
; NumVgprs: 0
; ScratchSize: 0
; MemoryBound: 0
; FloatMode: 240
; IeeeMode: 1
; LDSByteSize: 0 bytes/workgroup (compile time only)
; SGPRBlocks: 0
; VGPRBlocks: 0
; NumSGPRsForWavesPerEU: 1
; NumVGPRsForWavesPerEU: 1
; NamedBarCnt: 0
; Occupancy: 16
; WaveLimiterHint : 0
; COMPUTE_PGM_RSRC2:SCRATCH_EN: 0
; COMPUTE_PGM_RSRC2:USER_SGPR: 2
; COMPUTE_PGM_RSRC2:TRAP_HANDLER: 0
; COMPUTE_PGM_RSRC2:TGID_X_EN: 1
; COMPUTE_PGM_RSRC2:TGID_Y_EN: 0
; COMPUTE_PGM_RSRC2:TGID_Z_EN: 0
; COMPUTE_PGM_RSRC2:TIDIG_COMP_CNT: 0
	.section	.text._ZN7rocprim17ROCPRIM_400000_NS6detail17trampoline_kernelINS0_14default_configENS1_20scan_config_selectorIiEEZZNS1_9scan_implILNS1_25lookback_scan_determinismE0ELb0ELb0ES3_N6thrust23THRUST_200600_302600_NS6detail15normal_iteratorINS9_10device_ptrIiEEEESE_iNS9_4plusIvEEiEEDaPvRmT3_T4_T5_mT6_P12ihipStream_tbENKUlT_T0_E_clISt17integral_constantIbLb0EEST_IbLb1EEEEDaSP_SQ_EUlSP_E0_NS1_11comp_targetILNS1_3genE8ELNS1_11target_archE1030ELNS1_3gpuE2ELNS1_3repE0EEENS1_30default_config_static_selectorELNS0_4arch9wavefront6targetE0EEEvT1_,"axG",@progbits,_ZN7rocprim17ROCPRIM_400000_NS6detail17trampoline_kernelINS0_14default_configENS1_20scan_config_selectorIiEEZZNS1_9scan_implILNS1_25lookback_scan_determinismE0ELb0ELb0ES3_N6thrust23THRUST_200600_302600_NS6detail15normal_iteratorINS9_10device_ptrIiEEEESE_iNS9_4plusIvEEiEEDaPvRmT3_T4_T5_mT6_P12ihipStream_tbENKUlT_T0_E_clISt17integral_constantIbLb0EEST_IbLb1EEEEDaSP_SQ_EUlSP_E0_NS1_11comp_targetILNS1_3genE8ELNS1_11target_archE1030ELNS1_3gpuE2ELNS1_3repE0EEENS1_30default_config_static_selectorELNS0_4arch9wavefront6targetE0EEEvT1_,comdat
	.protected	_ZN7rocprim17ROCPRIM_400000_NS6detail17trampoline_kernelINS0_14default_configENS1_20scan_config_selectorIiEEZZNS1_9scan_implILNS1_25lookback_scan_determinismE0ELb0ELb0ES3_N6thrust23THRUST_200600_302600_NS6detail15normal_iteratorINS9_10device_ptrIiEEEESE_iNS9_4plusIvEEiEEDaPvRmT3_T4_T5_mT6_P12ihipStream_tbENKUlT_T0_E_clISt17integral_constantIbLb0EEST_IbLb1EEEEDaSP_SQ_EUlSP_E0_NS1_11comp_targetILNS1_3genE8ELNS1_11target_archE1030ELNS1_3gpuE2ELNS1_3repE0EEENS1_30default_config_static_selectorELNS0_4arch9wavefront6targetE0EEEvT1_ ; -- Begin function _ZN7rocprim17ROCPRIM_400000_NS6detail17trampoline_kernelINS0_14default_configENS1_20scan_config_selectorIiEEZZNS1_9scan_implILNS1_25lookback_scan_determinismE0ELb0ELb0ES3_N6thrust23THRUST_200600_302600_NS6detail15normal_iteratorINS9_10device_ptrIiEEEESE_iNS9_4plusIvEEiEEDaPvRmT3_T4_T5_mT6_P12ihipStream_tbENKUlT_T0_E_clISt17integral_constantIbLb0EEST_IbLb1EEEEDaSP_SQ_EUlSP_E0_NS1_11comp_targetILNS1_3genE8ELNS1_11target_archE1030ELNS1_3gpuE2ELNS1_3repE0EEENS1_30default_config_static_selectorELNS0_4arch9wavefront6targetE0EEEvT1_
	.globl	_ZN7rocprim17ROCPRIM_400000_NS6detail17trampoline_kernelINS0_14default_configENS1_20scan_config_selectorIiEEZZNS1_9scan_implILNS1_25lookback_scan_determinismE0ELb0ELb0ES3_N6thrust23THRUST_200600_302600_NS6detail15normal_iteratorINS9_10device_ptrIiEEEESE_iNS9_4plusIvEEiEEDaPvRmT3_T4_T5_mT6_P12ihipStream_tbENKUlT_T0_E_clISt17integral_constantIbLb0EEST_IbLb1EEEEDaSP_SQ_EUlSP_E0_NS1_11comp_targetILNS1_3genE8ELNS1_11target_archE1030ELNS1_3gpuE2ELNS1_3repE0EEENS1_30default_config_static_selectorELNS0_4arch9wavefront6targetE0EEEvT1_
	.p2align	8
	.type	_ZN7rocprim17ROCPRIM_400000_NS6detail17trampoline_kernelINS0_14default_configENS1_20scan_config_selectorIiEEZZNS1_9scan_implILNS1_25lookback_scan_determinismE0ELb0ELb0ES3_N6thrust23THRUST_200600_302600_NS6detail15normal_iteratorINS9_10device_ptrIiEEEESE_iNS9_4plusIvEEiEEDaPvRmT3_T4_T5_mT6_P12ihipStream_tbENKUlT_T0_E_clISt17integral_constantIbLb0EEST_IbLb1EEEEDaSP_SQ_EUlSP_E0_NS1_11comp_targetILNS1_3genE8ELNS1_11target_archE1030ELNS1_3gpuE2ELNS1_3repE0EEENS1_30default_config_static_selectorELNS0_4arch9wavefront6targetE0EEEvT1_,@function
_ZN7rocprim17ROCPRIM_400000_NS6detail17trampoline_kernelINS0_14default_configENS1_20scan_config_selectorIiEEZZNS1_9scan_implILNS1_25lookback_scan_determinismE0ELb0ELb0ES3_N6thrust23THRUST_200600_302600_NS6detail15normal_iteratorINS9_10device_ptrIiEEEESE_iNS9_4plusIvEEiEEDaPvRmT3_T4_T5_mT6_P12ihipStream_tbENKUlT_T0_E_clISt17integral_constantIbLb0EEST_IbLb1EEEEDaSP_SQ_EUlSP_E0_NS1_11comp_targetILNS1_3genE8ELNS1_11target_archE1030ELNS1_3gpuE2ELNS1_3repE0EEENS1_30default_config_static_selectorELNS0_4arch9wavefront6targetE0EEEvT1_: ; @_ZN7rocprim17ROCPRIM_400000_NS6detail17trampoline_kernelINS0_14default_configENS1_20scan_config_selectorIiEEZZNS1_9scan_implILNS1_25lookback_scan_determinismE0ELb0ELb0ES3_N6thrust23THRUST_200600_302600_NS6detail15normal_iteratorINS9_10device_ptrIiEEEESE_iNS9_4plusIvEEiEEDaPvRmT3_T4_T5_mT6_P12ihipStream_tbENKUlT_T0_E_clISt17integral_constantIbLb0EEST_IbLb1EEEEDaSP_SQ_EUlSP_E0_NS1_11comp_targetILNS1_3genE8ELNS1_11target_archE1030ELNS1_3gpuE2ELNS1_3repE0EEENS1_30default_config_static_selectorELNS0_4arch9wavefront6targetE0EEEvT1_
; %bb.0:
	.section	.rodata,"a",@progbits
	.p2align	6, 0x0
	.amdhsa_kernel _ZN7rocprim17ROCPRIM_400000_NS6detail17trampoline_kernelINS0_14default_configENS1_20scan_config_selectorIiEEZZNS1_9scan_implILNS1_25lookback_scan_determinismE0ELb0ELb0ES3_N6thrust23THRUST_200600_302600_NS6detail15normal_iteratorINS9_10device_ptrIiEEEESE_iNS9_4plusIvEEiEEDaPvRmT3_T4_T5_mT6_P12ihipStream_tbENKUlT_T0_E_clISt17integral_constantIbLb0EEST_IbLb1EEEEDaSP_SQ_EUlSP_E0_NS1_11comp_targetILNS1_3genE8ELNS1_11target_archE1030ELNS1_3gpuE2ELNS1_3repE0EEENS1_30default_config_static_selectorELNS0_4arch9wavefront6targetE0EEEvT1_
		.amdhsa_group_segment_fixed_size 0
		.amdhsa_private_segment_fixed_size 0
		.amdhsa_kernarg_size 32
		.amdhsa_user_sgpr_count 2
		.amdhsa_user_sgpr_dispatch_ptr 0
		.amdhsa_user_sgpr_queue_ptr 0
		.amdhsa_user_sgpr_kernarg_segment_ptr 1
		.amdhsa_user_sgpr_dispatch_id 0
		.amdhsa_user_sgpr_kernarg_preload_length 0
		.amdhsa_user_sgpr_kernarg_preload_offset 0
		.amdhsa_user_sgpr_private_segment_size 0
		.amdhsa_wavefront_size32 1
		.amdhsa_uses_dynamic_stack 0
		.amdhsa_enable_private_segment 0
		.amdhsa_system_sgpr_workgroup_id_x 1
		.amdhsa_system_sgpr_workgroup_id_y 0
		.amdhsa_system_sgpr_workgroup_id_z 0
		.amdhsa_system_sgpr_workgroup_info 0
		.amdhsa_system_vgpr_workitem_id 0
		.amdhsa_next_free_vgpr 1
		.amdhsa_next_free_sgpr 1
		.amdhsa_named_barrier_count 0
		.amdhsa_reserve_vcc 0
		.amdhsa_float_round_mode_32 0
		.amdhsa_float_round_mode_16_64 0
		.amdhsa_float_denorm_mode_32 3
		.amdhsa_float_denorm_mode_16_64 3
		.amdhsa_fp16_overflow 0
		.amdhsa_memory_ordered 1
		.amdhsa_forward_progress 1
		.amdhsa_inst_pref_size 0
		.amdhsa_round_robin_scheduling 0
		.amdhsa_exception_fp_ieee_invalid_op 0
		.amdhsa_exception_fp_denorm_src 0
		.amdhsa_exception_fp_ieee_div_zero 0
		.amdhsa_exception_fp_ieee_overflow 0
		.amdhsa_exception_fp_ieee_underflow 0
		.amdhsa_exception_fp_ieee_inexact 0
		.amdhsa_exception_int_div_zero 0
	.end_amdhsa_kernel
	.section	.text._ZN7rocprim17ROCPRIM_400000_NS6detail17trampoline_kernelINS0_14default_configENS1_20scan_config_selectorIiEEZZNS1_9scan_implILNS1_25lookback_scan_determinismE0ELb0ELb0ES3_N6thrust23THRUST_200600_302600_NS6detail15normal_iteratorINS9_10device_ptrIiEEEESE_iNS9_4plusIvEEiEEDaPvRmT3_T4_T5_mT6_P12ihipStream_tbENKUlT_T0_E_clISt17integral_constantIbLb0EEST_IbLb1EEEEDaSP_SQ_EUlSP_E0_NS1_11comp_targetILNS1_3genE8ELNS1_11target_archE1030ELNS1_3gpuE2ELNS1_3repE0EEENS1_30default_config_static_selectorELNS0_4arch9wavefront6targetE0EEEvT1_,"axG",@progbits,_ZN7rocprim17ROCPRIM_400000_NS6detail17trampoline_kernelINS0_14default_configENS1_20scan_config_selectorIiEEZZNS1_9scan_implILNS1_25lookback_scan_determinismE0ELb0ELb0ES3_N6thrust23THRUST_200600_302600_NS6detail15normal_iteratorINS9_10device_ptrIiEEEESE_iNS9_4plusIvEEiEEDaPvRmT3_T4_T5_mT6_P12ihipStream_tbENKUlT_T0_E_clISt17integral_constantIbLb0EEST_IbLb1EEEEDaSP_SQ_EUlSP_E0_NS1_11comp_targetILNS1_3genE8ELNS1_11target_archE1030ELNS1_3gpuE2ELNS1_3repE0EEENS1_30default_config_static_selectorELNS0_4arch9wavefront6targetE0EEEvT1_,comdat
.Lfunc_end83:
	.size	_ZN7rocprim17ROCPRIM_400000_NS6detail17trampoline_kernelINS0_14default_configENS1_20scan_config_selectorIiEEZZNS1_9scan_implILNS1_25lookback_scan_determinismE0ELb0ELb0ES3_N6thrust23THRUST_200600_302600_NS6detail15normal_iteratorINS9_10device_ptrIiEEEESE_iNS9_4plusIvEEiEEDaPvRmT3_T4_T5_mT6_P12ihipStream_tbENKUlT_T0_E_clISt17integral_constantIbLb0EEST_IbLb1EEEEDaSP_SQ_EUlSP_E0_NS1_11comp_targetILNS1_3genE8ELNS1_11target_archE1030ELNS1_3gpuE2ELNS1_3repE0EEENS1_30default_config_static_selectorELNS0_4arch9wavefront6targetE0EEEvT1_, .Lfunc_end83-_ZN7rocprim17ROCPRIM_400000_NS6detail17trampoline_kernelINS0_14default_configENS1_20scan_config_selectorIiEEZZNS1_9scan_implILNS1_25lookback_scan_determinismE0ELb0ELb0ES3_N6thrust23THRUST_200600_302600_NS6detail15normal_iteratorINS9_10device_ptrIiEEEESE_iNS9_4plusIvEEiEEDaPvRmT3_T4_T5_mT6_P12ihipStream_tbENKUlT_T0_E_clISt17integral_constantIbLb0EEST_IbLb1EEEEDaSP_SQ_EUlSP_E0_NS1_11comp_targetILNS1_3genE8ELNS1_11target_archE1030ELNS1_3gpuE2ELNS1_3repE0EEENS1_30default_config_static_selectorELNS0_4arch9wavefront6targetE0EEEvT1_
                                        ; -- End function
	.set _ZN7rocprim17ROCPRIM_400000_NS6detail17trampoline_kernelINS0_14default_configENS1_20scan_config_selectorIiEEZZNS1_9scan_implILNS1_25lookback_scan_determinismE0ELb0ELb0ES3_N6thrust23THRUST_200600_302600_NS6detail15normal_iteratorINS9_10device_ptrIiEEEESE_iNS9_4plusIvEEiEEDaPvRmT3_T4_T5_mT6_P12ihipStream_tbENKUlT_T0_E_clISt17integral_constantIbLb0EEST_IbLb1EEEEDaSP_SQ_EUlSP_E0_NS1_11comp_targetILNS1_3genE8ELNS1_11target_archE1030ELNS1_3gpuE2ELNS1_3repE0EEENS1_30default_config_static_selectorELNS0_4arch9wavefront6targetE0EEEvT1_.num_vgpr, 0
	.set _ZN7rocprim17ROCPRIM_400000_NS6detail17trampoline_kernelINS0_14default_configENS1_20scan_config_selectorIiEEZZNS1_9scan_implILNS1_25lookback_scan_determinismE0ELb0ELb0ES3_N6thrust23THRUST_200600_302600_NS6detail15normal_iteratorINS9_10device_ptrIiEEEESE_iNS9_4plusIvEEiEEDaPvRmT3_T4_T5_mT6_P12ihipStream_tbENKUlT_T0_E_clISt17integral_constantIbLb0EEST_IbLb1EEEEDaSP_SQ_EUlSP_E0_NS1_11comp_targetILNS1_3genE8ELNS1_11target_archE1030ELNS1_3gpuE2ELNS1_3repE0EEENS1_30default_config_static_selectorELNS0_4arch9wavefront6targetE0EEEvT1_.num_agpr, 0
	.set _ZN7rocprim17ROCPRIM_400000_NS6detail17trampoline_kernelINS0_14default_configENS1_20scan_config_selectorIiEEZZNS1_9scan_implILNS1_25lookback_scan_determinismE0ELb0ELb0ES3_N6thrust23THRUST_200600_302600_NS6detail15normal_iteratorINS9_10device_ptrIiEEEESE_iNS9_4plusIvEEiEEDaPvRmT3_T4_T5_mT6_P12ihipStream_tbENKUlT_T0_E_clISt17integral_constantIbLb0EEST_IbLb1EEEEDaSP_SQ_EUlSP_E0_NS1_11comp_targetILNS1_3genE8ELNS1_11target_archE1030ELNS1_3gpuE2ELNS1_3repE0EEENS1_30default_config_static_selectorELNS0_4arch9wavefront6targetE0EEEvT1_.numbered_sgpr, 0
	.set _ZN7rocprim17ROCPRIM_400000_NS6detail17trampoline_kernelINS0_14default_configENS1_20scan_config_selectorIiEEZZNS1_9scan_implILNS1_25lookback_scan_determinismE0ELb0ELb0ES3_N6thrust23THRUST_200600_302600_NS6detail15normal_iteratorINS9_10device_ptrIiEEEESE_iNS9_4plusIvEEiEEDaPvRmT3_T4_T5_mT6_P12ihipStream_tbENKUlT_T0_E_clISt17integral_constantIbLb0EEST_IbLb1EEEEDaSP_SQ_EUlSP_E0_NS1_11comp_targetILNS1_3genE8ELNS1_11target_archE1030ELNS1_3gpuE2ELNS1_3repE0EEENS1_30default_config_static_selectorELNS0_4arch9wavefront6targetE0EEEvT1_.num_named_barrier, 0
	.set _ZN7rocprim17ROCPRIM_400000_NS6detail17trampoline_kernelINS0_14default_configENS1_20scan_config_selectorIiEEZZNS1_9scan_implILNS1_25lookback_scan_determinismE0ELb0ELb0ES3_N6thrust23THRUST_200600_302600_NS6detail15normal_iteratorINS9_10device_ptrIiEEEESE_iNS9_4plusIvEEiEEDaPvRmT3_T4_T5_mT6_P12ihipStream_tbENKUlT_T0_E_clISt17integral_constantIbLb0EEST_IbLb1EEEEDaSP_SQ_EUlSP_E0_NS1_11comp_targetILNS1_3genE8ELNS1_11target_archE1030ELNS1_3gpuE2ELNS1_3repE0EEENS1_30default_config_static_selectorELNS0_4arch9wavefront6targetE0EEEvT1_.private_seg_size, 0
	.set _ZN7rocprim17ROCPRIM_400000_NS6detail17trampoline_kernelINS0_14default_configENS1_20scan_config_selectorIiEEZZNS1_9scan_implILNS1_25lookback_scan_determinismE0ELb0ELb0ES3_N6thrust23THRUST_200600_302600_NS6detail15normal_iteratorINS9_10device_ptrIiEEEESE_iNS9_4plusIvEEiEEDaPvRmT3_T4_T5_mT6_P12ihipStream_tbENKUlT_T0_E_clISt17integral_constantIbLb0EEST_IbLb1EEEEDaSP_SQ_EUlSP_E0_NS1_11comp_targetILNS1_3genE8ELNS1_11target_archE1030ELNS1_3gpuE2ELNS1_3repE0EEENS1_30default_config_static_selectorELNS0_4arch9wavefront6targetE0EEEvT1_.uses_vcc, 0
	.set _ZN7rocprim17ROCPRIM_400000_NS6detail17trampoline_kernelINS0_14default_configENS1_20scan_config_selectorIiEEZZNS1_9scan_implILNS1_25lookback_scan_determinismE0ELb0ELb0ES3_N6thrust23THRUST_200600_302600_NS6detail15normal_iteratorINS9_10device_ptrIiEEEESE_iNS9_4plusIvEEiEEDaPvRmT3_T4_T5_mT6_P12ihipStream_tbENKUlT_T0_E_clISt17integral_constantIbLb0EEST_IbLb1EEEEDaSP_SQ_EUlSP_E0_NS1_11comp_targetILNS1_3genE8ELNS1_11target_archE1030ELNS1_3gpuE2ELNS1_3repE0EEENS1_30default_config_static_selectorELNS0_4arch9wavefront6targetE0EEEvT1_.uses_flat_scratch, 0
	.set _ZN7rocprim17ROCPRIM_400000_NS6detail17trampoline_kernelINS0_14default_configENS1_20scan_config_selectorIiEEZZNS1_9scan_implILNS1_25lookback_scan_determinismE0ELb0ELb0ES3_N6thrust23THRUST_200600_302600_NS6detail15normal_iteratorINS9_10device_ptrIiEEEESE_iNS9_4plusIvEEiEEDaPvRmT3_T4_T5_mT6_P12ihipStream_tbENKUlT_T0_E_clISt17integral_constantIbLb0EEST_IbLb1EEEEDaSP_SQ_EUlSP_E0_NS1_11comp_targetILNS1_3genE8ELNS1_11target_archE1030ELNS1_3gpuE2ELNS1_3repE0EEENS1_30default_config_static_selectorELNS0_4arch9wavefront6targetE0EEEvT1_.has_dyn_sized_stack, 0
	.set _ZN7rocprim17ROCPRIM_400000_NS6detail17trampoline_kernelINS0_14default_configENS1_20scan_config_selectorIiEEZZNS1_9scan_implILNS1_25lookback_scan_determinismE0ELb0ELb0ES3_N6thrust23THRUST_200600_302600_NS6detail15normal_iteratorINS9_10device_ptrIiEEEESE_iNS9_4plusIvEEiEEDaPvRmT3_T4_T5_mT6_P12ihipStream_tbENKUlT_T0_E_clISt17integral_constantIbLb0EEST_IbLb1EEEEDaSP_SQ_EUlSP_E0_NS1_11comp_targetILNS1_3genE8ELNS1_11target_archE1030ELNS1_3gpuE2ELNS1_3repE0EEENS1_30default_config_static_selectorELNS0_4arch9wavefront6targetE0EEEvT1_.has_recursion, 0
	.set _ZN7rocprim17ROCPRIM_400000_NS6detail17trampoline_kernelINS0_14default_configENS1_20scan_config_selectorIiEEZZNS1_9scan_implILNS1_25lookback_scan_determinismE0ELb0ELb0ES3_N6thrust23THRUST_200600_302600_NS6detail15normal_iteratorINS9_10device_ptrIiEEEESE_iNS9_4plusIvEEiEEDaPvRmT3_T4_T5_mT6_P12ihipStream_tbENKUlT_T0_E_clISt17integral_constantIbLb0EEST_IbLb1EEEEDaSP_SQ_EUlSP_E0_NS1_11comp_targetILNS1_3genE8ELNS1_11target_archE1030ELNS1_3gpuE2ELNS1_3repE0EEENS1_30default_config_static_selectorELNS0_4arch9wavefront6targetE0EEEvT1_.has_indirect_call, 0
	.section	.AMDGPU.csdata,"",@progbits
; Kernel info:
; codeLenInByte = 0
; TotalNumSgprs: 0
; NumVgprs: 0
; ScratchSize: 0
; MemoryBound: 0
; FloatMode: 240
; IeeeMode: 1
; LDSByteSize: 0 bytes/workgroup (compile time only)
; SGPRBlocks: 0
; VGPRBlocks: 0
; NumSGPRsForWavesPerEU: 1
; NumVGPRsForWavesPerEU: 1
; NamedBarCnt: 0
; Occupancy: 16
; WaveLimiterHint : 0
; COMPUTE_PGM_RSRC2:SCRATCH_EN: 0
; COMPUTE_PGM_RSRC2:USER_SGPR: 2
; COMPUTE_PGM_RSRC2:TRAP_HANDLER: 0
; COMPUTE_PGM_RSRC2:TGID_X_EN: 1
; COMPUTE_PGM_RSRC2:TGID_Y_EN: 0
; COMPUTE_PGM_RSRC2:TGID_Z_EN: 0
; COMPUTE_PGM_RSRC2:TIDIG_COMP_CNT: 0
	.section	.text._ZN7rocprim17ROCPRIM_400000_NS6detail30init_device_scan_by_key_kernelINS1_19lookback_scan_stateINS0_5tupleIJibEEELb0ELb1EEEN6thrust23THRUST_200600_302600_NS18transform_iteratorI9which_rowNS8_17counting_iteratorIiNS8_11use_defaultESC_SC_EESC_SC_EEjNS1_16block_id_wrapperIjLb0EEEEEvT_jjPNSH_10value_typeET0_PNSt15iterator_traitsISK_E10value_typeEmT1_T2_,"axG",@progbits,_ZN7rocprim17ROCPRIM_400000_NS6detail30init_device_scan_by_key_kernelINS1_19lookback_scan_stateINS0_5tupleIJibEEELb0ELb1EEEN6thrust23THRUST_200600_302600_NS18transform_iteratorI9which_rowNS8_17counting_iteratorIiNS8_11use_defaultESC_SC_EESC_SC_EEjNS1_16block_id_wrapperIjLb0EEEEEvT_jjPNSH_10value_typeET0_PNSt15iterator_traitsISK_E10value_typeEmT1_T2_,comdat
	.protected	_ZN7rocprim17ROCPRIM_400000_NS6detail30init_device_scan_by_key_kernelINS1_19lookback_scan_stateINS0_5tupleIJibEEELb0ELb1EEEN6thrust23THRUST_200600_302600_NS18transform_iteratorI9which_rowNS8_17counting_iteratorIiNS8_11use_defaultESC_SC_EESC_SC_EEjNS1_16block_id_wrapperIjLb0EEEEEvT_jjPNSH_10value_typeET0_PNSt15iterator_traitsISK_E10value_typeEmT1_T2_ ; -- Begin function _ZN7rocprim17ROCPRIM_400000_NS6detail30init_device_scan_by_key_kernelINS1_19lookback_scan_stateINS0_5tupleIJibEEELb0ELb1EEEN6thrust23THRUST_200600_302600_NS18transform_iteratorI9which_rowNS8_17counting_iteratorIiNS8_11use_defaultESC_SC_EESC_SC_EEjNS1_16block_id_wrapperIjLb0EEEEEvT_jjPNSH_10value_typeET0_PNSt15iterator_traitsISK_E10value_typeEmT1_T2_
	.globl	_ZN7rocprim17ROCPRIM_400000_NS6detail30init_device_scan_by_key_kernelINS1_19lookback_scan_stateINS0_5tupleIJibEEELb0ELb1EEEN6thrust23THRUST_200600_302600_NS18transform_iteratorI9which_rowNS8_17counting_iteratorIiNS8_11use_defaultESC_SC_EESC_SC_EEjNS1_16block_id_wrapperIjLb0EEEEEvT_jjPNSH_10value_typeET0_PNSt15iterator_traitsISK_E10value_typeEmT1_T2_
	.p2align	8
	.type	_ZN7rocprim17ROCPRIM_400000_NS6detail30init_device_scan_by_key_kernelINS1_19lookback_scan_stateINS0_5tupleIJibEEELb0ELb1EEEN6thrust23THRUST_200600_302600_NS18transform_iteratorI9which_rowNS8_17counting_iteratorIiNS8_11use_defaultESC_SC_EESC_SC_EEjNS1_16block_id_wrapperIjLb0EEEEEvT_jjPNSH_10value_typeET0_PNSt15iterator_traitsISK_E10value_typeEmT1_T2_,@function
_ZN7rocprim17ROCPRIM_400000_NS6detail30init_device_scan_by_key_kernelINS1_19lookback_scan_stateINS0_5tupleIJibEEELb0ELb1EEEN6thrust23THRUST_200600_302600_NS18transform_iteratorI9which_rowNS8_17counting_iteratorIiNS8_11use_defaultESC_SC_EESC_SC_EEjNS1_16block_id_wrapperIjLb0EEEEEvT_jjPNSH_10value_typeET0_PNSt15iterator_traitsISK_E10value_typeEmT1_T2_: ; @_ZN7rocprim17ROCPRIM_400000_NS6detail30init_device_scan_by_key_kernelINS1_19lookback_scan_stateINS0_5tupleIJibEEELb0ELb1EEEN6thrust23THRUST_200600_302600_NS18transform_iteratorI9which_rowNS8_17counting_iteratorIiNS8_11use_defaultESC_SC_EESC_SC_EEjNS1_16block_id_wrapperIjLb0EEEEEvT_jjPNSH_10value_typeET0_PNSt15iterator_traitsISK_E10value_typeEmT1_T2_
; %bb.0:
	s_clause 0x2
	s_load_b32 s2, s[0:1], 0x44
	s_load_b32 s14, s[0:1], 0x38
	s_load_b256 s[4:11], s[0:1], 0x0
	s_bfe_u32 s3, ttmp6, 0x4000c
	s_and_b32 s12, ttmp6, 15
	s_add_co_i32 s3, s3, 1
	s_getreg_b32 s13, hwreg(HW_REG_IB_STS2, 6, 4)
	s_mul_i32 s3, ttmp9, s3
	s_delay_alu instid0(SALU_CYCLE_1)
	s_add_co_i32 s12, s12, s3
	s_wait_kmcnt 0x0
	s_and_b32 s15, s2, 0xffff
	s_cmp_eq_u32 s13, 0
	s_cselect_b32 s2, ttmp9, s12
	s_cmp_eq_u64 s[8:9], 0
	v_mad_u32 v4, s2, s15, v0
	s_cbranch_scc1 .LBB84_8
; %bb.1:
	s_cmp_lt_u32 s7, s6
	s_mov_b32 s16, exec_lo
	s_cselect_b32 s2, s7, 0
	s_delay_alu instid0(VALU_DEP_1) | instid1(SALU_CYCLE_1)
	v_cmpx_eq_u32_e64 s2, v4
	s_cbranch_execz .LBB84_7
; %bb.2:
	s_add_co_i32 s2, s7, 32
	s_mov_b32 s3, 0
	v_mov_b32_e32 v7, 0
	s_lshl_b64 s[12:13], s[2:3], 4
	s_mov_b32 s2, exec_lo
	s_add_nc_u64 s[12:13], s[4:5], s[12:13]
	s_delay_alu instid0(SALU_CYCLE_1) | instskip(SKIP_2) | instid1(VALU_DEP_1)
	v_mov_b64_e32 v[0:1], s[12:13]
	;;#ASMSTART
	global_load_b128 v[0:3], v[0:1] off scope:SCOPE_DEV	
s_wait_loadcnt 0x0
	;;#ASMEND
	v_and_b32_e32 v6, 0xff, v2
	v_cmpx_eq_u64_e32 0, v[6:7]
	s_cbranch_execz .LBB84_6
; %bb.3:
	v_mov_b64_e32 v[8:9], s[12:13]
.LBB84_4:                               ; =>This Inner Loop Header: Depth=1
	;;#ASMSTART
	global_load_b128 v[0:3], v[8:9] off scope:SCOPE_DEV	
s_wait_loadcnt 0x0
	;;#ASMEND
	v_and_b32_e32 v6, 0xff, v2
	s_delay_alu instid0(VALU_DEP_1) | instskip(SKIP_1) | instid1(SALU_CYCLE_1)
	v_cmp_ne_u64_e32 vcc_lo, 0, v[6:7]
	s_or_b32 s3, vcc_lo, s3
	s_and_not1_b32 exec_lo, exec_lo, s3
	s_cbranch_execnz .LBB84_4
; %bb.5:
	s_or_b32 exec_lo, exec_lo, s3
.LBB84_6:
	s_delay_alu instid0(SALU_CYCLE_1)
	s_or_b32 exec_lo, exec_lo, s2
	v_mov_b32_e32 v2, 0
	s_clause 0x1
	global_store_b32 v2, v0, s[8:9]
	global_store_b8 v2, v1, s[8:9] offset:4
.LBB84_7:
	s_wait_xcnt 0x0
	s_or_b32 exec_lo, exec_lo, s16
.LBB84_8:
	s_delay_alu instid0(SALU_CYCLE_1) | instskip(NEXT) | instid1(VALU_DEP_1)
	s_mov_b32 s2, exec_lo
	v_cmpx_gt_u32_e64 s6, v4
	s_cbranch_execz .LBB84_10
; %bb.9:
	v_dual_mov_b32 v0, 0 :: v_dual_add_nc_u32 v5, 32, v4
	s_delay_alu instid0(VALU_DEP_1)
	v_dual_mov_b32 v1, v0 :: v_dual_mov_b32 v2, v0
	v_mov_b32_e32 v3, v0
	global_store_b128 v5, v[0:3], s[4:5] scale_offset
.LBB84_10:
	s_wait_xcnt 0x0
	s_or_b32 exec_lo, exec_lo, s2
	v_mov_b32_e32 v5, 0
	s_mov_b32 s2, exec_lo
	v_cmpx_gt_u32_e32 32, v4
	s_cbranch_execz .LBB84_12
; %bb.11:
	s_delay_alu instid0(VALU_DEP_2)
	v_lshl_add_u64 v[6:7], v[4:5], 4, s[4:5]
	v_dual_mov_b32 v2, 0xff :: v_dual_mov_b32 v1, v5
	v_dual_mov_b32 v0, v5 :: v_dual_mov_b32 v3, v5
	global_store_b128 v[6:7], v[0:3], off
.LBB84_12:
	s_wait_xcnt 0x0
	s_or_b32 exec_lo, exec_lo, s2
	s_load_b64 s[2:3], s[0:1], 0x28
	s_mov_b32 s4, exec_lo
	s_wait_kmcnt 0x0
	v_cmpx_gt_u64_e64 s[2:3], v[4:5]
	s_cbranch_execz .LBB84_15
; %bb.13:
	s_clause 0x1
	s_load_b32 s12, s[0:1], 0x30
	s_load_b64 s[6:7], s[0:1], 0x20
	s_abs_i32 s8, s11
	s_ashr_i32 s9, s11, 31
	s_cvt_f32_u32 s4, s8
	s_sub_co_i32 s11, 0, s8
	v_mov_b32_e32 v3, 0
	s_wait_xcnt 0x0
	s_mov_b32 s1, 0
	v_rcp_iflag_f32_e32 v0, s4
	s_mov_b32 s5, s1
	v_nop
	s_delay_alu instid0(TRANS32_DEP_1)
	v_readfirstlane_b32 s0, v0
	s_mul_f32 s4, s0, 0x4f7ffffe
	s_wait_kmcnt 0x0
	v_mul_lo_u32 v2, s12, v4
	v_lshl_add_u64 v[0:1], v[4:5], 2, s[6:7]
	s_add_co_i32 s7, s10, s12
	s_cvt_u32_f32 s4, s4
	s_mul_i32 s0, s14, s15
	s_delay_alu instid0(SALU_CYCLE_1) | instskip(NEXT) | instid1(SALU_CYCLE_1)
	s_mul_i32 s10, s0, s12
	s_mul_i32 s11, s11, s4
	s_delay_alu instid0(SALU_CYCLE_1) | instskip(SKIP_1) | instid1(VALU_DEP_2)
	s_mul_hi_u32 s6, s4, s11
	s_mov_b32 s11, s1
	v_add3_u32 v6, s7, v2, -1
	s_add_co_i32 s4, s4, s6
	s_lshl_b64 s[6:7], s[0:1], 2
.LBB84_14:                              ; =>This Inner Loop Header: Depth=1
	s_delay_alu instid0(VALU_DEP_1) | instskip(SKIP_1) | instid1(VALU_DEP_2)
	v_sub_nc_u32_e32 v2, 0, v6
	v_add_nc_u64_e32 v[4:5], s[0:1], v[4:5]
	v_max_i32_e32 v2, v6, v2
	s_delay_alu instid0(VALU_DEP_1) | instskip(NEXT) | instid1(VALU_DEP_1)
	v_mul_u64_e32 v[8:9], s[4:5], v[2:3]
	v_mul_lo_u32 v7, v9, s8
	s_delay_alu instid0(VALU_DEP_1) | instskip(NEXT) | instid1(VALU_DEP_1)
	v_dual_add_nc_u32 v8, 1, v9 :: v_dual_sub_nc_u32 v2, v2, v7
	v_cmp_le_u32_e32 vcc_lo, s8, v2
	s_delay_alu instid0(VALU_DEP_2) | instskip(SKIP_1) | instid1(VALU_DEP_1)
	v_dual_cndmask_b32 v8, v9, v8 :: v_dual_ashrrev_i32 v9, 31, v6
	v_subrev_nc_u32_e32 v7, s8, v2
	v_dual_add_nc_u32 v6, s10, v6 :: v_dual_cndmask_b32 v2, v2, v7, vcc_lo
	s_delay_alu instid0(VALU_DEP_3) | instskip(NEXT) | instid1(VALU_DEP_2)
	v_add_nc_u32_e32 v7, 1, v8
	v_cmp_le_u32_e32 vcc_lo, s8, v2
	s_delay_alu instid0(VALU_DEP_2) | instskip(SKIP_1) | instid1(VALU_DEP_2)
	v_dual_cndmask_b32 v2, v8, v7, vcc_lo :: v_dual_bitop2_b32 v9, s9, v9 bitop3:0x14
	v_cmp_le_u64_e32 vcc_lo, s[2:3], v[4:5]
	v_xor_b32_e32 v2, v2, v9
	s_or_b32 s11, vcc_lo, s11
	s_delay_alu instid0(VALU_DEP_1)
	v_sub_nc_u32_e32 v2, v2, v9
	global_store_b32 v[0:1], v2, off
	s_wait_xcnt 0x0
	v_add_nc_u64_e32 v[0:1], s[6:7], v[0:1]
	s_and_not1_b32 exec_lo, exec_lo, s11
	s_cbranch_execnz .LBB84_14
.LBB84_15:
	s_endpgm
	.section	.rodata,"a",@progbits
	.p2align	6, 0x0
	.amdhsa_kernel _ZN7rocprim17ROCPRIM_400000_NS6detail30init_device_scan_by_key_kernelINS1_19lookback_scan_stateINS0_5tupleIJibEEELb0ELb1EEEN6thrust23THRUST_200600_302600_NS18transform_iteratorI9which_rowNS8_17counting_iteratorIiNS8_11use_defaultESC_SC_EESC_SC_EEjNS1_16block_id_wrapperIjLb0EEEEEvT_jjPNSH_10value_typeET0_PNSt15iterator_traitsISK_E10value_typeEmT1_T2_
		.amdhsa_group_segment_fixed_size 0
		.amdhsa_private_segment_fixed_size 0
		.amdhsa_kernarg_size 312
		.amdhsa_user_sgpr_count 2
		.amdhsa_user_sgpr_dispatch_ptr 0
		.amdhsa_user_sgpr_queue_ptr 0
		.amdhsa_user_sgpr_kernarg_segment_ptr 1
		.amdhsa_user_sgpr_dispatch_id 0
		.amdhsa_user_sgpr_kernarg_preload_length 0
		.amdhsa_user_sgpr_kernarg_preload_offset 0
		.amdhsa_user_sgpr_private_segment_size 0
		.amdhsa_wavefront_size32 1
		.amdhsa_uses_dynamic_stack 0
		.amdhsa_enable_private_segment 0
		.amdhsa_system_sgpr_workgroup_id_x 1
		.amdhsa_system_sgpr_workgroup_id_y 0
		.amdhsa_system_sgpr_workgroup_id_z 0
		.amdhsa_system_sgpr_workgroup_info 0
		.amdhsa_system_vgpr_workitem_id 0
		.amdhsa_next_free_vgpr 10
		.amdhsa_next_free_sgpr 17
		.amdhsa_named_barrier_count 0
		.amdhsa_reserve_vcc 1
		.amdhsa_float_round_mode_32 0
		.amdhsa_float_round_mode_16_64 0
		.amdhsa_float_denorm_mode_32 3
		.amdhsa_float_denorm_mode_16_64 3
		.amdhsa_fp16_overflow 0
		.amdhsa_memory_ordered 1
		.amdhsa_forward_progress 1
		.amdhsa_inst_pref_size 6
		.amdhsa_round_robin_scheduling 0
		.amdhsa_exception_fp_ieee_invalid_op 0
		.amdhsa_exception_fp_denorm_src 0
		.amdhsa_exception_fp_ieee_div_zero 0
		.amdhsa_exception_fp_ieee_overflow 0
		.amdhsa_exception_fp_ieee_underflow 0
		.amdhsa_exception_fp_ieee_inexact 0
		.amdhsa_exception_int_div_zero 0
	.end_amdhsa_kernel
	.section	.text._ZN7rocprim17ROCPRIM_400000_NS6detail30init_device_scan_by_key_kernelINS1_19lookback_scan_stateINS0_5tupleIJibEEELb0ELb1EEEN6thrust23THRUST_200600_302600_NS18transform_iteratorI9which_rowNS8_17counting_iteratorIiNS8_11use_defaultESC_SC_EESC_SC_EEjNS1_16block_id_wrapperIjLb0EEEEEvT_jjPNSH_10value_typeET0_PNSt15iterator_traitsISK_E10value_typeEmT1_T2_,"axG",@progbits,_ZN7rocprim17ROCPRIM_400000_NS6detail30init_device_scan_by_key_kernelINS1_19lookback_scan_stateINS0_5tupleIJibEEELb0ELb1EEEN6thrust23THRUST_200600_302600_NS18transform_iteratorI9which_rowNS8_17counting_iteratorIiNS8_11use_defaultESC_SC_EESC_SC_EEjNS1_16block_id_wrapperIjLb0EEEEEvT_jjPNSH_10value_typeET0_PNSt15iterator_traitsISK_E10value_typeEmT1_T2_,comdat
.Lfunc_end84:
	.size	_ZN7rocprim17ROCPRIM_400000_NS6detail30init_device_scan_by_key_kernelINS1_19lookback_scan_stateINS0_5tupleIJibEEELb0ELb1EEEN6thrust23THRUST_200600_302600_NS18transform_iteratorI9which_rowNS8_17counting_iteratorIiNS8_11use_defaultESC_SC_EESC_SC_EEjNS1_16block_id_wrapperIjLb0EEEEEvT_jjPNSH_10value_typeET0_PNSt15iterator_traitsISK_E10value_typeEmT1_T2_, .Lfunc_end84-_ZN7rocprim17ROCPRIM_400000_NS6detail30init_device_scan_by_key_kernelINS1_19lookback_scan_stateINS0_5tupleIJibEEELb0ELb1EEEN6thrust23THRUST_200600_302600_NS18transform_iteratorI9which_rowNS8_17counting_iteratorIiNS8_11use_defaultESC_SC_EESC_SC_EEjNS1_16block_id_wrapperIjLb0EEEEEvT_jjPNSH_10value_typeET0_PNSt15iterator_traitsISK_E10value_typeEmT1_T2_
                                        ; -- End function
	.set _ZN7rocprim17ROCPRIM_400000_NS6detail30init_device_scan_by_key_kernelINS1_19lookback_scan_stateINS0_5tupleIJibEEELb0ELb1EEEN6thrust23THRUST_200600_302600_NS18transform_iteratorI9which_rowNS8_17counting_iteratorIiNS8_11use_defaultESC_SC_EESC_SC_EEjNS1_16block_id_wrapperIjLb0EEEEEvT_jjPNSH_10value_typeET0_PNSt15iterator_traitsISK_E10value_typeEmT1_T2_.num_vgpr, 10
	.set _ZN7rocprim17ROCPRIM_400000_NS6detail30init_device_scan_by_key_kernelINS1_19lookback_scan_stateINS0_5tupleIJibEEELb0ELb1EEEN6thrust23THRUST_200600_302600_NS18transform_iteratorI9which_rowNS8_17counting_iteratorIiNS8_11use_defaultESC_SC_EESC_SC_EEjNS1_16block_id_wrapperIjLb0EEEEEvT_jjPNSH_10value_typeET0_PNSt15iterator_traitsISK_E10value_typeEmT1_T2_.num_agpr, 0
	.set _ZN7rocprim17ROCPRIM_400000_NS6detail30init_device_scan_by_key_kernelINS1_19lookback_scan_stateINS0_5tupleIJibEEELb0ELb1EEEN6thrust23THRUST_200600_302600_NS18transform_iteratorI9which_rowNS8_17counting_iteratorIiNS8_11use_defaultESC_SC_EESC_SC_EEjNS1_16block_id_wrapperIjLb0EEEEEvT_jjPNSH_10value_typeET0_PNSt15iterator_traitsISK_E10value_typeEmT1_T2_.numbered_sgpr, 17
	.set _ZN7rocprim17ROCPRIM_400000_NS6detail30init_device_scan_by_key_kernelINS1_19lookback_scan_stateINS0_5tupleIJibEEELb0ELb1EEEN6thrust23THRUST_200600_302600_NS18transform_iteratorI9which_rowNS8_17counting_iteratorIiNS8_11use_defaultESC_SC_EESC_SC_EEjNS1_16block_id_wrapperIjLb0EEEEEvT_jjPNSH_10value_typeET0_PNSt15iterator_traitsISK_E10value_typeEmT1_T2_.num_named_barrier, 0
	.set _ZN7rocprim17ROCPRIM_400000_NS6detail30init_device_scan_by_key_kernelINS1_19lookback_scan_stateINS0_5tupleIJibEEELb0ELb1EEEN6thrust23THRUST_200600_302600_NS18transform_iteratorI9which_rowNS8_17counting_iteratorIiNS8_11use_defaultESC_SC_EESC_SC_EEjNS1_16block_id_wrapperIjLb0EEEEEvT_jjPNSH_10value_typeET0_PNSt15iterator_traitsISK_E10value_typeEmT1_T2_.private_seg_size, 0
	.set _ZN7rocprim17ROCPRIM_400000_NS6detail30init_device_scan_by_key_kernelINS1_19lookback_scan_stateINS0_5tupleIJibEEELb0ELb1EEEN6thrust23THRUST_200600_302600_NS18transform_iteratorI9which_rowNS8_17counting_iteratorIiNS8_11use_defaultESC_SC_EESC_SC_EEjNS1_16block_id_wrapperIjLb0EEEEEvT_jjPNSH_10value_typeET0_PNSt15iterator_traitsISK_E10value_typeEmT1_T2_.uses_vcc, 1
	.set _ZN7rocprim17ROCPRIM_400000_NS6detail30init_device_scan_by_key_kernelINS1_19lookback_scan_stateINS0_5tupleIJibEEELb0ELb1EEEN6thrust23THRUST_200600_302600_NS18transform_iteratorI9which_rowNS8_17counting_iteratorIiNS8_11use_defaultESC_SC_EESC_SC_EEjNS1_16block_id_wrapperIjLb0EEEEEvT_jjPNSH_10value_typeET0_PNSt15iterator_traitsISK_E10value_typeEmT1_T2_.uses_flat_scratch, 0
	.set _ZN7rocprim17ROCPRIM_400000_NS6detail30init_device_scan_by_key_kernelINS1_19lookback_scan_stateINS0_5tupleIJibEEELb0ELb1EEEN6thrust23THRUST_200600_302600_NS18transform_iteratorI9which_rowNS8_17counting_iteratorIiNS8_11use_defaultESC_SC_EESC_SC_EEjNS1_16block_id_wrapperIjLb0EEEEEvT_jjPNSH_10value_typeET0_PNSt15iterator_traitsISK_E10value_typeEmT1_T2_.has_dyn_sized_stack, 0
	.set _ZN7rocprim17ROCPRIM_400000_NS6detail30init_device_scan_by_key_kernelINS1_19lookback_scan_stateINS0_5tupleIJibEEELb0ELb1EEEN6thrust23THRUST_200600_302600_NS18transform_iteratorI9which_rowNS8_17counting_iteratorIiNS8_11use_defaultESC_SC_EESC_SC_EEjNS1_16block_id_wrapperIjLb0EEEEEvT_jjPNSH_10value_typeET0_PNSt15iterator_traitsISK_E10value_typeEmT1_T2_.has_recursion, 0
	.set _ZN7rocprim17ROCPRIM_400000_NS6detail30init_device_scan_by_key_kernelINS1_19lookback_scan_stateINS0_5tupleIJibEEELb0ELb1EEEN6thrust23THRUST_200600_302600_NS18transform_iteratorI9which_rowNS8_17counting_iteratorIiNS8_11use_defaultESC_SC_EESC_SC_EEjNS1_16block_id_wrapperIjLb0EEEEEvT_jjPNSH_10value_typeET0_PNSt15iterator_traitsISK_E10value_typeEmT1_T2_.has_indirect_call, 0
	.section	.AMDGPU.csdata,"",@progbits
; Kernel info:
; codeLenInByte = 724
; TotalNumSgprs: 19
; NumVgprs: 10
; ScratchSize: 0
; MemoryBound: 0
; FloatMode: 240
; IeeeMode: 1
; LDSByteSize: 0 bytes/workgroup (compile time only)
; SGPRBlocks: 0
; VGPRBlocks: 0
; NumSGPRsForWavesPerEU: 19
; NumVGPRsForWavesPerEU: 10
; NamedBarCnt: 0
; Occupancy: 16
; WaveLimiterHint : 0
; COMPUTE_PGM_RSRC2:SCRATCH_EN: 0
; COMPUTE_PGM_RSRC2:USER_SGPR: 2
; COMPUTE_PGM_RSRC2:TRAP_HANDLER: 0
; COMPUTE_PGM_RSRC2:TGID_X_EN: 1
; COMPUTE_PGM_RSRC2:TGID_Y_EN: 0
; COMPUTE_PGM_RSRC2:TGID_Z_EN: 0
; COMPUTE_PGM_RSRC2:TIDIG_COMP_CNT: 0
	.section	.text._ZN7rocprim17ROCPRIM_400000_NS6detail30init_device_scan_by_key_kernelINS1_19lookback_scan_stateINS0_5tupleIJibEEELb0ELb1EEENS1_16block_id_wrapperIjLb0EEEEEvT_jjPNS9_10value_typeET0_,"axG",@progbits,_ZN7rocprim17ROCPRIM_400000_NS6detail30init_device_scan_by_key_kernelINS1_19lookback_scan_stateINS0_5tupleIJibEEELb0ELb1EEENS1_16block_id_wrapperIjLb0EEEEEvT_jjPNS9_10value_typeET0_,comdat
	.protected	_ZN7rocprim17ROCPRIM_400000_NS6detail30init_device_scan_by_key_kernelINS1_19lookback_scan_stateINS0_5tupleIJibEEELb0ELb1EEENS1_16block_id_wrapperIjLb0EEEEEvT_jjPNS9_10value_typeET0_ ; -- Begin function _ZN7rocprim17ROCPRIM_400000_NS6detail30init_device_scan_by_key_kernelINS1_19lookback_scan_stateINS0_5tupleIJibEEELb0ELb1EEENS1_16block_id_wrapperIjLb0EEEEEvT_jjPNS9_10value_typeET0_
	.globl	_ZN7rocprim17ROCPRIM_400000_NS6detail30init_device_scan_by_key_kernelINS1_19lookback_scan_stateINS0_5tupleIJibEEELb0ELb1EEENS1_16block_id_wrapperIjLb0EEEEEvT_jjPNS9_10value_typeET0_
	.p2align	8
	.type	_ZN7rocprim17ROCPRIM_400000_NS6detail30init_device_scan_by_key_kernelINS1_19lookback_scan_stateINS0_5tupleIJibEEELb0ELb1EEENS1_16block_id_wrapperIjLb0EEEEEvT_jjPNS9_10value_typeET0_,@function
_ZN7rocprim17ROCPRIM_400000_NS6detail30init_device_scan_by_key_kernelINS1_19lookback_scan_stateINS0_5tupleIJibEEELb0ELb1EEENS1_16block_id_wrapperIjLb0EEEEEvT_jjPNS9_10value_typeET0_: ; @_ZN7rocprim17ROCPRIM_400000_NS6detail30init_device_scan_by_key_kernelINS1_19lookback_scan_stateINS0_5tupleIJibEEELb0ELb1EEENS1_16block_id_wrapperIjLb0EEEEEvT_jjPNS9_10value_typeET0_
; %bb.0:
	s_clause 0x2
	s_load_b32 s8, s[0:1], 0x2c
	s_load_b128 s[4:7], s[0:1], 0x0
	s_load_b64 s[2:3], s[0:1], 0x10
	s_wait_xcnt 0x0
	s_bfe_u32 s0, ttmp6, 0x4000c
	s_and_b32 s1, ttmp6, 15
	s_add_co_i32 s0, s0, 1
	s_getreg_b32 s9, hwreg(HW_REG_IB_STS2, 6, 4)
	s_mul_i32 s0, ttmp9, s0
	s_delay_alu instid0(SALU_CYCLE_1)
	s_add_co_i32 s1, s1, s0
	s_wait_kmcnt 0x0
	s_and_b32 s8, s8, 0xffff
	s_cmp_eq_u32 s9, 0
	s_cselect_b32 s0, ttmp9, s1
	s_cmp_eq_u64 s[2:3], 0
	v_mad_u32 v8, s0, s8, v0
	s_cbranch_scc1 .LBB85_8
; %bb.1:
	s_cmp_lt_u32 s7, s6
	s_mov_b32 s10, exec_lo
	s_cselect_b32 s0, s7, 0
	s_delay_alu instid0(VALU_DEP_1) | instid1(SALU_CYCLE_1)
	v_cmpx_eq_u32_e64 s0, v8
	s_cbranch_execz .LBB85_7
; %bb.2:
	s_add_co_i32 s0, s7, 32
	s_mov_b32 s1, 0
	v_mov_b32_e32 v5, 0
	s_lshl_b64 s[8:9], s[0:1], 4
	s_mov_b32 s0, exec_lo
	s_add_nc_u64 s[8:9], s[4:5], s[8:9]
	s_delay_alu instid0(SALU_CYCLE_1) | instskip(SKIP_2) | instid1(VALU_DEP_1)
	v_mov_b64_e32 v[0:1], s[8:9]
	;;#ASMSTART
	global_load_b128 v[0:3], v[0:1] off scope:SCOPE_DEV	
s_wait_loadcnt 0x0
	;;#ASMEND
	v_and_b32_e32 v4, 0xff, v2
	v_cmpx_eq_u64_e32 0, v[4:5]
	s_cbranch_execz .LBB85_6
; %bb.3:
	v_mov_b64_e32 v[6:7], s[8:9]
.LBB85_4:                               ; =>This Inner Loop Header: Depth=1
	;;#ASMSTART
	global_load_b128 v[0:3], v[6:7] off scope:SCOPE_DEV	
s_wait_loadcnt 0x0
	;;#ASMEND
	v_and_b32_e32 v4, 0xff, v2
	s_delay_alu instid0(VALU_DEP_1) | instskip(SKIP_1) | instid1(SALU_CYCLE_1)
	v_cmp_ne_u64_e32 vcc_lo, 0, v[4:5]
	s_or_b32 s1, vcc_lo, s1
	s_and_not1_b32 exec_lo, exec_lo, s1
	s_cbranch_execnz .LBB85_4
; %bb.5:
	s_or_b32 exec_lo, exec_lo, s1
.LBB85_6:
	s_delay_alu instid0(SALU_CYCLE_1)
	s_or_b32 exec_lo, exec_lo, s0
	v_mov_b32_e32 v2, 0
	s_clause 0x1
	global_store_b32 v2, v0, s[2:3]
	global_store_b8 v2, v1, s[2:3] offset:4
.LBB85_7:
	s_wait_xcnt 0x0
	s_or_b32 exec_lo, exec_lo, s10
.LBB85_8:
	s_delay_alu instid0(SALU_CYCLE_1) | instskip(NEXT) | instid1(VALU_DEP_1)
	s_mov_b32 s0, exec_lo
	v_cmpx_gt_u32_e64 s6, v8
	s_cbranch_execz .LBB85_10
; %bb.9:
	v_dual_mov_b32 v0, 0 :: v_dual_add_nc_u32 v4, 32, v8
	s_delay_alu instid0(VALU_DEP_1)
	v_dual_mov_b32 v1, v0 :: v_dual_mov_b32 v2, v0
	v_mov_b32_e32 v3, v0
	global_store_b128 v4, v[0:3], s[4:5] scale_offset
.LBB85_10:
	s_wait_xcnt 0x0
	s_or_b32 exec_lo, exec_lo, s0
	s_delay_alu instid0(SALU_CYCLE_1)
	s_mov_b32 s0, exec_lo
	v_cmpx_gt_u32_e32 32, v8
	s_cbranch_execz .LBB85_12
; %bb.11:
	v_mov_b32_e32 v0, 0
	s_delay_alu instid0(VALU_DEP_1)
	v_dual_mov_b32 v2, 0xff :: v_dual_mov_b32 v1, v0
	v_mov_b32_e32 v3, v0
	global_store_b128 v8, v[0:3], s[4:5] scale_offset
.LBB85_12:
	s_endpgm
	.section	.rodata,"a",@progbits
	.p2align	6, 0x0
	.amdhsa_kernel _ZN7rocprim17ROCPRIM_400000_NS6detail30init_device_scan_by_key_kernelINS1_19lookback_scan_stateINS0_5tupleIJibEEELb0ELb1EEENS1_16block_id_wrapperIjLb0EEEEEvT_jjPNS9_10value_typeET0_
		.amdhsa_group_segment_fixed_size 0
		.amdhsa_private_segment_fixed_size 0
		.amdhsa_kernarg_size 288
		.amdhsa_user_sgpr_count 2
		.amdhsa_user_sgpr_dispatch_ptr 0
		.amdhsa_user_sgpr_queue_ptr 0
		.amdhsa_user_sgpr_kernarg_segment_ptr 1
		.amdhsa_user_sgpr_dispatch_id 0
		.amdhsa_user_sgpr_kernarg_preload_length 0
		.amdhsa_user_sgpr_kernarg_preload_offset 0
		.amdhsa_user_sgpr_private_segment_size 0
		.amdhsa_wavefront_size32 1
		.amdhsa_uses_dynamic_stack 0
		.amdhsa_enable_private_segment 0
		.amdhsa_system_sgpr_workgroup_id_x 1
		.amdhsa_system_sgpr_workgroup_id_y 0
		.amdhsa_system_sgpr_workgroup_id_z 0
		.amdhsa_system_sgpr_workgroup_info 0
		.amdhsa_system_vgpr_workitem_id 0
		.amdhsa_next_free_vgpr 9
		.amdhsa_next_free_sgpr 11
		.amdhsa_named_barrier_count 0
		.amdhsa_reserve_vcc 1
		.amdhsa_float_round_mode_32 0
		.amdhsa_float_round_mode_16_64 0
		.amdhsa_float_denorm_mode_32 3
		.amdhsa_float_denorm_mode_16_64 3
		.amdhsa_fp16_overflow 0
		.amdhsa_memory_ordered 1
		.amdhsa_forward_progress 1
		.amdhsa_inst_pref_size 3
		.amdhsa_round_robin_scheduling 0
		.amdhsa_exception_fp_ieee_invalid_op 0
		.amdhsa_exception_fp_denorm_src 0
		.amdhsa_exception_fp_ieee_div_zero 0
		.amdhsa_exception_fp_ieee_overflow 0
		.amdhsa_exception_fp_ieee_underflow 0
		.amdhsa_exception_fp_ieee_inexact 0
		.amdhsa_exception_int_div_zero 0
	.end_amdhsa_kernel
	.section	.text._ZN7rocprim17ROCPRIM_400000_NS6detail30init_device_scan_by_key_kernelINS1_19lookback_scan_stateINS0_5tupleIJibEEELb0ELb1EEENS1_16block_id_wrapperIjLb0EEEEEvT_jjPNS9_10value_typeET0_,"axG",@progbits,_ZN7rocprim17ROCPRIM_400000_NS6detail30init_device_scan_by_key_kernelINS1_19lookback_scan_stateINS0_5tupleIJibEEELb0ELb1EEENS1_16block_id_wrapperIjLb0EEEEEvT_jjPNS9_10value_typeET0_,comdat
.Lfunc_end85:
	.size	_ZN7rocprim17ROCPRIM_400000_NS6detail30init_device_scan_by_key_kernelINS1_19lookback_scan_stateINS0_5tupleIJibEEELb0ELb1EEENS1_16block_id_wrapperIjLb0EEEEEvT_jjPNS9_10value_typeET0_, .Lfunc_end85-_ZN7rocprim17ROCPRIM_400000_NS6detail30init_device_scan_by_key_kernelINS1_19lookback_scan_stateINS0_5tupleIJibEEELb0ELb1EEENS1_16block_id_wrapperIjLb0EEEEEvT_jjPNS9_10value_typeET0_
                                        ; -- End function
	.set _ZN7rocprim17ROCPRIM_400000_NS6detail30init_device_scan_by_key_kernelINS1_19lookback_scan_stateINS0_5tupleIJibEEELb0ELb1EEENS1_16block_id_wrapperIjLb0EEEEEvT_jjPNS9_10value_typeET0_.num_vgpr, 9
	.set _ZN7rocprim17ROCPRIM_400000_NS6detail30init_device_scan_by_key_kernelINS1_19lookback_scan_stateINS0_5tupleIJibEEELb0ELb1EEENS1_16block_id_wrapperIjLb0EEEEEvT_jjPNS9_10value_typeET0_.num_agpr, 0
	.set _ZN7rocprim17ROCPRIM_400000_NS6detail30init_device_scan_by_key_kernelINS1_19lookback_scan_stateINS0_5tupleIJibEEELb0ELb1EEENS1_16block_id_wrapperIjLb0EEEEEvT_jjPNS9_10value_typeET0_.numbered_sgpr, 11
	.set _ZN7rocprim17ROCPRIM_400000_NS6detail30init_device_scan_by_key_kernelINS1_19lookback_scan_stateINS0_5tupleIJibEEELb0ELb1EEENS1_16block_id_wrapperIjLb0EEEEEvT_jjPNS9_10value_typeET0_.num_named_barrier, 0
	.set _ZN7rocprim17ROCPRIM_400000_NS6detail30init_device_scan_by_key_kernelINS1_19lookback_scan_stateINS0_5tupleIJibEEELb0ELb1EEENS1_16block_id_wrapperIjLb0EEEEEvT_jjPNS9_10value_typeET0_.private_seg_size, 0
	.set _ZN7rocprim17ROCPRIM_400000_NS6detail30init_device_scan_by_key_kernelINS1_19lookback_scan_stateINS0_5tupleIJibEEELb0ELb1EEENS1_16block_id_wrapperIjLb0EEEEEvT_jjPNS9_10value_typeET0_.uses_vcc, 1
	.set _ZN7rocprim17ROCPRIM_400000_NS6detail30init_device_scan_by_key_kernelINS1_19lookback_scan_stateINS0_5tupleIJibEEELb0ELb1EEENS1_16block_id_wrapperIjLb0EEEEEvT_jjPNS9_10value_typeET0_.uses_flat_scratch, 0
	.set _ZN7rocprim17ROCPRIM_400000_NS6detail30init_device_scan_by_key_kernelINS1_19lookback_scan_stateINS0_5tupleIJibEEELb0ELb1EEENS1_16block_id_wrapperIjLb0EEEEEvT_jjPNS9_10value_typeET0_.has_dyn_sized_stack, 0
	.set _ZN7rocprim17ROCPRIM_400000_NS6detail30init_device_scan_by_key_kernelINS1_19lookback_scan_stateINS0_5tupleIJibEEELb0ELb1EEENS1_16block_id_wrapperIjLb0EEEEEvT_jjPNS9_10value_typeET0_.has_recursion, 0
	.set _ZN7rocprim17ROCPRIM_400000_NS6detail30init_device_scan_by_key_kernelINS1_19lookback_scan_stateINS0_5tupleIJibEEELb0ELb1EEENS1_16block_id_wrapperIjLb0EEEEEvT_jjPNS9_10value_typeET0_.has_indirect_call, 0
	.section	.AMDGPU.csdata,"",@progbits
; Kernel info:
; codeLenInByte = 384
; TotalNumSgprs: 13
; NumVgprs: 9
; ScratchSize: 0
; MemoryBound: 0
; FloatMode: 240
; IeeeMode: 1
; LDSByteSize: 0 bytes/workgroup (compile time only)
; SGPRBlocks: 0
; VGPRBlocks: 0
; NumSGPRsForWavesPerEU: 13
; NumVGPRsForWavesPerEU: 9
; NamedBarCnt: 0
; Occupancy: 16
; WaveLimiterHint : 0
; COMPUTE_PGM_RSRC2:SCRATCH_EN: 0
; COMPUTE_PGM_RSRC2:USER_SGPR: 2
; COMPUTE_PGM_RSRC2:TRAP_HANDLER: 0
; COMPUTE_PGM_RSRC2:TGID_X_EN: 1
; COMPUTE_PGM_RSRC2:TGID_Y_EN: 0
; COMPUTE_PGM_RSRC2:TGID_Z_EN: 0
; COMPUTE_PGM_RSRC2:TIDIG_COMP_CNT: 0
	.section	.text._ZN7rocprim17ROCPRIM_400000_NS6detail17trampoline_kernelINS0_14default_configENS1_27scan_by_key_config_selectorIiiEEZZNS1_16scan_by_key_implILNS1_25lookback_scan_determinismE0ELb0ES3_N6thrust23THRUST_200600_302600_NS18transform_iteratorI9which_rowNS9_17counting_iteratorIiNS9_11use_defaultESD_SD_EESD_SD_EENS9_6detail15normal_iteratorINS9_10device_ptrIiEEEESK_iNS9_4plusIvEENS9_8equal_toIvEEiEE10hipError_tPvRmT2_T3_T4_T5_mT6_T7_P12ihipStream_tbENKUlT_T0_E_clISt17integral_constantIbLb0EES15_EEDaS10_S11_EUlS10_E_NS1_11comp_targetILNS1_3genE0ELNS1_11target_archE4294967295ELNS1_3gpuE0ELNS1_3repE0EEENS1_30default_config_static_selectorELNS0_4arch9wavefront6targetE0EEEvT1_,"axG",@progbits,_ZN7rocprim17ROCPRIM_400000_NS6detail17trampoline_kernelINS0_14default_configENS1_27scan_by_key_config_selectorIiiEEZZNS1_16scan_by_key_implILNS1_25lookback_scan_determinismE0ELb0ES3_N6thrust23THRUST_200600_302600_NS18transform_iteratorI9which_rowNS9_17counting_iteratorIiNS9_11use_defaultESD_SD_EESD_SD_EENS9_6detail15normal_iteratorINS9_10device_ptrIiEEEESK_iNS9_4plusIvEENS9_8equal_toIvEEiEE10hipError_tPvRmT2_T3_T4_T5_mT6_T7_P12ihipStream_tbENKUlT_T0_E_clISt17integral_constantIbLb0EES15_EEDaS10_S11_EUlS10_E_NS1_11comp_targetILNS1_3genE0ELNS1_11target_archE4294967295ELNS1_3gpuE0ELNS1_3repE0EEENS1_30default_config_static_selectorELNS0_4arch9wavefront6targetE0EEEvT1_,comdat
	.protected	_ZN7rocprim17ROCPRIM_400000_NS6detail17trampoline_kernelINS0_14default_configENS1_27scan_by_key_config_selectorIiiEEZZNS1_16scan_by_key_implILNS1_25lookback_scan_determinismE0ELb0ES3_N6thrust23THRUST_200600_302600_NS18transform_iteratorI9which_rowNS9_17counting_iteratorIiNS9_11use_defaultESD_SD_EESD_SD_EENS9_6detail15normal_iteratorINS9_10device_ptrIiEEEESK_iNS9_4plusIvEENS9_8equal_toIvEEiEE10hipError_tPvRmT2_T3_T4_T5_mT6_T7_P12ihipStream_tbENKUlT_T0_E_clISt17integral_constantIbLb0EES15_EEDaS10_S11_EUlS10_E_NS1_11comp_targetILNS1_3genE0ELNS1_11target_archE4294967295ELNS1_3gpuE0ELNS1_3repE0EEENS1_30default_config_static_selectorELNS0_4arch9wavefront6targetE0EEEvT1_ ; -- Begin function _ZN7rocprim17ROCPRIM_400000_NS6detail17trampoline_kernelINS0_14default_configENS1_27scan_by_key_config_selectorIiiEEZZNS1_16scan_by_key_implILNS1_25lookback_scan_determinismE0ELb0ES3_N6thrust23THRUST_200600_302600_NS18transform_iteratorI9which_rowNS9_17counting_iteratorIiNS9_11use_defaultESD_SD_EESD_SD_EENS9_6detail15normal_iteratorINS9_10device_ptrIiEEEESK_iNS9_4plusIvEENS9_8equal_toIvEEiEE10hipError_tPvRmT2_T3_T4_T5_mT6_T7_P12ihipStream_tbENKUlT_T0_E_clISt17integral_constantIbLb0EES15_EEDaS10_S11_EUlS10_E_NS1_11comp_targetILNS1_3genE0ELNS1_11target_archE4294967295ELNS1_3gpuE0ELNS1_3repE0EEENS1_30default_config_static_selectorELNS0_4arch9wavefront6targetE0EEEvT1_
	.globl	_ZN7rocprim17ROCPRIM_400000_NS6detail17trampoline_kernelINS0_14default_configENS1_27scan_by_key_config_selectorIiiEEZZNS1_16scan_by_key_implILNS1_25lookback_scan_determinismE0ELb0ES3_N6thrust23THRUST_200600_302600_NS18transform_iteratorI9which_rowNS9_17counting_iteratorIiNS9_11use_defaultESD_SD_EESD_SD_EENS9_6detail15normal_iteratorINS9_10device_ptrIiEEEESK_iNS9_4plusIvEENS9_8equal_toIvEEiEE10hipError_tPvRmT2_T3_T4_T5_mT6_T7_P12ihipStream_tbENKUlT_T0_E_clISt17integral_constantIbLb0EES15_EEDaS10_S11_EUlS10_E_NS1_11comp_targetILNS1_3genE0ELNS1_11target_archE4294967295ELNS1_3gpuE0ELNS1_3repE0EEENS1_30default_config_static_selectorELNS0_4arch9wavefront6targetE0EEEvT1_
	.p2align	8
	.type	_ZN7rocprim17ROCPRIM_400000_NS6detail17trampoline_kernelINS0_14default_configENS1_27scan_by_key_config_selectorIiiEEZZNS1_16scan_by_key_implILNS1_25lookback_scan_determinismE0ELb0ES3_N6thrust23THRUST_200600_302600_NS18transform_iteratorI9which_rowNS9_17counting_iteratorIiNS9_11use_defaultESD_SD_EESD_SD_EENS9_6detail15normal_iteratorINS9_10device_ptrIiEEEESK_iNS9_4plusIvEENS9_8equal_toIvEEiEE10hipError_tPvRmT2_T3_T4_T5_mT6_T7_P12ihipStream_tbENKUlT_T0_E_clISt17integral_constantIbLb0EES15_EEDaS10_S11_EUlS10_E_NS1_11comp_targetILNS1_3genE0ELNS1_11target_archE4294967295ELNS1_3gpuE0ELNS1_3repE0EEENS1_30default_config_static_selectorELNS0_4arch9wavefront6targetE0EEEvT1_,@function
_ZN7rocprim17ROCPRIM_400000_NS6detail17trampoline_kernelINS0_14default_configENS1_27scan_by_key_config_selectorIiiEEZZNS1_16scan_by_key_implILNS1_25lookback_scan_determinismE0ELb0ES3_N6thrust23THRUST_200600_302600_NS18transform_iteratorI9which_rowNS9_17counting_iteratorIiNS9_11use_defaultESD_SD_EESD_SD_EENS9_6detail15normal_iteratorINS9_10device_ptrIiEEEESK_iNS9_4plusIvEENS9_8equal_toIvEEiEE10hipError_tPvRmT2_T3_T4_T5_mT6_T7_P12ihipStream_tbENKUlT_T0_E_clISt17integral_constantIbLb0EES15_EEDaS10_S11_EUlS10_E_NS1_11comp_targetILNS1_3genE0ELNS1_11target_archE4294967295ELNS1_3gpuE0ELNS1_3repE0EEENS1_30default_config_static_selectorELNS0_4arch9wavefront6targetE0EEEvT1_: ; @_ZN7rocprim17ROCPRIM_400000_NS6detail17trampoline_kernelINS0_14default_configENS1_27scan_by_key_config_selectorIiiEEZZNS1_16scan_by_key_implILNS1_25lookback_scan_determinismE0ELb0ES3_N6thrust23THRUST_200600_302600_NS18transform_iteratorI9which_rowNS9_17counting_iteratorIiNS9_11use_defaultESD_SD_EESD_SD_EENS9_6detail15normal_iteratorINS9_10device_ptrIiEEEESK_iNS9_4plusIvEENS9_8equal_toIvEEiEE10hipError_tPvRmT2_T3_T4_T5_mT6_T7_P12ihipStream_tbENKUlT_T0_E_clISt17integral_constantIbLb0EES15_EEDaS10_S11_EUlS10_E_NS1_11comp_targetILNS1_3genE0ELNS1_11target_archE4294967295ELNS1_3gpuE0ELNS1_3repE0EEENS1_30default_config_static_selectorELNS0_4arch9wavefront6targetE0EEEvT1_
; %bb.0:
	s_clause 0x3
	s_load_b256 s[12:19], s[0:1], 0x0
	s_load_b256 s[20:27], s[0:1], 0x48
	s_load_b96 s[36:38], s[0:1], 0x38
	s_load_b128 s[28:31], s[0:1], 0x28
	s_getreg_b32 s2, hwreg(HW_REG_IB_STS2, 6, 4)
	s_wait_xcnt 0x0
	s_mov_b32 s1, 0
	s_barrier_signal -1
	s_barrier_wait -1
	s_wait_kmcnt 0x0
	s_lshl_b64 s[34:35], s[14:15], 2
	s_cmp_lg_u64 s[24:25], 0
	s_mov_b32 s25, s1
	s_cselect_b32 s33, -1, 0
	s_bfe_u32 s0, ttmp6, 0x4000c
	s_and_b32 s3, ttmp6, 15
	s_add_co_i32 s0, s0, 1
	s_delay_alu instid0(SALU_CYCLE_1)
	s_mul_i32 s4, ttmp9, s0
	s_mov_b32 s0, s38
	s_add_co_i32 s4, s3, s4
	s_cmp_eq_u32 s2, 0
	s_mul_u64 s[2:3], s[36:37], s[0:1]
	s_cselect_b32 s24, ttmp9, s4
	s_add_nc_u64 s[4:5], s[16:17], s[34:35]
	s_add_nc_u64 s[38:39], s[2:3], s[24:25]
	s_add_nc_u64 s[2:3], s[20:21], -1
	s_mul_i32 s0, s24, 0xc00
	v_cmp_ge_u64_e64 s25, s[38:39], s[2:3]
	s_add_co_i32 s12, s0, s12
	s_lshl_b64 s[16:17], s[0:1], 2
	s_add_co_i32 s12, s12, s14
	s_add_nc_u64 s[14:15], s[4:5], s[16:17]
	s_mul_i32 s31, s2, 0xfffff400
	s_and_b32 vcc_lo, exec_lo, s25
	s_cbranch_vccz .LBB86_67
; %bb.1:
	s_abs_i32 s41, s13
	s_abs_i32 s2, s12
	s_cvt_f32_u32 s0, s41
	s_sub_co_i32 s1, 0, s41
	s_ashr_i32 s42, s13, 31
	s_add_co_i32 s40, s31, s30
	v_rcp_iflag_f32_e32 v1, s0
	s_mov_b32 s21, 0
	v_nop
	s_delay_alu instid0(TRANS32_DEP_1) | instskip(SKIP_1) | instid1(SALU_CYCLE_3)
	v_readfirstlane_b32 s0, v1
	s_mul_f32 s0, s0, 0x4f7ffffe
	s_cvt_u32_f32 s0, s0
	s_delay_alu instid0(SALU_CYCLE_3) | instskip(NEXT) | instid1(SALU_CYCLE_1)
	s_mul_i32 s1, s1, s0
	s_mul_hi_u32 s1, s0, s1
	s_delay_alu instid0(SALU_CYCLE_1) | instskip(SKIP_4) | instid1(SALU_CYCLE_1)
	s_add_co_i32 s20, s0, s1
	s_ashr_i32 s0, s12, 31
	s_mul_hi_u32 s1, s2, s20
	s_xor_b32 s0, s0, s42
	s_mul_i32 s3, s1, s41
	s_sub_co_i32 s2, s2, s3
	s_add_co_i32 s3, s1, 1
	s_sub_co_i32 s4, s2, s41
	s_cmp_ge_u32 s2, s41
	s_cselect_b32 s1, s3, s1
	s_cselect_b32 s2, s4, s2
	s_add_co_i32 s3, s1, 1
	s_cmp_ge_u32 s2, s41
	s_cselect_b32 s1, s3, s1
	s_delay_alu instid0(SALU_CYCLE_1) | instskip(NEXT) | instid1(SALU_CYCLE_1)
	s_xor_b32 s1, s1, s0
	s_sub_co_i32 s43, s1, s0
	v_cmp_gt_u32_e64 s0, s40, v0
	v_mov_b32_e32 v1, s43
	s_and_saveexec_b32 s1, s0
	s_cbranch_execz .LBB86_3
; %bb.2:
	v_dual_add_nc_u32 v1, s12, v0 :: v_dual_mov_b32 v3, 0
	s_delay_alu instid0(VALU_DEP_1) | instskip(NEXT) | instid1(VALU_DEP_1)
	v_sub_nc_u32_e32 v2, 0, v1
	v_dual_ashrrev_i32 v1, 31, v1 :: v_dual_max_i32 v2, v1, v2
	s_delay_alu instid0(VALU_DEP_1) | instskip(NEXT) | instid1(VALU_DEP_1)
	v_mul_u64_e32 v[4:5], s[20:21], v[2:3]
	v_mul_lo_u32 v3, v5, s41
	s_delay_alu instid0(VALU_DEP_1) | instskip(NEXT) | instid1(VALU_DEP_1)
	v_dual_sub_nc_u32 v2, v2, v3 :: v_dual_add_nc_u32 v3, 1, v5
	v_subrev_nc_u32_e32 v4, s41, v2
	v_cmp_le_u32_e32 vcc_lo, s41, v2
	s_delay_alu instid0(VALU_DEP_2) | instskip(NEXT) | instid1(VALU_DEP_1)
	v_dual_cndmask_b32 v3, v5, v3 :: v_dual_cndmask_b32 v2, v2, v4
	v_add_nc_u32_e32 v4, 1, v3
	s_delay_alu instid0(VALU_DEP_2) | instskip(NEXT) | instid1(VALU_DEP_2)
	v_cmp_le_u32_e32 vcc_lo, s41, v2
	v_dual_cndmask_b32 v2, v3, v4, vcc_lo :: v_dual_bitop2_b32 v1, s42, v1 bitop3:0x14
	s_delay_alu instid0(VALU_DEP_1) | instskip(NEXT) | instid1(VALU_DEP_1)
	v_xor_b32_e32 v2, v2, v1
	v_sub_nc_u32_e32 v1, v2, v1
.LBB86_3:
	s_or_b32 exec_lo, exec_lo, s1
	v_or_b32_e32 v3, 0x100, v0
	v_mov_b32_e32 v2, s43
	s_delay_alu instid0(VALU_DEP_2)
	v_cmp_gt_u32_e64 s1, s40, v3
	s_and_saveexec_b32 s2, s1
	s_cbranch_execz .LBB86_5
; %bb.4:
	v_dual_mov_b32 v3, 0 :: v_dual_add_nc_u32 v6, s12, v3
	s_delay_alu instid0(VALU_DEP_1) | instskip(NEXT) | instid1(VALU_DEP_1)
	v_sub_nc_u32_e32 v2, 0, v6
	v_max_i32_e32 v2, v6, v2
	s_delay_alu instid0(VALU_DEP_1) | instskip(NEXT) | instid1(VALU_DEP_1)
	v_mul_u64_e32 v[4:5], s[20:21], v[2:3]
	v_mul_lo_u32 v3, v5, s41
	s_delay_alu instid0(VALU_DEP_1) | instskip(NEXT) | instid1(VALU_DEP_1)
	v_dual_sub_nc_u32 v2, v2, v3 :: v_dual_add_nc_u32 v3, 1, v5
	v_cmp_le_u32_e32 vcc_lo, s41, v2
	s_delay_alu instid0(VALU_DEP_2) | instskip(SKIP_1) | instid1(VALU_DEP_1)
	v_dual_cndmask_b32 v3, v5, v3, vcc_lo :: v_dual_ashrrev_i32 v5, 31, v6
	v_subrev_nc_u32_e32 v4, s41, v2
	v_dual_cndmask_b32 v2, v2, v4, vcc_lo :: v_dual_add_nc_u32 v4, 1, v3
	s_delay_alu instid0(VALU_DEP_1) | instskip(NEXT) | instid1(VALU_DEP_2)
	v_cmp_le_u32_e32 vcc_lo, s41, v2
	v_dual_cndmask_b32 v2, v3, v4, vcc_lo :: v_dual_bitop2_b32 v5, s42, v5 bitop3:0x14
	s_delay_alu instid0(VALU_DEP_1) | instskip(NEXT) | instid1(VALU_DEP_1)
	v_xor_b32_e32 v2, v2, v5
	v_sub_nc_u32_e32 v2, v2, v5
.LBB86_5:
	s_or_b32 exec_lo, exec_lo, s2
	v_or_b32_e32 v4, 0x200, v0
	v_mov_b32_e32 v3, s43
	s_delay_alu instid0(VALU_DEP_2)
	v_cmp_gt_u32_e64 s2, s40, v4
	s_and_saveexec_b32 s3, s2
	s_cbranch_execz .LBB86_7
; %bb.6:
	v_dual_add_nc_u32 v3, s12, v4 :: v_dual_mov_b32 v5, 0
	s_delay_alu instid0(VALU_DEP_1) | instskip(NEXT) | instid1(VALU_DEP_1)
	v_sub_nc_u32_e32 v4, 0, v3
	v_dual_ashrrev_i32 v3, 31, v3 :: v_dual_max_i32 v4, v3, v4
	s_delay_alu instid0(VALU_DEP_1) | instskip(NEXT) | instid1(VALU_DEP_1)
	v_mul_u64_e32 v[6:7], s[20:21], v[4:5]
	v_mul_lo_u32 v5, v7, s41
	s_delay_alu instid0(VALU_DEP_1) | instskip(NEXT) | instid1(VALU_DEP_1)
	v_dual_sub_nc_u32 v4, v4, v5 :: v_dual_add_nc_u32 v5, 1, v7
	v_subrev_nc_u32_e32 v6, s41, v4
	v_cmp_le_u32_e32 vcc_lo, s41, v4
	s_delay_alu instid0(VALU_DEP_2) | instskip(NEXT) | instid1(VALU_DEP_1)
	v_dual_cndmask_b32 v5, v7, v5 :: v_dual_cndmask_b32 v4, v4, v6
	v_add_nc_u32_e32 v6, 1, v5
	s_delay_alu instid0(VALU_DEP_2) | instskip(NEXT) | instid1(VALU_DEP_2)
	v_cmp_le_u32_e32 vcc_lo, s41, v4
	v_dual_cndmask_b32 v4, v5, v6, vcc_lo :: v_dual_bitop2_b32 v3, s42, v3 bitop3:0x14
	s_delay_alu instid0(VALU_DEP_1) | instskip(NEXT) | instid1(VALU_DEP_1)
	v_xor_b32_e32 v4, v4, v3
	v_sub_nc_u32_e32 v3, v4, v3
.LBB86_7:
	s_or_b32 exec_lo, exec_lo, s3
	v_or_b32_e32 v5, 0x300, v0
	v_mov_b32_e32 v4, s43
	s_delay_alu instid0(VALU_DEP_2)
	v_cmp_gt_u32_e64 s3, s40, v5
	s_and_saveexec_b32 s4, s3
	s_cbranch_execz .LBB86_9
; %bb.8:
	v_dual_mov_b32 v5, 0 :: v_dual_add_nc_u32 v8, s12, v5
	s_delay_alu instid0(VALU_DEP_1) | instskip(NEXT) | instid1(VALU_DEP_1)
	v_sub_nc_u32_e32 v4, 0, v8
	v_max_i32_e32 v4, v8, v4
	s_delay_alu instid0(VALU_DEP_1) | instskip(NEXT) | instid1(VALU_DEP_1)
	v_mul_u64_e32 v[6:7], s[20:21], v[4:5]
	v_mul_lo_u32 v5, v7, s41
	s_delay_alu instid0(VALU_DEP_1) | instskip(NEXT) | instid1(VALU_DEP_1)
	v_dual_sub_nc_u32 v4, v4, v5 :: v_dual_add_nc_u32 v5, 1, v7
	v_cmp_le_u32_e32 vcc_lo, s41, v4
	s_delay_alu instid0(VALU_DEP_2) | instskip(SKIP_1) | instid1(VALU_DEP_1)
	v_dual_cndmask_b32 v5, v7, v5, vcc_lo :: v_dual_ashrrev_i32 v7, 31, v8
	v_subrev_nc_u32_e32 v6, s41, v4
	v_dual_cndmask_b32 v4, v4, v6, vcc_lo :: v_dual_add_nc_u32 v6, 1, v5
	s_delay_alu instid0(VALU_DEP_1) | instskip(NEXT) | instid1(VALU_DEP_2)
	v_cmp_le_u32_e32 vcc_lo, s41, v4
	v_dual_cndmask_b32 v4, v5, v6, vcc_lo :: v_dual_bitop2_b32 v7, s42, v7 bitop3:0x14
	s_delay_alu instid0(VALU_DEP_1) | instskip(NEXT) | instid1(VALU_DEP_1)
	v_xor_b32_e32 v4, v4, v7
	v_sub_nc_u32_e32 v4, v4, v7
.LBB86_9:
	s_or_b32 exec_lo, exec_lo, s4
	v_or_b32_e32 v6, 0x400, v0
	v_mov_b32_e32 v5, s43
	s_delay_alu instid0(VALU_DEP_2)
	v_cmp_gt_u32_e64 s4, s40, v6
	;; [unrolled: 58-line block ×5, first 2 shown]
	s_and_saveexec_b32 s11, s10
	s_cbranch_execz .LBB86_23
; %bb.22:
	v_dual_add_nc_u32 v11, s12, v12 :: v_dual_mov_b32 v13, 0
	s_delay_alu instid0(VALU_DEP_1) | instskip(NEXT) | instid1(VALU_DEP_1)
	v_sub_nc_u32_e32 v12, 0, v11
	v_dual_ashrrev_i32 v11, 31, v11 :: v_dual_max_i32 v12, v11, v12
	s_delay_alu instid0(VALU_DEP_1) | instskip(NEXT) | instid1(VALU_DEP_1)
	v_mul_u64_e32 v[14:15], s[20:21], v[12:13]
	v_mul_lo_u32 v13, v15, s41
	s_delay_alu instid0(VALU_DEP_1) | instskip(NEXT) | instid1(VALU_DEP_1)
	v_dual_sub_nc_u32 v12, v12, v13 :: v_dual_add_nc_u32 v13, 1, v15
	v_subrev_nc_u32_e32 v14, s41, v12
	v_cmp_le_u32_e32 vcc_lo, s41, v12
	s_delay_alu instid0(VALU_DEP_2) | instskip(NEXT) | instid1(VALU_DEP_1)
	v_dual_cndmask_b32 v13, v15, v13 :: v_dual_cndmask_b32 v12, v12, v14
	v_add_nc_u32_e32 v14, 1, v13
	s_delay_alu instid0(VALU_DEP_2) | instskip(NEXT) | instid1(VALU_DEP_2)
	v_cmp_le_u32_e32 vcc_lo, s41, v12
	v_dual_cndmask_b32 v12, v13, v14, vcc_lo :: v_dual_bitop2_b32 v11, s42, v11 bitop3:0x14
	s_delay_alu instid0(VALU_DEP_1) | instskip(NEXT) | instid1(VALU_DEP_1)
	v_xor_b32_e32 v12, v12, v11
	v_sub_nc_u32_e32 v11, v12, v11
.LBB86_23:
	s_or_b32 exec_lo, exec_lo, s11
	v_or_b32_e32 v13, 0xb00, v0
	v_mov_b32_e32 v12, s43
	s_delay_alu instid0(VALU_DEP_2)
	v_cmp_gt_u32_e64 s11, s40, v13
	s_and_saveexec_b32 s44, s11
	s_cbranch_execz .LBB86_25
; %bb.24:
	v_dual_mov_b32 v13, 0 :: v_dual_add_nc_u32 v16, s12, v13
	s_delay_alu instid0(VALU_DEP_1) | instskip(NEXT) | instid1(VALU_DEP_1)
	v_sub_nc_u32_e32 v12, 0, v16
	v_max_i32_e32 v12, v16, v12
	s_delay_alu instid0(VALU_DEP_1) | instskip(NEXT) | instid1(VALU_DEP_1)
	v_mul_u64_e32 v[14:15], s[20:21], v[12:13]
	v_mul_lo_u32 v13, v15, s41
	s_delay_alu instid0(VALU_DEP_1) | instskip(NEXT) | instid1(VALU_DEP_1)
	v_dual_sub_nc_u32 v12, v12, v13 :: v_dual_add_nc_u32 v13, 1, v15
	v_cmp_le_u32_e32 vcc_lo, s41, v12
	s_delay_alu instid0(VALU_DEP_2) | instskip(SKIP_1) | instid1(VALU_DEP_1)
	v_dual_cndmask_b32 v13, v15, v13, vcc_lo :: v_dual_ashrrev_i32 v15, 31, v16
	v_subrev_nc_u32_e32 v14, s41, v12
	v_dual_cndmask_b32 v12, v12, v14, vcc_lo :: v_dual_add_nc_u32 v14, 1, v13
	s_delay_alu instid0(VALU_DEP_1) | instskip(NEXT) | instid1(VALU_DEP_2)
	v_cmp_le_u32_e32 vcc_lo, s41, v12
	v_dual_cndmask_b32 v12, v13, v14, vcc_lo :: v_dual_bitop2_b32 v15, s42, v15 bitop3:0x14
	s_delay_alu instid0(VALU_DEP_1) | instskip(NEXT) | instid1(VALU_DEP_1)
	v_xor_b32_e32 v12, v12, v15
	v_sub_nc_u32_e32 v12, v12, v15
.LBB86_25:
	s_or_b32 exec_lo, exec_lo, s44
	v_lshlrev_b32_e32 v18, 2, v0
	s_cmp_eq_u64 s[38:39], 0
	ds_store_2addr_stride64_b32 v18, v1, v2 offset1:4
	ds_store_2addr_stride64_b32 v18, v3, v4 offset0:8 offset1:12
	ds_store_2addr_stride64_b32 v18, v5, v6 offset0:16 offset1:20
	;; [unrolled: 1-line block ×5, first 2 shown]
	v_mad_u32_u24 v1, v0, 44, v18
	s_wait_dscnt 0x0
	s_barrier_signal -1
	s_barrier_wait -1
	ds_load_b128 v[14:17], v1
	ds_load_b128 v[10:13], v1 offset:16
	ds_load_b128 v[6:9], v1 offset:32
	s_cbranch_scc1 .LBB86_29
; %bb.26:
	s_and_not1_b32 vcc_lo, exec_lo, s33
	s_cbranch_vccnz .LBB86_187
; %bb.27:
	s_lshl_b64 s[44:45], s[38:39], 2
	s_delay_alu instid0(SALU_CYCLE_1) | instskip(NEXT) | instid1(SALU_CYCLE_1)
	s_add_nc_u64 s[44:45], s[26:27], s[44:45]
	s_add_nc_u64 s[44:45], s[44:45], -4
	s_load_b32 s43, s[44:45], 0x0
	s_wait_xcnt 0x0
	s_cbranch_execnz .LBB86_29
.LBB86_28:
	s_wait_kmcnt 0x0
	s_add_co_i32 s43, s12, -1
	s_sub_co_i32 s44, 1, s12
	s_mov_b32 s45, 0
	s_max_i32 s44, s43, s44
	s_delay_alu instid0(SALU_CYCLE_1)
	s_mul_u64 s[20:21], s[44:45], s[20:21]
	s_ashr_i32 s20, s43, 31
	s_mul_i32 s43, s21, s41
	s_xor_b32 s20, s20, s42
	s_sub_co_i32 s42, s44, s43
	s_add_co_i32 s43, s21, 1
	s_sub_co_i32 s44, s42, s41
	s_cmp_ge_u32 s42, s41
	s_cselect_b32 s21, s43, s21
	s_cselect_b32 s42, s44, s42
	s_add_co_i32 s43, s21, 1
	s_cmp_ge_u32 s42, s41
	s_cselect_b32 s21, s43, s21
	s_delay_alu instid0(SALU_CYCLE_1) | instskip(NEXT) | instid1(SALU_CYCLE_1)
	s_xor_b32 s21, s21, s20
	s_sub_co_i32 s43, s21, s20
.LBB86_29:
	v_mad_i32_i24 v3, 0xffffffd4, v0, v1
	s_wait_kmcnt 0x0
	v_mov_b32_e32 v2, s43
	s_mov_b32 s20, exec_lo
	s_wait_dscnt 0x0
	ds_store_b32 v3, v9 offset:12288
	s_wait_dscnt 0x0
	s_barrier_signal -1
	s_barrier_wait -1
	v_cmpx_ne_u32_e32 0, v0
; %bb.30:
	v_mul_i32_i24_e32 v2, 0xffffffd4, v0
	s_delay_alu instid0(VALU_DEP_1)
	v_add_nc_u32_e32 v2, v1, v2
	ds_load_b32 v2, v2 offset:12284
; %bb.31:
	s_or_b32 exec_lo, exec_lo, s20
	s_wait_dscnt 0x0
	s_barrier_signal -1
	s_barrier_wait -1
                                        ; implicit-def: $vgpr3
	s_and_saveexec_b32 s20, s0
	s_cbranch_execnz .LBB86_175
; %bb.32:
	s_or_b32 exec_lo, exec_lo, s20
                                        ; implicit-def: $vgpr5
	s_and_saveexec_b32 s0, s1
	s_cbranch_execnz .LBB86_176
.LBB86_33:
	s_or_b32 exec_lo, exec_lo, s0
                                        ; implicit-def: $vgpr19
	s_and_saveexec_b32 s0, s2
	s_cbranch_execnz .LBB86_177
.LBB86_34:
	s_or_b32 exec_lo, exec_lo, s0
                                        ; implicit-def: $vgpr20
	s_and_saveexec_b32 s0, s3
	s_cbranch_execnz .LBB86_178
.LBB86_35:
	s_or_b32 exec_lo, exec_lo, s0
                                        ; implicit-def: $vgpr21
	s_and_saveexec_b32 s0, s4
	s_cbranch_execnz .LBB86_179
.LBB86_36:
	s_or_b32 exec_lo, exec_lo, s0
                                        ; implicit-def: $vgpr22
	s_and_saveexec_b32 s0, s5
	s_cbranch_execnz .LBB86_180
.LBB86_37:
	s_or_b32 exec_lo, exec_lo, s0
                                        ; implicit-def: $vgpr23
	s_and_saveexec_b32 s0, s6
	s_cbranch_execnz .LBB86_181
.LBB86_38:
	s_or_b32 exec_lo, exec_lo, s0
                                        ; implicit-def: $vgpr24
	s_and_saveexec_b32 s0, s7
	s_cbranch_execnz .LBB86_182
.LBB86_39:
	s_or_b32 exec_lo, exec_lo, s0
                                        ; implicit-def: $vgpr25
	s_and_saveexec_b32 s0, s8
	s_cbranch_execnz .LBB86_183
.LBB86_40:
	s_or_b32 exec_lo, exec_lo, s0
                                        ; implicit-def: $vgpr26
	s_and_saveexec_b32 s0, s9
	s_cbranch_execnz .LBB86_184
.LBB86_41:
	s_or_b32 exec_lo, exec_lo, s0
                                        ; implicit-def: $vgpr27
	s_and_saveexec_b32 s0, s10
	s_cbranch_execnz .LBB86_185
.LBB86_42:
	s_or_b32 exec_lo, exec_lo, s0
                                        ; implicit-def: $vgpr28
	s_and_saveexec_b32 s0, s11
	s_cbranch_execz .LBB86_44
.LBB86_43:
	flat_load_b32 v28, v0, s[14:15] offset:11264 scale_offset
.LBB86_44:
	s_wait_xcnt 0x0
	s_or_b32 exec_lo, exec_lo, s0
	s_wait_loadcnt_dscnt 0x0
	ds_store_2addr_stride64_b32 v18, v3, v5 offset1:4
	ds_store_2addr_stride64_b32 v18, v19, v20 offset0:8 offset1:12
	ds_store_2addr_stride64_b32 v18, v21, v22 offset0:16 offset1:20
	;; [unrolled: 1-line block ×5, first 2 shown]
	v_mov_b64_e32 v[18:19], 0
	v_mov_b64_e32 v[42:43], 0
	;; [unrolled: 1-line block ×20, first 2 shown]
	v_mul_u32_u24_e32 v4, 12, v0
	s_mov_b32 s2, 0
	s_mov_b32 s1, 0
	s_mov_b32 s4, exec_lo
	s_wait_dscnt 0x0
	s_barrier_signal -1
	s_barrier_wait -1
                                        ; implicit-def: $sgpr3
                                        ; implicit-def: $vgpr5
	v_cmpx_gt_u32_e64 s40, v4
	s_cbranch_execz .LBB86_66
; %bb.45:
	ds_load_b32 v18, v1
	v_cmp_ne_u32_e32 vcc_lo, v2, v14
	v_mov_b64_e32 v[42:43], 0
	v_mov_b64_e32 v[46:47], 0
	;; [unrolled: 1-line block ×18, first 2 shown]
	v_or_b32_e32 v3, 1, v4
	v_cndmask_b32_e64 v19, 0, 1, vcc_lo
	s_mov_b32 s0, 0
	s_mov_b32 s1, exec_lo
                                        ; implicit-def: $sgpr3
                                        ; implicit-def: $vgpr5
	s_delay_alu instid0(VALU_DEP_2)
	v_cmpx_gt_u32_e64 s40, v3
	s_cbranch_execz .LBB86_65
; %bb.46:
	ds_load_2addr_b32 v[42:43], v1 offset0:1 offset1:2
	v_cmp_ne_u32_e32 vcc_lo, v14, v15
	v_mov_b64_e32 v[46:47], 0
	v_mov_b64_e32 v[44:45], 0
	v_mov_b64_e32 v[48:49], 0
	v_mov_b64_e32 v[50:51], 0
	v_mov_b64_e32 v[52:53], 0
	v_mov_b64_e32 v[54:55], 0
	v_mov_b64_e32 v[56:57], 0
	v_mov_b64_e32 v[58:59], 0
	v_mov_b64_e32 v[34:35], 0
	v_mov_b64_e32 v[32:33], 0
	v_mov_b64_e32 v[30:31], 0
	v_mov_b64_e32 v[28:29], 0
	v_mov_b64_e32 v[26:27], 0
	v_mov_b64_e32 v[24:25], 0
	v_mov_b64_e32 v[22:23], 0
	v_mov_b64_e32 v[20:21], 0
	v_or_b32_e32 v3, 2, v4
	v_cndmask_b32_e64 v2, 0, 1, vcc_lo
	s_mov_b32 s5, exec_lo
                                        ; implicit-def: $sgpr3
                                        ; implicit-def: $vgpr5
	s_delay_alu instid0(VALU_DEP_2)
	v_cmpx_gt_u32_e64 s40, v3
	s_cbranch_execz .LBB86_64
; %bb.47:
	v_cmp_ne_u32_e32 vcc_lo, v15, v16
	v_mov_b64_e32 v[44:45], 0
	v_mov_b64_e32 v[48:49], 0
	;; [unrolled: 1-line block ×14, first 2 shown]
	v_or_b32_e32 v3, 3, v4
	v_cndmask_b32_e64 v47, 0, 1, vcc_lo
	s_mov_b32 s6, exec_lo
                                        ; implicit-def: $sgpr3
                                        ; implicit-def: $vgpr5
	s_delay_alu instid0(VALU_DEP_2)
	v_cmpx_gt_u32_e64 s40, v3
	s_cbranch_execz .LBB86_63
; %bb.48:
	ds_load_2addr_b32 v[44:45], v1 offset0:3 offset1:4
	v_add_nc_u32_e32 v5, 4, v4
	v_cmp_ne_u32_e32 vcc_lo, v16, v17
	v_mov_b64_e32 v[48:49], 0
	v_mov_b64_e32 v[50:51], 0
	;; [unrolled: 1-line block ×12, first 2 shown]
	v_cndmask_b32_e64 v3, 0, 1, vcc_lo
	v_cmp_gt_u32_e32 vcc_lo, s40, v5
                                        ; implicit-def: $sgpr3
                                        ; implicit-def: $vgpr5
	s_and_saveexec_b32 s7, vcc_lo
	s_cbranch_execz .LBB86_62
; %bb.49:
	v_add_nc_u32_e32 v5, 5, v4
	v_cmp_ne_u32_e32 vcc_lo, v17, v10
	v_mov_b64_e32 v[50:51], 0
	v_mov_b64_e32 v[52:53], 0
	;; [unrolled: 1-line block ×10, first 2 shown]
	v_cndmask_b32_e64 v49, 0, 1, vcc_lo
	v_cmp_gt_u32_e32 vcc_lo, s40, v5
                                        ; implicit-def: $sgpr3
                                        ; implicit-def: $vgpr5
	s_and_saveexec_b32 s8, vcc_lo
	s_cbranch_execz .LBB86_61
; %bb.50:
	ds_load_2addr_b32 v[50:51], v1 offset0:5 offset1:6
	v_add_nc_u32_e32 v5, 6, v4
	v_cmp_ne_u32_e32 vcc_lo, v10, v11
	v_mov_b64_e32 v[52:53], 0
	v_mov_b64_e32 v[54:55], 0
	;; [unrolled: 1-line block ×8, first 2 shown]
	v_cndmask_b32_e64 v10, 0, 1, vcc_lo
	v_cmp_gt_u32_e32 vcc_lo, s40, v5
                                        ; implicit-def: $sgpr3
                                        ; implicit-def: $vgpr5
	s_and_saveexec_b32 s9, vcc_lo
	s_cbranch_execz .LBB86_60
; %bb.51:
	v_add_nc_u32_e32 v5, 7, v4
	v_cmp_ne_u32_e32 vcc_lo, v11, v12
	v_mov_b64_e32 v[54:55], 0
	v_mov_b64_e32 v[56:57], 0
	;; [unrolled: 1-line block ×6, first 2 shown]
	v_cndmask_b32_e64 v53, 0, 1, vcc_lo
	v_cmp_gt_u32_e32 vcc_lo, s40, v5
                                        ; implicit-def: $sgpr3
                                        ; implicit-def: $vgpr5
	s_and_saveexec_b32 s10, vcc_lo
	s_cbranch_execz .LBB86_59
; %bb.52:
	ds_load_2addr_b32 v[54:55], v1 offset0:7 offset1:8
	v_add_nc_u32_e32 v5, 8, v4
	v_cmp_ne_u32_e32 vcc_lo, v12, v13
	v_mov_b64_e32 v[56:57], 0
	v_mov_b64_e32 v[58:59], 0
	;; [unrolled: 1-line block ×4, first 2 shown]
	v_cndmask_b32_e64 v11, 0, 1, vcc_lo
	v_cmp_gt_u32_e32 vcc_lo, s40, v5
                                        ; implicit-def: $sgpr3
                                        ; implicit-def: $vgpr5
	s_and_saveexec_b32 s11, vcc_lo
	s_cbranch_execz .LBB86_58
; %bb.53:
	v_add_nc_u32_e32 v5, 9, v4
	v_cmp_ne_u32_e32 vcc_lo, v13, v6
	v_mov_b64_e32 v[58:59], 0
	v_mov_b64_e32 v[20:21], 0
                                        ; implicit-def: $sgpr3
	v_cndmask_b32_e64 v57, 0, 1, vcc_lo
	v_cmp_gt_u32_e32 vcc_lo, s40, v5
                                        ; implicit-def: $vgpr5
	s_and_saveexec_b32 s20, vcc_lo
	s_cbranch_execz .LBB86_57
; %bb.54:
	ds_load_2addr_b32 v[58:59], v1 offset0:9 offset1:10
	v_add_nc_u32_e32 v5, 10, v4
	v_cmp_ne_u32_e32 vcc_lo, v6, v7
	v_mov_b64_e32 v[20:21], 0
                                        ; implicit-def: $sgpr3
	v_cndmask_b32_e64 v6, 0, 1, vcc_lo
	s_delay_alu instid0(VALU_DEP_4) | instskip(SKIP_1) | instid1(SALU_CYCLE_1)
	v_cmp_gt_u32_e32 vcc_lo, s40, v5
                                        ; implicit-def: $vgpr5
	s_and_saveexec_b32 s21, vcc_lo
	s_xor_b32 s21, exec_lo, s21
	s_cbranch_execz .LBB86_56
; %bb.55:
	ds_load_b32 v5, v1 offset:44
	s_wait_dscnt 0x1
	v_dual_mov_b32 v20, v59 :: v_dual_add_nc_u32 v1, 11, v4
	v_cmp_ne_u32_e64 s0, v7, v8
	v_cmp_ne_u32_e64 s3, v8, v9
	s_delay_alu instid0(VALU_DEP_3) | instskip(NEXT) | instid1(VALU_DEP_3)
	v_cmp_gt_u32_e32 vcc_lo, s40, v1
	v_cndmask_b32_e64 v21, 0, 1, s0
	s_and_b32 s0, vcc_lo, exec_lo
.LBB86_56:
	s_or_b32 exec_lo, exec_lo, s21
	s_wait_dscnt 0x0
	v_mov_b32_e32 v59, v6
	s_and_b32 s0, s0, exec_lo
.LBB86_57:
	s_or_b32 exec_lo, exec_lo, s20
	s_delay_alu instid0(VALU_DEP_1)
	v_mov_b64_e32 v[22:23], v[58:59]
	s_wait_dscnt 0x0
	v_mov_b32_e32 v56, v55
	s_and_b32 s0, s0, exec_lo
.LBB86_58:
	s_or_b32 exec_lo, exec_lo, s11
	s_delay_alu instid0(VALU_DEP_1)
	v_mov_b64_e32 v[24:25], v[56:57]
	s_wait_dscnt 0x0
	v_mov_b32_e32 v55, v11
	s_and_b32 s0, s0, exec_lo
.LBB86_59:
	s_or_b32 exec_lo, exec_lo, s10
	s_delay_alu instid0(VALU_DEP_1)
	v_mov_b64_e32 v[26:27], v[54:55]
	s_wait_dscnt 0x0
	v_mov_b32_e32 v52, v51
	s_and_b32 s0, s0, exec_lo
.LBB86_60:
	s_or_b32 exec_lo, exec_lo, s9
	s_delay_alu instid0(VALU_DEP_1)
	v_mov_b64_e32 v[28:29], v[52:53]
	s_wait_dscnt 0x0
	v_mov_b32_e32 v51, v10
	s_and_b32 s0, s0, exec_lo
.LBB86_61:
	s_or_b32 exec_lo, exec_lo, s8
	s_delay_alu instid0(VALU_DEP_1)
	v_mov_b64_e32 v[30:31], v[50:51]
	s_wait_dscnt 0x0
	v_mov_b32_e32 v48, v45
	s_and_b32 s0, s0, exec_lo
.LBB86_62:
	s_or_b32 exec_lo, exec_lo, s7
	s_delay_alu instid0(VALU_DEP_1)
	v_mov_b64_e32 v[32:33], v[48:49]
	s_wait_dscnt 0x0
	v_mov_b32_e32 v45, v3
	s_and_b32 s0, s0, exec_lo
.LBB86_63:
	s_or_b32 exec_lo, exec_lo, s6
	s_delay_alu instid0(VALU_DEP_1)
	v_mov_b64_e32 v[34:35], v[44:45]
	s_wait_dscnt 0x0
	v_mov_b32_e32 v46, v43
	s_and_b32 s0, s0, exec_lo
.LBB86_64:
	s_or_b32 exec_lo, exec_lo, s5
	s_delay_alu instid0(VALU_DEP_1)
	v_mov_b64_e32 v[36:37], v[46:47]
	s_wait_dscnt 0x0
	v_mov_b32_e32 v43, v2
	s_and_b32 s0, s0, exec_lo
.LBB86_65:
	s_or_b32 exec_lo, exec_lo, s1
	s_delay_alu instid0(VALU_DEP_1)
	v_mov_b64_e32 v[38:39], v[42:43]
	s_and_b32 s1, s0, exec_lo
.LBB86_66:
	s_or_b32 exec_lo, exec_lo, s4
	v_lshlrev_b32_e32 v16, 2, v0
	s_and_b32 vcc_lo, exec_lo, s2
	s_cbranch_vccnz .LBB86_68
	s_branch .LBB86_77
.LBB86_67:
                                        ; implicit-def: $sgpr3
                                        ; implicit-def: $vgpr5
                                        ; implicit-def: $vgpr18_vgpr19
                                        ; implicit-def: $vgpr42_vgpr43
                                        ; implicit-def: $vgpr46_vgpr47
                                        ; implicit-def: $vgpr44_vgpr45
                                        ; implicit-def: $vgpr48_vgpr49
                                        ; implicit-def: $vgpr50_vgpr51
                                        ; implicit-def: $vgpr52_vgpr53
                                        ; implicit-def: $vgpr54_vgpr55
                                        ; implicit-def: $vgpr56_vgpr57
                                        ; implicit-def: $vgpr58_vgpr59
                                        ; implicit-def: $vgpr38_vgpr39
                                        ; implicit-def: $vgpr36_vgpr37
                                        ; implicit-def: $vgpr34_vgpr35
                                        ; implicit-def: $vgpr32_vgpr33
                                        ; implicit-def: $vgpr30_vgpr31
                                        ; implicit-def: $vgpr28_vgpr29
                                        ; implicit-def: $vgpr26_vgpr27
                                        ; implicit-def: $vgpr24_vgpr25
                                        ; implicit-def: $vgpr22_vgpr23
                                        ; implicit-def: $vgpr20_vgpr21
	v_lshlrev_b32_e32 v16, 2, v0
	s_cbranch_execz .LBB86_77
.LBB86_68:
	s_abs_i32 s4, s13
	v_add_nc_u32_e32 v2, s12, v0
	s_cvt_f32_u32 s0, s4
	s_ashr_i32 s5, s13, 31
	s_mov_b32 s3, 0
	s_delay_alu instid0(VALU_DEP_1) | instskip(SKIP_3) | instid1(VALU_DEP_1)
	v_add_nc_u32_e32 v4, 0x100, v2
	v_rcp_iflag_f32_e32 v1, s0
	v_sub_nc_u32_e32 v5, 0xffffff00, v2
	s_sub_co_i32 s0, 0, s4
	v_max_i32_e32 v5, v4, v5
	s_delay_alu instid0(TRANS32_DEP_1)
	v_readfirstlane_b32 s1, v1
	v_dual_ashrrev_i32 v3, 31, v2 :: v_dual_sub_nc_u32 v1, 0, v2
	v_sub_nc_u32_e32 v7, 0xfffffe00, v2
	v_sub_nc_u32_e32 v9, 0xfffffd00, v2
	s_mul_f32 s1, s1, 0x4f7ffffe
	v_sub_nc_u32_e32 v11, 0xfffffc00, v2
	v_max_i32_e32 v1, v2, v1
	s_delay_alu instid0(SALU_CYCLE_1) | instskip(NEXT) | instid1(SALU_CYCLE_3)
	s_cvt_u32_f32 s1, s1
	s_mul_i32 s0, s0, s1
	s_delay_alu instid0(SALU_CYCLE_1) | instskip(NEXT) | instid1(SALU_CYCLE_1)
	s_mul_hi_u32 s0, s1, s0
	s_add_co_i32 s2, s1, s0
	s_cmp_eq_u64 s[38:39], 0
	v_mul_hi_u32 v13, v1, s2
	v_mul_hi_u32 v15, v5, s2
	s_delay_alu instid0(VALU_DEP_2) | instskip(NEXT) | instid1(VALU_DEP_2)
	v_mul_lo_u32 v19, v13, s4
	v_mul_lo_u32 v21, v15, s4
	v_dual_add_nc_u32 v23, 1, v13 :: v_dual_add_nc_u32 v24, 1, v15
	s_delay_alu instid0(VALU_DEP_3) | instskip(NEXT) | instid1(VALU_DEP_3)
	v_sub_nc_u32_e32 v1, v1, v19
	v_sub_nc_u32_e32 v5, v5, v21
	s_delay_alu instid0(VALU_DEP_2) | instskip(SKIP_2) | instid1(VALU_DEP_4)
	v_cmp_le_u32_e32 vcc_lo, s4, v1
	v_subrev_nc_u32_e32 v21, s4, v1
	v_add_nc_u32_e32 v6, 0x200, v2
	v_cmp_le_u32_e64 s0, s4, v5
	v_cndmask_b32_e32 v13, v13, v23, vcc_lo
	s_delay_alu instid0(VALU_DEP_3) | instskip(SKIP_1) | instid1(VALU_DEP_3)
	v_dual_cndmask_b32 v1, v1, v21, vcc_lo :: v_dual_max_i32 v7, v6, v7
	v_dual_ashrrev_i32 v6, 31, v6 :: v_dual_ashrrev_i32 v4, 31, v4
	v_add_nc_u32_e32 v21, 1, v13
	s_delay_alu instid0(VALU_DEP_3) | instskip(SKIP_1) | instid1(VALU_DEP_4)
	v_cmp_le_u32_e32 vcc_lo, s4, v1
	v_add_nc_u32_e32 v8, 0x300, v2
	v_xor_b32_e32 v6, s5, v6
	v_mul_hi_u32 v17, v7, s2
	v_dual_cndmask_b32 v1, v13, v21, vcc_lo :: v_dual_bitop2_b32 v4, s5, v4 bitop3:0x14
	s_delay_alu instid0(VALU_DEP_4) | instskip(SKIP_3) | instid1(VALU_DEP_3)
	v_max_i32_e32 v9, v8, v9
	v_dual_ashrrev_i32 v8, 31, v8 :: v_dual_bitop2_b32 v3, s5, v3 bitop3:0x14
	v_cndmask_b32_e64 v15, v15, v24, s0
	s_wait_dscnt 0x0
	v_mul_hi_u32 v18, v9, s2
	s_delay_alu instid0(VALU_DEP_3) | instskip(SKIP_2) | instid1(VALU_DEP_4)
	v_xor_b32_e32 v1, v1, v3
	v_mul_lo_u32 v22, v17, s4
	v_add_nc_u32_e32 v25, 1, v17
	v_mul_lo_u32 v26, v18, s4
	v_add_nc_u32_e32 v19, 1, v18
	s_delay_alu instid0(VALU_DEP_4) | instskip(SKIP_1) | instid1(VALU_DEP_2)
	v_sub_nc_u32_e32 v7, v7, v22
	v_subrev_nc_u32_e32 v22, s4, v5
	v_cmp_le_u32_e64 s1, s4, v7
	s_delay_alu instid0(VALU_DEP_2) | instskip(SKIP_2) | instid1(VALU_DEP_4)
	v_cndmask_b32_e64 v5, v5, v22, s0
	v_subrev_nc_u32_e32 v23, s4, v7
	v_dual_add_nc_u32 v22, 1, v15 :: v_dual_sub_nc_u32 v9, v9, v26
	v_cndmask_b32_e64 v17, v17, v25, s1
	s_delay_alu instid0(VALU_DEP_4) | instskip(NEXT) | instid1(VALU_DEP_4)
	v_cmp_le_u32_e32 vcc_lo, s4, v5
	v_cndmask_b32_e64 v7, v7, v23, s1
	v_add_nc_u32_e32 v23, 0xb00, v2
	s_delay_alu instid0(VALU_DEP_4) | instskip(NEXT) | instid1(VALU_DEP_3)
	v_dual_add_nc_u32 v13, 1, v17 :: v_dual_cndmask_b32 v5, v15, v22, vcc_lo
	v_cmp_le_u32_e32 vcc_lo, s4, v7
	v_add_nc_u32_e32 v10, 0x400, v2
	v_subrev_nc_u32_e32 v15, s4, v9
	s_delay_alu instid0(VALU_DEP_4) | instskip(NEXT) | instid1(VALU_DEP_3)
	v_dual_cndmask_b32 v7, v17, v13 :: v_dual_sub_nc_u32 v22, 0xfffff600, v2
	v_max_i32_e32 v11, v10, v11
	v_cmp_le_u32_e32 vcc_lo, s4, v9
	v_add_nc_u32_e32 v12, 0x500, v2
	s_delay_alu instid0(VALU_DEP_4) | instskip(NEXT) | instid1(VALU_DEP_4)
	v_dual_sub_nc_u32 v1, v1, v3 :: v_dual_bitop2_b32 v7, v7, v6 bitop3:0x14
	v_mul_hi_u32 v20, v11, s2
	v_cndmask_b32_e32 v9, v9, v15, vcc_lo
	v_add_nc_u32_e32 v15, 0x600, v2
	v_sub_nc_u32_e32 v17, 0xfffffa00, v2
	v_dual_ashrrev_i32 v10, 31, v10 :: v_dual_bitop2_b32 v8, s5, v8 bitop3:0x14
	v_sub_nc_u32_e32 v6, v7, v6
	s_delay_alu instid0(VALU_DEP_3) | instskip(SKIP_1) | instid1(VALU_DEP_1)
	v_max_i32_e32 v17, v15, v17
	v_mul_lo_u32 v27, v20, s4
	v_dual_sub_nc_u32 v11, v11, v27 :: v_dual_bitop2_b32 v5, v5, v4 bitop3:0x14
	s_delay_alu instid0(VALU_DEP_1) | instskip(SKIP_2) | instid1(VALU_DEP_4)
	v_dual_cndmask_b32 v4, v18, v19 :: v_dual_sub_nc_u32 v3, v5, v4
	v_cmp_le_u32_e32 vcc_lo, s4, v9
	v_add_nc_u32_e32 v9, 1, v20
	v_subrev_nc_u32_e32 v18, s4, v11
	v_mul_hi_u32 v19, v17, s2
	v_add_nc_u32_e32 v13, 1, v4
	s_delay_alu instid0(VALU_DEP_1) | instskip(SKIP_2) | instid1(VALU_DEP_3)
	v_cndmask_b32_e32 v4, v4, v13, vcc_lo
	v_cmp_le_u32_e32 vcc_lo, s4, v11
	v_sub_nc_u32_e32 v14, 0xfffffb00, v2
	v_dual_cndmask_b32 v7, v11, v18, vcc_lo :: v_dual_bitop2_b32 v4, v4, v8 bitop3:0x14
	v_cndmask_b32_e32 v9, v20, v9, vcc_lo
	s_delay_alu instid0(VALU_DEP_3) | instskip(NEXT) | instid1(VALU_DEP_3)
	v_max_i32_e32 v14, v12, v14
	v_sub_nc_u32_e32 v4, v4, v8
	s_delay_alu instid0(VALU_DEP_4) | instskip(NEXT) | instid1(VALU_DEP_4)
	v_cmp_le_u32_e32 vcc_lo, s4, v7
	v_add_nc_u32_e32 v11, 1, v9
	s_delay_alu instid0(VALU_DEP_4) | instskip(NEXT) | instid1(VALU_DEP_2)
	v_mul_hi_u32 v5, v14, s2
	v_dual_cndmask_b32 v7, v9, v11, vcc_lo :: v_dual_ashrrev_i32 v9, 31, v12
	v_mul_lo_u32 v12, v19, s4
	s_delay_alu instid0(VALU_DEP_3) | instskip(NEXT) | instid1(VALU_DEP_2)
	v_mul_lo_u32 v13, v5, s4
	v_dual_sub_nc_u32 v12, v17, v12 :: v_dual_bitop2_b32 v10, s5, v10 bitop3:0x14
	s_delay_alu instid0(VALU_DEP_2) | instskip(NEXT) | instid1(VALU_DEP_2)
	v_sub_nc_u32_e32 v13, v14, v13
	v_dual_add_nc_u32 v11, 1, v5 :: v_dual_bitop2_b32 v7, v7, v10 bitop3:0x14
	s_delay_alu instid0(VALU_DEP_2) | instskip(SKIP_2) | instid1(VALU_DEP_4)
	v_subrev_nc_u32_e32 v14, s4, v13
	v_cmp_le_u32_e32 vcc_lo, s4, v13
	v_add_nc_u32_e32 v18, 0x700, v2
	v_dual_sub_nc_u32 v7, v7, v10 :: v_dual_bitop2_b32 v9, s5, v9 bitop3:0x14
	v_dual_cndmask_b32 v5, v5, v11 :: v_dual_add_nc_u32 v10, 0x900, v2
	s_delay_alu instid0(VALU_DEP_1) | instskip(NEXT) | instid1(VALU_DEP_1)
	v_dual_cndmask_b32 v13, v13, v14 :: v_dual_add_nc_u32 v14, 1, v5
	v_cmp_le_u32_e32 vcc_lo, s4, v13
	v_add_nc_u32_e32 v17, 1, v19
	v_subrev_nc_u32_e32 v13, s4, v12
	s_delay_alu instid0(VALU_DEP_4) | instskip(SKIP_1) | instid1(VALU_DEP_2)
	v_cndmask_b32_e32 v5, v5, v14, vcc_lo
	v_cmp_le_u32_e32 vcc_lo, s4, v12
	v_xor_b32_e32 v5, v5, v9
	v_dual_cndmask_b32 v14, v19, v17 :: v_dual_add_nc_u32 v17, 0x800, v2
	v_dual_cndmask_b32 v12, v12, v13 :: v_dual_sub_nc_u32 v19, 0xfffff800, v2
	s_delay_alu instid0(VALU_DEP_1) | instskip(NEXT) | instid1(VALU_DEP_2)
	v_dual_add_nc_u32 v13, 1, v14 :: v_dual_max_i32 v19, v17, v19
	v_cmp_le_u32_e32 vcc_lo, s4, v12
	s_delay_alu instid0(VALU_DEP_2) | instskip(NEXT) | instid1(VALU_DEP_3)
	v_cndmask_b32_e32 v12, v14, v13, vcc_lo
	v_mul_hi_u32 v13, v19, s2
	v_sub_nc_u32_e32 v20, 0xfffff900, v2
	s_delay_alu instid0(VALU_DEP_1) | instskip(NEXT) | instid1(VALU_DEP_1)
	v_dual_ashrrev_i32 v15, 31, v15 :: v_dual_max_i32 v11, v18, v20
	v_dual_sub_nc_u32 v5, v5, v9 :: v_dual_bitop2_b32 v15, s5, v15 bitop3:0x14
	s_delay_alu instid0(VALU_DEP_2) | instskip(NEXT) | instid1(VALU_DEP_2)
	v_mul_hi_u32 v20, v11, s2
	v_dual_ashrrev_i32 v12, 31, v18 :: v_dual_bitop2_b32 v8, v12, v15 bitop3:0x14
	s_delay_alu instid0(VALU_DEP_1) | instskip(NEXT) | instid1(VALU_DEP_3)
	v_xor_b32_e32 v12, s5, v12
	v_mul_lo_u32 v21, v20, s4
	s_delay_alu instid0(VALU_DEP_1) | instskip(SKIP_3) | instid1(VALU_DEP_4)
	v_sub_nc_u32_e32 v9, v11, v21
	v_sub_nc_u32_e32 v11, 0xfffff700, v2
	v_add_nc_u32_e32 v14, 1, v20
	v_mul_lo_u32 v21, v13, s4
	v_subrev_nc_u32_e32 v18, s4, v9
	s_delay_alu instid0(VALU_DEP_4) | instskip(SKIP_2) | instid1(VALU_DEP_3)
	v_max_i32_e32 v11, v10, v11
	v_cmp_le_u32_e32 vcc_lo, s4, v9
	v_sub_nc_u32_e32 v8, v8, v15
	v_mul_hi_u32 v15, v11, s2
	v_cndmask_b32_e32 v14, v20, v14, vcc_lo
	v_dual_cndmask_b32 v9, v9, v18, vcc_lo :: v_dual_sub_nc_u32 v19, v19, v21
	s_delay_alu instid0(VALU_DEP_2) | instskip(NEXT) | instid1(VALU_DEP_2)
	v_dual_add_nc_u32 v21, 1, v13 :: v_dual_add_nc_u32 v18, 1, v14
	v_cmp_le_u32_e64 s0, s4, v9
	s_delay_alu instid0(VALU_DEP_3) | instskip(SKIP_2) | instid1(VALU_DEP_4)
	v_cmp_le_u32_e32 vcc_lo, s4, v19
	v_subrev_nc_u32_e32 v25, s4, v19
	v_mul_lo_u32 v24, v15, s4
	v_dual_cndmask_b32 v9, v14, v18, s0 :: v_dual_cndmask_b32 v13, v13, v21, vcc_lo
	s_delay_alu instid0(VALU_DEP_3) | instskip(NEXT) | instid1(VALU_DEP_2)
	v_dual_cndmask_b32 v18, v19, v25 :: v_dual_add_nc_u32 v21, 1, v15
	v_add_nc_u32_e32 v19, 1, v13
	s_delay_alu instid0(VALU_DEP_2) | instskip(SKIP_1) | instid1(VALU_DEP_1)
	v_cmp_le_u32_e64 s0, s4, v18
	v_sub_nc_u32_e32 v11, v11, v24
	v_subrev_nc_u32_e32 v25, s4, v11
	v_cmp_le_u32_e32 vcc_lo, s4, v11
	v_add_nc_u32_e32 v20, 0xa00, v2
	s_delay_alu instid0(VALU_DEP_3) | instskip(NEXT) | instid1(VALU_DEP_2)
	v_dual_cndmask_b32 v11, v11, v25 :: v_dual_sub_nc_u32 v2, 0xfffff500, v2
	v_max_i32_e32 v22, v20, v22
	s_delay_alu instid0(VALU_DEP_2) | instskip(SKIP_2) | instid1(VALU_DEP_4)
	v_max_i32_e32 v2, v23, v2
	v_dual_cndmask_b32 v15, v15, v21 :: v_dual_ashrrev_i32 v10, 31, v10
	v_dual_cndmask_b32 v13, v13, v19, s0 :: v_dual_ashrrev_i32 v19, 31, v20
	v_mul_hi_u32 v26, v22, s2
	s_delay_alu instid0(VALU_DEP_4) | instskip(NEXT) | instid1(VALU_DEP_4)
	v_mul_hi_u32 v14, v2, s2
	v_dual_add_nc_u32 v18, 1, v15 :: v_dual_bitop2_b32 v10, s5, v10 bitop3:0x14
	v_cmp_le_u32_e32 vcc_lo, s4, v11
	s_delay_alu instid0(VALU_DEP_2) | instskip(SKIP_3) | instid1(VALU_DEP_2)
	v_dual_cndmask_b32 v11, v15, v18, vcc_lo :: v_dual_bitop2_b32 v15, s5, v19 bitop3:0x14
	v_add_nc_u32_e32 v18, 1, v26
	v_mul_lo_u32 v24, v26, s4
	v_mul_lo_u32 v21, v14, s4
	v_sub_nc_u32_e32 v20, v22, v24
	s_delay_alu instid0(VALU_DEP_2) | instskip(NEXT) | instid1(VALU_DEP_2)
	v_dual_sub_nc_u32 v2, v2, v21 :: v_dual_add_nc_u32 v21, 1, v14
	v_subrev_nc_u32_e32 v19, s4, v20
	v_cmp_le_u32_e32 vcc_lo, s4, v20
	s_delay_alu instid0(VALU_DEP_3) | instskip(SKIP_1) | instid1(VALU_DEP_4)
	v_cmp_le_u32_e64 s0, s4, v2
	v_subrev_nc_u32_e32 v22, s4, v2
	v_dual_cndmask_b32 v18, v26, v18 :: v_dual_cndmask_b32 v19, v20, v19
	s_delay_alu instid0(VALU_DEP_3) | instskip(NEXT) | instid1(VALU_DEP_3)
	v_dual_cndmask_b32 v14, v14, v21, s0 :: v_dual_ashrrev_i32 v21, 31, v23
	v_cndmask_b32_e64 v2, v2, v22, s0
	s_delay_alu instid0(VALU_DEP_3) | instskip(NEXT) | instid1(VALU_DEP_4)
	v_add_nc_u32_e32 v20, 1, v18
	v_cmp_le_u32_e32 vcc_lo, s4, v19
	s_delay_alu instid0(VALU_DEP_2) | instskip(SKIP_2) | instid1(VALU_DEP_2)
	v_dual_cndmask_b32 v18, v18, v20, vcc_lo :: v_dual_bitop2_b32 v19, s5, v21 bitop3:0x14
	v_ashrrev_i32_e32 v17, 31, v17
	v_cmp_le_u32_e32 vcc_lo, s4, v2
	v_dual_add_nc_u32 v22, 1, v14 :: v_dual_bitop2_b32 v17, s5, v17 bitop3:0x14
	v_xor_b32_e32 v9, v9, v12
	v_xor_b32_e32 v11, v11, v10
	s_delay_alu instid0(VALU_DEP_3) | instskip(NEXT) | instid1(VALU_DEP_3)
	v_dual_cndmask_b32 v2, v14, v22, vcc_lo :: v_dual_bitop2_b32 v13, v13, v17 bitop3:0x14
	v_dual_sub_nc_u32 v9, v9, v12 :: v_dual_bitop2_b32 v14, v18, v15 bitop3:0x14
	s_delay_alu instid0(VALU_DEP_2) | instskip(NEXT) | instid1(VALU_DEP_3)
	v_dual_sub_nc_u32 v10, v11, v10 :: v_dual_sub_nc_u32 v12, v13, v17
	v_xor_b32_e32 v2, v2, v19
	s_delay_alu instid0(VALU_DEP_3) | instskip(NEXT) | instid1(VALU_DEP_2)
	v_sub_nc_u32_e32 v11, v14, v15
	v_sub_nc_u32_e32 v2, v2, v19
	ds_store_2addr_stride64_b32 v16, v1, v3 offset1:4
	ds_store_2addr_stride64_b32 v16, v6, v4 offset0:8 offset1:12
	ds_store_2addr_stride64_b32 v16, v7, v5 offset0:16 offset1:20
	ds_store_2addr_stride64_b32 v16, v8, v9 offset0:24 offset1:28
	ds_store_2addr_stride64_b32 v16, v12, v10 offset0:32 offset1:36
	ds_store_2addr_stride64_b32 v16, v11, v2 offset0:40 offset1:44
	v_mad_u32_u24 v1, v0, 44, v16
	s_wait_dscnt 0x0
	s_barrier_signal -1
	s_barrier_wait -1
	ds_load_b128 v[2:5], v1
	ds_load_b128 v[10:13], v1 offset:16
	ds_load_b128 v[6:9], v1 offset:32
	s_cbranch_scc1 .LBB86_186
; %bb.69:
	s_and_not1_b32 vcc_lo, exec_lo, s33
	s_cbranch_vccnz .LBB86_188
; %bb.70:
	s_lshl_b64 s[0:1], s[38:39], 2
	s_delay_alu instid0(SALU_CYCLE_1) | instskip(NEXT) | instid1(SALU_CYCLE_1)
	s_add_nc_u64 s[0:1], s[26:27], s[0:1]
	s_add_nc_u64 s[0:1], s[0:1], -4
	s_load_b32 s0, s[0:1], 0x0
	s_wait_xcnt 0x0
	s_cbranch_execnz .LBB86_72
.LBB86_71:
	s_add_co_i32 s8, s12, -1
	s_wait_kmcnt 0x0
	s_sub_co_i32 s0, 1, s12
	s_mov_b32 s1, 0
	s_max_i32 s0, s8, s0
	s_delay_alu instid0(SALU_CYCLE_1)
	s_mul_u64 s[6:7], s[0:1], s[2:3]
	s_ashr_i32 s1, s8, 31
	s_mul_i32 s6, s7, s4
	s_xor_b32 s1, s1, s5
	s_sub_co_i32 s0, s0, s6
	s_add_co_i32 s6, s7, 1
	s_sub_co_i32 s8, s0, s4
	s_cmp_ge_u32 s0, s4
	s_cselect_b32 s6, s6, s7
	s_cselect_b32 s0, s8, s0
	s_add_co_i32 s7, s6, 1
	s_cmp_ge_u32 s0, s4
	s_cselect_b32 s0, s7, s6
	s_delay_alu instid0(SALU_CYCLE_1) | instskip(NEXT) | instid1(SALU_CYCLE_1)
	s_xor_b32 s0, s0, s1
	s_sub_co_i32 s0, s0, s1
.LBB86_72:
	s_cbranch_execnz .LBB86_74
.LBB86_73:
	s_wait_kmcnt 0x0
	s_abs_i32 s0, s12
	s_mov_b32 s1, 0
	s_delay_alu instid0(SALU_CYCLE_1)
	s_mul_u64 s[2:3], s[0:1], s[2:3]
	s_ashr_i32 s1, s12, 31
	s_mul_i32 s2, s3, s4
	s_xor_b32 s1, s1, s5
	s_sub_co_i32 s0, s0, s2
	s_add_co_i32 s2, s3, 1
	s_sub_co_i32 s5, s0, s4
	s_cmp_ge_u32 s0, s4
	s_cselect_b32 s2, s2, s3
	s_cselect_b32 s0, s5, s0
	s_add_co_i32 s3, s2, 1
	s_cmp_ge_u32 s0, s4
	s_cselect_b32 s0, s3, s2
	s_delay_alu instid0(SALU_CYCLE_1) | instskip(NEXT) | instid1(SALU_CYCLE_1)
	s_xor_b32 s0, s0, s1
	s_sub_co_i32 s0, s0, s1
.LBB86_74:
	v_mad_i32_i24 v15, 0xffffffd4, v0, v1
	s_wait_kmcnt 0x0
	v_mov_b32_e32 v14, s0
	s_mov_b32 s0, exec_lo
	s_wait_dscnt 0x0
	ds_store_b32 v15, v9 offset:12288
	s_wait_dscnt 0x0
	s_barrier_signal -1
	s_barrier_wait -1
	v_cmpx_ne_u32_e32 0, v0
; %bb.75:
	v_mul_i32_i24_e32 v14, 0xffffffd4, v0
	s_delay_alu instid0(VALU_DEP_1)
	v_add_nc_u32_e32 v14, v1, v14
	ds_load_b32 v14, v14 offset:12284
; %bb.76:
	s_or_b32 exec_lo, exec_lo, s0
	s_wait_dscnt 0x0
	s_barrier_signal -1
	s_barrier_wait -1
	s_clause 0xb
	flat_load_b32 v15, v0, s[14:15] scale_offset
	flat_load_b32 v17, v0, s[14:15] offset:1024 scale_offset
	flat_load_b32 v18, v0, s[14:15] offset:2048 scale_offset
	;; [unrolled: 1-line block ×11, first 2 shown]
	v_cmp_ne_u32_e32 vcc_lo, v14, v2
	v_cmp_ne_u32_e64 s3, v8, v9
	s_mov_b32 s1, -1
	s_wait_loadcnt_dscnt 0xa0a
	ds_store_2addr_stride64_b32 v16, v15, v17 offset1:4
	s_wait_loadcnt_dscnt 0x809
	ds_store_2addr_stride64_b32 v16, v18, v20 offset0:8 offset1:12
	s_wait_loadcnt_dscnt 0x608
	ds_store_2addr_stride64_b32 v16, v21, v22 offset0:16 offset1:20
	;; [unrolled: 2-line block ×5, first 2 shown]
	v_cndmask_b32_e64 v19, 0, 1, vcc_lo
	v_cmp_ne_u32_e32 vcc_lo, v2, v3
	s_wait_dscnt 0x0
	s_barrier_signal -1
	s_barrier_wait -1
	v_cndmask_b32_e64 v43, 0, 1, vcc_lo
	v_cmp_ne_u32_e32 vcc_lo, v3, v4
	ds_load_b128 v[22:25], v1
	ds_load_b128 v[26:29], v1 offset:16
	v_cndmask_b32_e64 v47, 0, 1, vcc_lo
	v_cmp_ne_u32_e32 vcc_lo, v4, v5
	v_cndmask_b32_e64 v45, 0, 1, vcc_lo
	v_cmp_ne_u32_e32 vcc_lo, v5, v10
	ds_load_b128 v[2:5], v1 offset:32
	v_cndmask_b32_e64 v49, 0, 1, vcc_lo
	v_cmp_ne_u32_e32 vcc_lo, v10, v11
	s_wait_dscnt 0x2
	v_dual_mov_b32 v18, v22 :: v_dual_mov_b32 v42, v23
	v_cndmask_b32_e64 v51, 0, 1, vcc_lo
	v_cmp_ne_u32_e32 vcc_lo, v11, v12
	v_dual_mov_b32 v46, v24 :: v_dual_mov_b32 v44, v25
	s_wait_dscnt 0x1
	v_dual_mov_b32 v48, v26 :: v_dual_mov_b32 v50, v27
	v_cndmask_b32_e64 v53, 0, 1, vcc_lo
	v_cmp_ne_u32_e32 vcc_lo, v12, v13
	v_dual_mov_b32 v52, v28 :: v_dual_mov_b32 v54, v29
	s_wait_dscnt 0x0
	v_dual_mov_b32 v56, v2 :: v_dual_mov_b32 v58, v3
	v_cndmask_b32_e64 v55, 0, 1, vcc_lo
	v_cmp_ne_u32_e32 vcc_lo, v13, v6
	v_mov_b64_e32 v[38:39], v[42:43]
	v_mov_b64_e32 v[36:37], v[46:47]
	v_mov_b64_e32 v[34:35], v[44:45]
	v_mov_b64_e32 v[32:33], v[48:49]
	v_cndmask_b32_e64 v57, 0, 1, vcc_lo
	v_cmp_ne_u32_e32 vcc_lo, v6, v7
	v_mov_b64_e32 v[30:31], v[50:51]
	v_mov_b64_e32 v[28:29], v[52:53]
	;; [unrolled: 1-line block ×4, first 2 shown]
	v_cndmask_b32_e64 v59, 0, 1, vcc_lo
	v_cmp_ne_u32_e32 vcc_lo, v7, v8
	v_mov_b32_e32 v20, v4
	s_delay_alu instid0(VALU_DEP_3)
	v_mov_b64_e32 v[22:23], v[58:59]
	v_cndmask_b32_e64 v21, 0, 1, vcc_lo
.LBB86_77:
	v_mov_b64_e32 v[40:41], 0
	s_and_saveexec_b32 s0, s1
	s_cbranch_execz .LBB86_79
; %bb.78:
	v_mov_b64_e32 v[22:23], v[58:59]
	v_mov_b64_e32 v[24:25], v[56:57]
	;; [unrolled: 1-line block ×9, first 2 shown]
	v_cndmask_b32_e64 v41, 0, 1, s3
	v_mov_b32_e32 v40, v5
.LBB86_79:
	s_or_b32 exec_lo, exec_lo, s0
	v_dual_lshrrev_b32 v1, 2, v0 :: v_dual_bitop2_b32 v42, v27, v25 bitop3:0x54
	v_or_b32_e32 v17, v23, v21
	s_cmp_lg_u32 s24, 0
	s_wait_dscnt 0x0
	v_cmp_gt_u32_e32 vcc_lo, 32, v0
	s_barrier_signal -1
	s_barrier_wait -1
	s_cbranch_scc0 .LBB86_107
; %bb.80:
	s_mov_b64 s[10:11], 0x100000000
	v_or3_b32 v3, v42, v29, v31
	v_cmp_gt_u64_e64 s0, s[10:11], v[38:39]
	v_cmp_gt_u64_e64 s1, s[10:11], v[36:37]
	;; [unrolled: 1-line block ×7, first 2 shown]
	v_dual_cndmask_b32 v2, 0, v18, s0 :: v_dual_bitop2_b32 v5, 56, v1 bitop3:0x40
	v_cmp_gt_u64_e64 s7, s[10:11], v[24:25]
	v_cmp_gt_u64_e64 s8, s[10:11], v[22:23]
	;; [unrolled: 1-line block ×4, first 2 shown]
	v_add_nc_u32_e32 v2, v2, v38
	v_or3_b32 v3, v3, v33, v35
	v_lshl_add_u32 v5, v0, 3, v5
	s_delay_alu instid0(VALU_DEP_3) | instskip(NEXT) | instid1(VALU_DEP_3)
	v_cndmask_b32_e64 v2, 0, v2, s1
	v_or3_b32 v3, v3, v37, v39
	s_delay_alu instid0(VALU_DEP_2) | instskip(NEXT) | instid1(VALU_DEP_2)
	v_add_nc_u32_e32 v2, v2, v36
	v_or3_b32 v3, v41, v17, v3
	s_delay_alu instid0(VALU_DEP_2) | instskip(NEXT) | instid1(VALU_DEP_2)
	v_cndmask_b32_e64 v2, 0, v2, s2
	v_and_b32_e32 v3, 0xff, v3
	s_delay_alu instid0(VALU_DEP_2) | instskip(NEXT) | instid1(VALU_DEP_1)
	v_add_nc_u32_e32 v2, v2, v34
	v_cndmask_b32_e64 v2, 0, v2, s3
	s_delay_alu instid0(VALU_DEP_1) | instskip(NEXT) | instid1(VALU_DEP_1)
	v_add_nc_u32_e32 v2, v2, v32
	v_cndmask_b32_e64 v2, 0, v2, s4
	s_delay_alu instid0(VALU_DEP_1) | instskip(NEXT) | instid1(VALU_DEP_1)
	;; [unrolled: 3-line block ×7, first 2 shown]
	v_dual_add_nc_u32 v4, v2, v20 :: v_dual_mov_b32 v2, 0
	v_cndmask_b32_e64 v4, 0, v4, s10
	s_delay_alu instid0(VALU_DEP_2) | instskip(NEXT) | instid1(VALU_DEP_1)
	v_cmp_eq_u64_e64 s11, 0, v[2:3]
	v_dual_add_nc_u32 v12, v4, v40 :: v_dual_cndmask_b32 v13, 1, v19, s11
	ds_store_b32 v5, v12
	ds_store_b8 v5, v13 offset:4
	s_wait_dscnt 0x0
	s_barrier_signal -1
	s_barrier_wait -1
	s_and_saveexec_b32 s12, vcc_lo
	s_cbranch_execz .LBB86_90
; %bb.81:
	v_dual_lshlrev_b32 v2, 1, v0 :: v_dual_lshlrev_b32 v3, 6, v0
	s_mov_b32 s13, exec_lo
	s_delay_alu instid0(VALU_DEP_1) | instskip(NEXT) | instid1(VALU_DEP_1)
	v_and_b32_e32 v2, 0x1f8, v2
	v_add_nc_u32_e32 v4, v2, v3
	ds_load_u8 v5, v4 offset:12
	ds_load_b64 v[2:3], v4
	ds_load_2addr_b32 v[6:7], v4 offset0:2 offset1:4
	ds_load_u8 v10, v4 offset:20
	ds_load_u8 v11, v4 offset:28
	;; [unrolled: 1-line block ×5, first 2 shown]
	ds_load_b32 v44, v4 offset:56
	s_wait_dscnt 0x8
	v_cmp_eq_u16_e64 s11, 0, v5
	s_wait_dscnt 0x5
	s_delay_alu instid0(VALU_DEP_1)
	v_dual_cndmask_b32 v45, 0, v2, s11 :: v_dual_bitop2_b32 v5, v10, v5 bitop3:0x54
	ds_load_2addr_b32 v[8:9], v4 offset0:6 offset1:8
	v_cmp_eq_u16_e64 s11, 0, v10
	s_wait_dscnt 0x4
	v_bitop3_b16 v5, v5, v14, v11 bitop3:0xfe
	v_add_nc_u32_e32 v6, v45, v6
	s_delay_alu instid0(VALU_DEP_1) | instskip(SKIP_1) | instid1(VALU_DEP_2)
	v_cndmask_b32_e64 v6, 0, v6, s11
	v_cmp_eq_u16_e64 s11, 0, v11
	v_add_nc_u32_e32 v6, v6, v7
	s_delay_alu instid0(VALU_DEP_1)
	v_cndmask_b32_e64 v45, 0, v6, s11
	ds_load_2addr_b32 v[6:7], v4 offset0:10 offset1:12
	v_cmp_eq_u16_e64 s11, 0, v14
	s_wait_dscnt 0x1
	v_add_nc_u32_e32 v8, v45, v8
	ds_load_u8 v45, v4 offset:60
	v_cndmask_b32_e64 v8, 0, v8, s11
	v_cmp_eq_u16_e64 s11, 0, v15
	s_delay_alu instid0(VALU_DEP_2) | instskip(SKIP_1) | instid1(VALU_DEP_2)
	v_add_nc_u32_e32 v8, v8, v9
	v_bitop3_b16 v9, v5, v43, v15 bitop3:0xfe
	v_dual_cndmask_b32 v8, 0, v8, s11 :: v_dual_bitop2_b32 v5, 1, v3 bitop3:0x40
	s_delay_alu instid0(VALU_DEP_2) | instskip(SKIP_1) | instid1(VALU_DEP_2)
	v_cmp_eq_u16_e64 s11, 0, v9
	s_wait_dscnt 0x0
	v_dual_add_nc_u32 v6, v8, v6 :: v_dual_bitop2_b32 v8, 1, v45 bitop3:0x40
	s_delay_alu instid0(VALU_DEP_2) | instskip(SKIP_1) | instid1(VALU_DEP_1)
	v_cndmask_b32_e64 v9, 1, v5, s11
	v_cmp_eq_u16_e64 s11, 0, v43
	v_cndmask_b32_e64 v6, 0, v6, s11
	s_delay_alu instid0(VALU_DEP_4) | instskip(SKIP_1) | instid1(VALU_DEP_2)
	v_cmp_eq_u32_e64 s11, 1, v8
	v_mbcnt_lo_u32_b32 v8, -1, 0
	v_cndmask_b32_e64 v9, v9, 1, s11
	v_cmp_eq_u16_e64 s11, 0, v45
	s_delay_alu instid0(VALU_DEP_2) | instskip(SKIP_2) | instid1(VALU_DEP_1)
	v_and_b32_e32 v10, 0xffff, v9
	v_add_nc_u32_e32 v7, v6, v7
	v_and_b32_e32 v6, 0xffffff00, v3
	v_dual_cndmask_b32 v7, 0, v7, s11 :: v_dual_bitop2_b32 v11, v6, v10 bitop3:0x54
	v_and_b32_e32 v10, 15, v8
	s_delay_alu instid0(VALU_DEP_2) | instskip(NEXT) | instid1(VALU_DEP_3)
	v_mov_b32_dpp v15, v11 row_shr:1 row_mask:0xf bank_mask:0xf
	v_add_nc_u32_e32 v7, v7, v44
	s_delay_alu instid0(VALU_DEP_1) | instskip(NEXT) | instid1(VALU_DEP_4)
	v_mov_b32_dpp v14, v7 row_shr:1 row_mask:0xf bank_mask:0xf
	v_cmpx_ne_u32_e32 0, v10
	s_cbranch_execz .LBB86_83
; %bb.82:
	v_and_b32_e32 v11, 1, v9
	v_and_b32_e32 v15, 1, v15
	s_delay_alu instid0(VALU_DEP_2) | instskip(NEXT) | instid1(VALU_DEP_1)
	v_cmp_eq_u32_e64 s11, 1, v11
	v_cndmask_b32_e64 v15, v15, 1, s11
	v_cmp_eq_u16_e64 s11, 0, v9
	s_delay_alu instid0(VALU_DEP_2) | instskip(NEXT) | instid1(VALU_DEP_1)
	v_and_b32_e32 v11, 0xffff, v15
	v_dual_cndmask_b32 v9, 0, v14, s11 :: v_dual_bitop2_b32 v11, v6, v11 bitop3:0x54
	s_delay_alu instid0(VALU_DEP_1)
	v_dual_add_nc_u32 v7, v9, v7 :: v_dual_mov_b32 v9, v15
.LBB86_83:
	s_or_b32 exec_lo, exec_lo, s13
	s_delay_alu instid0(VALU_DEP_1) | instskip(NEXT) | instid1(VALU_DEP_3)
	v_mov_b32_dpp v14, v7 row_shr:2 row_mask:0xf bank_mask:0xf
	v_mov_b32_dpp v15, v11 row_shr:2 row_mask:0xf bank_mask:0xf
	s_mov_b32 s13, exec_lo
	v_cmpx_lt_u32_e32 1, v10
	s_cbranch_execz .LBB86_85
; %bb.84:
	v_and_b32_e32 v11, 1, v9
	v_and_b32_e32 v15, 1, v15
	s_delay_alu instid0(VALU_DEP_2) | instskip(NEXT) | instid1(VALU_DEP_1)
	v_cmp_eq_u32_e64 s11, 1, v11
	v_cndmask_b32_e64 v15, v15, 1, s11
	v_cmp_eq_u16_e64 s11, 0, v9
	s_delay_alu instid0(VALU_DEP_2) | instskip(NEXT) | instid1(VALU_DEP_1)
	v_and_b32_e32 v11, 0xffff, v15
	v_dual_cndmask_b32 v9, 0, v14, s11 :: v_dual_bitop2_b32 v11, v6, v11 bitop3:0x54
	s_delay_alu instid0(VALU_DEP_1)
	v_dual_add_nc_u32 v7, v9, v7 :: v_dual_mov_b32 v9, v15
.LBB86_85:
	s_or_b32 exec_lo, exec_lo, s13
	s_delay_alu instid0(VALU_DEP_1) | instskip(NEXT) | instid1(VALU_DEP_3)
	v_mov_b32_dpp v14, v7 row_shr:4 row_mask:0xf bank_mask:0xf
	v_mov_b32_dpp v15, v11 row_shr:4 row_mask:0xf bank_mask:0xf
	s_mov_b32 s13, exec_lo
	v_cmpx_lt_u32_e32 3, v10
	;; [unrolled: 20-line block ×3, first 2 shown]
	s_cbranch_execz .LBB86_89
; %bb.88:
	v_and_b32_e32 v10, 1, v9
	v_and_b32_e32 v11, 1, v15
	s_delay_alu instid0(VALU_DEP_2) | instskip(NEXT) | instid1(VALU_DEP_1)
	v_cmp_eq_u32_e64 s11, 1, v10
	v_cndmask_b32_e64 v10, v11, 1, s11
	v_cmp_eq_u16_e64 s11, 0, v9
	s_delay_alu instid0(VALU_DEP_2) | instskip(NEXT) | instid1(VALU_DEP_1)
	v_and_b32_e32 v11, 0xffff, v10
	v_dual_cndmask_b32 v9, 0, v14, s11 :: v_dual_bitop2_b32 v11, v6, v11 bitop3:0x54
	s_delay_alu instid0(VALU_DEP_1)
	v_dual_add_nc_u32 v7, v9, v7 :: v_dual_mov_b32 v9, v10
.LBB86_89:
	s_or_b32 exec_lo, exec_lo, s13
	ds_swizzle_b32 v10, v11 offset:swizzle(BROADCAST,32,15)
	ds_swizzle_b32 v11, v7 offset:swizzle(BROADCAST,32,15)
	v_and_b32_e32 v14, 1, v9
	v_bfe_i32 v43, v8, 4, 1
	v_and_b32_e32 v3, 0xff, v3
	; wave barrier
	s_delay_alu instid0(VALU_DEP_3) | instskip(SKIP_2) | instid1(VALU_DEP_1)
	v_cmp_eq_u32_e64 s11, 1, v14
	s_wait_dscnt 0x1
	v_dual_add_nc_u32 v14, -1, v8 :: v_dual_bitop2_b32 v10, 1, v10 bitop3:0x40
	v_cndmask_b32_e64 v10, v10, 1, s11
	v_and_b32_e32 v15, 16, v8
	v_cmp_eq_u16_e64 s11, 0, v9
	s_wait_dscnt 0x0
	s_delay_alu instid0(VALU_DEP_1) | instskip(NEXT) | instid1(VALU_DEP_3)
	v_cndmask_b32_e64 v11, 0, v11, s11
	v_cmp_eq_u32_e64 s11, 0, v15
	s_delay_alu instid0(VALU_DEP_1) | instskip(SKIP_1) | instid1(VALU_DEP_4)
	v_cndmask_b32_e64 v9, v10, v9, s11
	v_cmp_gt_i32_e64 s11, 0, v14
	v_and_b32_e32 v10, v43, v11
	s_delay_alu instid0(VALU_DEP_3) | instskip(NEXT) | instid1(VALU_DEP_3)
	v_and_b32_e32 v9, 0xffff, v9
	v_cndmask_b32_e64 v8, v14, v8, s11
	s_delay_alu instid0(VALU_DEP_3) | instskip(SKIP_1) | instid1(VALU_DEP_3)
	v_add_nc_u32_e32 v7, v10, v7
	v_cmp_eq_u16_e64 s11, 0, v3
	v_lshlrev_b32_e32 v8, 2, v8
	ds_bpermute_b32 v7, v8, v7
	s_wait_dscnt 0x0
	v_dual_cndmask_b32 v3, 0, v7, s11 :: v_dual_bitop2_b32 v6, v6, v9 bitop3:0x54
	ds_bpermute_b32 v6, v8, v6
	v_cmp_eq_u32_e64 s11, 1, v5
	v_add_nc_u32_e32 v2, v3, v2
	s_wait_dscnt 0x0
	v_and_b32_e32 v6, 1, v6
	s_delay_alu instid0(VALU_DEP_1) | instskip(SKIP_1) | instid1(VALU_DEP_1)
	v_cndmask_b32_e64 v3, v6, 1, s11
	v_cmp_eq_u32_e64 s11, 0, v0
	v_dual_cndmask_b32 v8, v3, v13, s11 :: v_dual_cndmask_b32 v5, v2, v12, s11
	ds_store_b32 v4, v5
	ds_store_b8 v4, v8 offset:4
	; wave barrier
	ds_load_u8 v9, v4 offset:12
	ds_load_2addr_b32 v[2:3], v4 offset0:2 offset1:4
	ds_load_u8 v10, v4 offset:20
	ds_load_u8 v11, v4 offset:28
	;; [unrolled: 1-line block ×5, first 2 shown]
	ds_load_b32 v44, v4 offset:56
	ds_load_u8 v45, v4 offset:60
	ds_load_2addr_b32 v[6:7], v4 offset0:6 offset1:8
	s_wait_dscnt 0x9
	v_cmp_eq_u16_e64 s11, 0, v9
	v_and_b32_e32 v9, 1, v9
	s_delay_alu instid0(VALU_DEP_2) | instskip(SKIP_2) | instid1(VALU_DEP_2)
	v_cndmask_b32_e64 v5, 0, v5, s11
	s_wait_dscnt 0x7
	v_cmp_eq_u16_e64 s11, 0, v10
	v_add_nc_u32_e32 v5, v5, v2
	s_delay_alu instid0(VALU_DEP_1) | instskip(SKIP_2) | instid1(VALU_DEP_2)
	v_cndmask_b32_e64 v2, 0, v5, s11
	s_wait_dscnt 0x6
	v_cmp_eq_u16_e64 s11, 0, v11
	v_add_nc_u32_e32 v46, v2, v3
	ds_load_2addr_b32 v[2:3], v4 offset0:10 offset1:12
	v_cndmask_b32_e64 v47, 0, v46, s11
	s_wait_dscnt 0x6
	v_cmp_eq_u16_e64 s11, 0, v14
	ds_store_2addr_b32 v4, v5, v46 offset0:2 offset1:4
	s_wait_dscnt 0x2
	v_add_nc_u32_e32 v6, v47, v6
	s_delay_alu instid0(VALU_DEP_1) | instskip(SKIP_3) | instid1(VALU_DEP_4)
	v_cndmask_b32_e64 v47, 0, v6, s11
	v_and_b32_e32 v10, 1, v10
	v_cmp_eq_u32_e64 s11, 1, v9
	v_and_b32_e32 v9, 1, v11
	v_dual_add_nc_u32 v7, v47, v7 :: v_dual_bitop2_b32 v11, 1, v14 bitop3:0x40
	s_delay_alu instid0(VALU_DEP_3) | instskip(SKIP_1) | instid1(VALU_DEP_1)
	v_cndmask_b32_e64 v8, v8, 1, s11
	v_cmp_eq_u32_e64 s11, 1, v10
	v_cndmask_b32_e64 v10, v8, 1, s11
	v_cmp_eq_u16_e64 s11, 0, v15
	s_delay_alu instid0(VALU_DEP_1) | instskip(SKIP_2) | instid1(VALU_DEP_2)
	v_cndmask_b32_e64 v14, 0, v7, s11
	v_cmp_eq_u32_e64 s11, 1, v9
	s_wait_dscnt 0x1
	v_dual_add_nc_u32 v2, v14, v2 :: v_dual_bitop2_b32 v15, 1, v15 bitop3:0x40
	s_delay_alu instid0(VALU_DEP_2) | instskip(SKIP_1) | instid1(VALU_DEP_1)
	v_cndmask_b32_e64 v9, v10, 1, s11
	v_cmp_eq_u32_e64 s11, 1, v11
	v_cndmask_b32_e64 v11, v9, 1, s11
	v_cmp_eq_u16_e64 s11, 0, v43
	s_delay_alu instid0(VALU_DEP_1) | instskip(SKIP_1) | instid1(VALU_DEP_2)
	v_dual_cndmask_b32 v43, 0, v2, s11 :: v_dual_bitop2_b32 v14, 1, v43 bitop3:0x40
	v_cmp_eq_u32_e64 s11, 1, v15
	v_add_nc_u32_e32 v3, v43, v3
	s_delay_alu instid0(VALU_DEP_2) | instskip(NEXT) | instid1(VALU_DEP_4)
	v_cndmask_b32_e64 v15, v11, 1, s11
	v_cmp_eq_u32_e64 s11, 1, v14
	ds_store_2addr_b32 v4, v6, v7 offset0:6 offset1:8
	ds_store_2addr_b32 v4, v2, v3 offset0:10 offset1:12
	v_cndmask_b32_e64 v14, v15, 1, s11
	v_cmp_eq_u16_e64 s11, 0, v45
	s_delay_alu instid0(VALU_DEP_1) | instskip(NEXT) | instid1(VALU_DEP_1)
	v_dual_cndmask_b32 v5, 0, v3, s11 :: v_dual_bitop2_b32 v47, 1, v45 bitop3:0x40
	v_cmp_eq_u32_e64 s11, 1, v47
	s_delay_alu instid0(VALU_DEP_2) | instskip(NEXT) | instid1(VALU_DEP_2)
	v_add_nc_u32_e32 v2, v5, v44
	v_cndmask_b32_e64 v43, v14, 1, s11
	ds_store_b8 v4, v8 offset:12
	ds_store_b8 v4, v10 offset:20
	;; [unrolled: 1-line block ×6, first 2 shown]
	ds_store_b32 v4, v2 offset:56
	ds_store_b8 v4, v43 offset:60
.LBB86_90:
	s_or_b32 exec_lo, exec_lo, s12
	v_cmp_eq_u32_e64 s11, 0, v0
	s_mov_b32 s13, exec_lo
	s_wait_dscnt 0x0
	s_barrier_signal -1
	s_barrier_wait -1
	v_cmpx_ne_u32_e32 0, v0
	s_cbranch_execz .LBB86_92
; %bb.91:
	v_add_nc_u32_e32 v2, -1, v0
	s_delay_alu instid0(VALU_DEP_1) | instskip(NEXT) | instid1(VALU_DEP_1)
	v_lshrrev_b32_e32 v3, 2, v2
	v_and_b32_e32 v3, 0x3ffffff8, v3
	s_delay_alu instid0(VALU_DEP_1)
	v_lshl_add_u32 v2, v2, 3, v3
	ds_load_b32 v12, v2
	ds_load_u8 v13, v2 offset:4
.LBB86_92:
	s_or_b32 exec_lo, exec_lo, s13
	s_and_saveexec_b32 s20, vcc_lo
	s_cbranch_execz .LBB86_152
; %bb.93:
	v_mov_b32_e32 v5, 0
	v_mbcnt_lo_u32_b32 v14, -1, 0
	s_mov_b32 s15, 0
	ds_load_b64 v[2:3], v5 offset:2096
	v_cmp_eq_u32_e64 s12, 0, v14
	s_and_saveexec_b32 s13, s12
	s_cbranch_execz .LBB86_95
; %bb.94:
	s_add_co_i32 s14, s24, 32
	v_mov_b32_e32 v4, 1
	s_lshl_b64 s[14:15], s[14:15], 4
	s_delay_alu instid0(SALU_CYCLE_1) | instskip(NEXT) | instid1(SALU_CYCLE_1)
	s_add_nc_u64 s[14:15], s[28:29], s[14:15]
	v_mov_b64_e32 v[6:7], s[14:15]
	s_wait_dscnt 0x0
	;;#ASMSTART
	global_store_b128 v[6:7], v[2:5] off scope:SCOPE_DEV	
s_wait_storecnt 0x0
	;;#ASMEND
.LBB86_95:
	s_or_b32 exec_lo, exec_lo, s13
	v_xad_u32 v8, v14, -1, s24
	s_mov_b32 s13, exec_lo
	s_delay_alu instid0(VALU_DEP_1) | instskip(NEXT) | instid1(VALU_DEP_1)
	v_add_nc_u32_e32 v4, 32, v8
	v_lshl_add_u64 v[10:11], v[4:5], 4, s[28:29]
	;;#ASMSTART
	global_load_b128 v[4:7], v[10:11] off scope:SCOPE_DEV	
s_wait_loadcnt 0x0
	;;#ASMEND
	v_and_b32_e32 v7, 0xff, v6
	v_and_b32_e32 v5, 0xff, v5
	s_delay_alu instid0(VALU_DEP_2)
	v_cmpx_eq_u16_e32 0, v7
	s_cbranch_execz .LBB86_99
; %bb.96:
	s_mov_b32 s14, 0
.LBB86_97:                              ; =>This Inner Loop Header: Depth=1
	;;#ASMSTART
	global_load_b128 v[4:7], v[10:11] off scope:SCOPE_DEV	
s_wait_loadcnt 0x0
	;;#ASMEND
	v_and_b32_e32 v7, 0xff, v6
	s_delay_alu instid0(VALU_DEP_1) | instskip(SKIP_1) | instid1(SALU_CYCLE_1)
	v_cmp_ne_u16_e32 vcc_lo, 0, v7
	s_or_b32 s14, vcc_lo, s14
	s_and_not1_b32 exec_lo, exec_lo, s14
	s_cbranch_execnz .LBB86_97
; %bb.98:
	s_or_b32 exec_lo, exec_lo, s14
	v_and_b32_e32 v5, 0xff, v5
.LBB86_99:
	s_or_b32 exec_lo, exec_lo, s13
	v_cmp_ne_u32_e32 vcc_lo, 31, v14
	v_and_b32_e32 v9, 0xff, v6
	v_lshlrev_b32_e64 v43, v14, -1
	s_mov_b64 s[14:15], 0x100000000
	v_lshl_or_b32 v52, v14, 2, 64
	v_add_co_ci_u32_e64 v7, null, 0, v14, vcc_lo
	v_cmp_eq_u16_e32 vcc_lo, 2, v9
	v_cmp_gt_u64_e64 s13, s[14:15], v[4:5]
	s_delay_alu instid0(VALU_DEP_3) | instskip(SKIP_1) | instid1(VALU_DEP_2)
	v_dual_lshlrev_b32 v15, 2, v7 :: v_dual_bitop2_b32 v10, 1, v5 bitop3:0x40
	v_and_or_b32 v9, vcc_lo, v43, 0x80000000
	v_cmp_eq_u32_e32 vcc_lo, 1, v10
	ds_bpermute_b32 v7, v15, v5
	ds_bpermute_b32 v10, v15, v4
	v_ctz_i32_b32_e32 v9, v9
	s_wait_dscnt 0x1
	v_and_b32_e32 v7, 1, v7
	s_delay_alu instid0(VALU_DEP_1) | instskip(SKIP_1) | instid1(VALU_DEP_2)
	v_cndmask_b32_e64 v7, v7, 1, vcc_lo
	v_cmp_gt_u32_e32 vcc_lo, 30, v14
	v_and_b32_e32 v45, 0xffff, v7
	v_cndmask_b32_e64 v11, 0, 2, vcc_lo
	v_cmp_lt_u32_e32 vcc_lo, v14, v9
	s_delay_alu instid0(VALU_DEP_2) | instskip(NEXT) | instid1(VALU_DEP_4)
	v_add_lshl_u32 v44, v11, v14, 2
	v_dual_cndmask_b32 v11, v5, v45, vcc_lo :: v_dual_cndmask_b32 v7, v5, v7, vcc_lo
	s_and_b32 vcc_lo, vcc_lo, s13
	v_add_nc_u32_e32 v45, 2, v14
	s_wait_dscnt 0x0
	v_cndmask_b32_e32 v10, 0, v10, vcc_lo
	ds_bpermute_b32 v5, v44, v11
	v_and_b32_e32 v46, 1, v7
	v_and_b32_e32 v48, 0xff, v7
	v_add_nc_u32_e32 v4, v10, v4
	s_delay_alu instid0(VALU_DEP_3) | instskip(NEXT) | instid1(VALU_DEP_3)
	v_cmp_eq_u32_e32 vcc_lo, 1, v46
	v_cmp_eq_u16_e64 s13, 0, v48
	ds_bpermute_b32 v10, v44, v4
	s_wait_dscnt 0x1
	v_and_b32_e32 v5, 1, v5
	s_delay_alu instid0(VALU_DEP_1) | instskip(SKIP_3) | instid1(VALU_DEP_3)
	v_cndmask_b32_e64 v5, v5, 1, vcc_lo
	v_cmp_gt_u32_e32 vcc_lo, 28, v14
	s_wait_dscnt 0x0
	v_cndmask_b32_e64 v10, 0, v10, s13
	v_and_b32_e32 v47, 0xffff, v5
	v_cndmask_b32_e64 v46, 0, 4, vcc_lo
	v_cmp_gt_u32_e32 vcc_lo, v45, v9
	s_delay_alu instid0(VALU_DEP_2) | instskip(SKIP_3) | instid1(VALU_DEP_2)
	v_add_lshl_u32 v46, v46, v14, 2
	v_cndmask_b32_e32 v5, v5, v7, vcc_lo
	v_cndmask_b32_e64 v10, v10, 0, vcc_lo
	v_dual_cndmask_b32 v7, v47, v11, vcc_lo :: v_dual_add_nc_u32 v47, 4, v14
	v_dual_add_nc_u32 v4, v10, v4 :: v_dual_bitop2_b32 v48, 1, v5 bitop3:0x40
	ds_bpermute_b32 v11, v46, v7
	v_cmp_eq_u32_e32 vcc_lo, 1, v48
	ds_bpermute_b32 v10, v46, v4
	v_and_b32_e32 v48, 0xff, v5
	s_delay_alu instid0(VALU_DEP_1) | instskip(SKIP_1) | instid1(VALU_DEP_1)
	v_cmp_eq_u16_e64 s13, 0, v48
	s_wait_dscnt 0x0
	v_dual_cndmask_b32 v10, 0, v10, s13 :: v_dual_bitop2_b32 v11, 1, v11 bitop3:0x40
	s_delay_alu instid0(VALU_DEP_1) | instskip(SKIP_1) | instid1(VALU_DEP_2)
	v_cndmask_b32_e64 v11, v11, 1, vcc_lo
	v_cmp_gt_u32_e32 vcc_lo, 24, v14
	v_and_b32_e32 v50, 0xffff, v11
	v_cndmask_b32_e64 v49, 0, 8, vcc_lo
	v_cmp_gt_u32_e32 vcc_lo, v47, v9
	s_delay_alu instid0(VALU_DEP_2) | instskip(NEXT) | instid1(VALU_DEP_4)
	v_add_lshl_u32 v48, v49, v14, 2
	v_dual_cndmask_b32 v5, v11, v5, vcc_lo :: v_dual_cndmask_b32 v7, v50, v7, vcc_lo
	v_cndmask_b32_e64 v10, v10, 0, vcc_lo
	s_delay_alu instid0(VALU_DEP_2)
	v_dual_add_nc_u32 v49, 8, v14 :: v_dual_bitop2_b32 v50, 1, v5 bitop3:0x40
	ds_bpermute_b32 v11, v48, v7
	v_add_nc_u32_e32 v4, v10, v4
	v_and_b32_e32 v51, 0xff, v5
	v_cmp_eq_u32_e32 vcc_lo, 1, v50
	ds_bpermute_b32 v10, v48, v4
	s_wait_dscnt 0x1
	v_and_b32_e32 v11, 1, v11
	s_delay_alu instid0(VALU_DEP_1) | instskip(SKIP_1) | instid1(VALU_DEP_2)
	v_cndmask_b32_e64 v11, v11, 1, vcc_lo
	v_cmp_eq_u16_e32 vcc_lo, 0, v51
	v_and_b32_e32 v50, 0xffff, v11
	s_wait_dscnt 0x0
	v_cndmask_b32_e32 v10, 0, v10, vcc_lo
	v_cmp_gt_u32_e32 vcc_lo, v49, v9
	s_delay_alu instid0(VALU_DEP_3) | instskip(NEXT) | instid1(VALU_DEP_3)
	v_dual_cndmask_b32 v5, v11, v5, vcc_lo :: v_dual_cndmask_b32 v7, v50, v7, vcc_lo
	v_cndmask_b32_e64 v10, v10, 0, vcc_lo
	s_delay_alu instid0(VALU_DEP_2) | instskip(SKIP_3) | instid1(VALU_DEP_1)
	v_and_b32_e32 v50, 1, v5
	ds_bpermute_b32 v7, v52, v7
	v_add_nc_u32_e32 v4, v10, v4
	v_and_b32_e32 v11, 0xff, v5
	v_cmp_eq_u16_e32 vcc_lo, 0, v11
	s_wait_dscnt 0x0
	v_and_b32_e32 v7, 1, v7
	ds_bpermute_b32 v10, v52, v4
	s_wait_dscnt 0x0
	v_cndmask_b32_e32 v10, 0, v10, vcc_lo
	v_cmp_eq_u32_e32 vcc_lo, 1, v50
	v_cndmask_b32_e64 v7, v7, 1, vcc_lo
	v_add_nc_u32_e32 v53, 16, v14
	s_delay_alu instid0(VALU_DEP_1) | instskip(NEXT) | instid1(VALU_DEP_3)
	v_cmp_gt_u32_e32 vcc_lo, v53, v9
	v_dual_mov_b32 v9, 0 :: v_dual_cndmask_b32 v5, v7, v5, vcc_lo
	v_cndmask_b32_e64 v7, v10, 0, vcc_lo
	s_delay_alu instid0(VALU_DEP_1)
	v_add_nc_u32_e32 v4, v7, v4
	s_branch .LBB86_103
.LBB86_100:                             ;   in Loop: Header=BB86_103 Depth=1
	s_or_b32 exec_lo, exec_lo, s21
	v_and_b32_e32 v5, 0xff, v5
.LBB86_101:                             ;   in Loop: Header=BB86_103 Depth=1
	s_or_b32 exec_lo, exec_lo, s13
	ds_bpermute_b32 v7, v15, v5
	v_and_b32_e32 v10, 0xff, v6
	v_cmp_gt_u64_e64 s13, s[14:15], v[4:5]
	v_subrev_nc_u32_e32 v8, 32, v8
	s_delay_alu instid0(VALU_DEP_3) | instskip(SKIP_2) | instid1(VALU_DEP_2)
	v_cmp_eq_u16_e32 vcc_lo, 2, v10
	v_and_b32_e32 v10, 1, v5
	v_and_or_b32 v11, vcc_lo, v43, 0x80000000
	v_cmp_eq_u32_e32 vcc_lo, 1, v10
	s_delay_alu instid0(VALU_DEP_2) | instskip(SKIP_3) | instid1(VALU_DEP_1)
	v_ctz_i32_b32_e32 v10, v11
	ds_bpermute_b32 v11, v15, v4
	s_wait_dscnt 0x1
	v_and_b32_e32 v7, 1, v7
	v_cndmask_b32_e64 v7, v7, 1, vcc_lo
	v_cmp_lt_u32_e32 vcc_lo, v14, v10
	s_delay_alu instid0(VALU_DEP_2) | instskip(NEXT) | instid1(VALU_DEP_1)
	v_and_b32_e32 v54, 0xffff, v7
	v_dual_cndmask_b32 v7, v5, v7 :: v_dual_cndmask_b32 v54, v5, v54
	s_and_b32 vcc_lo, vcc_lo, s13
	s_delay_alu instid0(VALU_DEP_1)
	v_and_b32_e32 v56, 0xff, v7
	v_and_b32_e32 v55, 1, v7
	ds_bpermute_b32 v5, v44, v54
	s_wait_dscnt 0x1
	v_cndmask_b32_e32 v11, 0, v11, vcc_lo
	v_cmp_eq_u16_e64 s13, 0, v56
	v_cmp_eq_u32_e32 vcc_lo, 1, v55
	s_wait_dscnt 0x0
	s_delay_alu instid0(VALU_DEP_3) | instskip(NEXT) | instid1(VALU_DEP_1)
	v_dual_add_nc_u32 v4, v11, v4 :: v_dual_bitop2_b32 v5, 1, v5 bitop3:0x40
	v_cndmask_b32_e64 v5, v5, 1, vcc_lo
	ds_bpermute_b32 v11, v44, v4
	v_cmp_gt_u32_e32 vcc_lo, v45, v10
	v_and_b32_e32 v55, 0xffff, v5
	s_delay_alu instid0(VALU_DEP_1) | instskip(NEXT) | instid1(VALU_DEP_1)
	v_dual_cndmask_b32 v5, v5, v7, vcc_lo :: v_dual_cndmask_b32 v7, v55, v54, vcc_lo
	v_and_b32_e32 v55, 1, v5
	ds_bpermute_b32 v54, v46, v7
	s_wait_dscnt 0x1
	v_cndmask_b32_e64 v11, 0, v11, s13
	s_delay_alu instid0(VALU_DEP_1) | instskip(SKIP_2) | instid1(VALU_DEP_3)
	v_cndmask_b32_e64 v11, v11, 0, vcc_lo
	v_cmp_eq_u32_e32 vcc_lo, 1, v55
	v_and_b32_e32 v55, 0xff, v5
	v_add_nc_u32_e32 v4, v11, v4
	s_delay_alu instid0(VALU_DEP_2)
	v_cmp_eq_u16_e64 s13, 0, v55
	s_wait_dscnt 0x0
	v_and_b32_e32 v54, 1, v54
	ds_bpermute_b32 v11, v46, v4
	v_cndmask_b32_e64 v54, v54, 1, vcc_lo
	v_cmp_gt_u32_e32 vcc_lo, v47, v10
	s_delay_alu instid0(VALU_DEP_2) | instskip(SKIP_3) | instid1(VALU_DEP_1)
	v_and_b32_e32 v56, 0xffff, v54
	s_wait_dscnt 0x0
	v_dual_cndmask_b32 v5, v54, v5, vcc_lo :: v_dual_cndmask_b32 v11, 0, v11, s13
	s_mov_b32 s13, 0
	v_cndmask_b32_e64 v11, v11, 0, vcc_lo
	v_cndmask_b32_e32 v7, v56, v7, vcc_lo
	s_delay_alu instid0(VALU_DEP_3) | instskip(NEXT) | instid1(VALU_DEP_3)
	v_and_b32_e32 v56, 0xff, v5
	v_add_nc_u32_e32 v4, v11, v4
	ds_bpermute_b32 v54, v48, v7
	ds_bpermute_b32 v11, v48, v4
	v_and_b32_e32 v55, 1, v5
	s_delay_alu instid0(VALU_DEP_1) | instskip(SKIP_2) | instid1(VALU_DEP_1)
	v_cmp_eq_u32_e32 vcc_lo, 1, v55
	s_wait_dscnt 0x1
	v_and_b32_e32 v54, 1, v54
	v_cndmask_b32_e64 v54, v54, 1, vcc_lo
	v_cmp_eq_u16_e32 vcc_lo, 0, v56
	s_delay_alu instid0(VALU_DEP_2) | instskip(SKIP_3) | instid1(VALU_DEP_2)
	v_and_b32_e32 v55, 0xffff, v54
	s_wait_dscnt 0x0
	v_cndmask_b32_e32 v11, 0, v11, vcc_lo
	v_cmp_gt_u32_e32 vcc_lo, v49, v10
	v_cndmask_b32_e64 v11, v11, 0, vcc_lo
	v_dual_cndmask_b32 v7, v55, v7, vcc_lo :: v_dual_cndmask_b32 v5, v54, v5, vcc_lo
	s_delay_alu instid0(VALU_DEP_2) | instskip(SKIP_4) | instid1(VALU_DEP_1)
	v_add_nc_u32_e32 v4, v11, v4
	ds_bpermute_b32 v7, v52, v7
	v_and_b32_e32 v55, 0xff, v5
	ds_bpermute_b32 v11, v52, v4
	v_and_b32_e32 v54, 1, v5
	v_cmp_eq_u32_e32 vcc_lo, 1, v54
	s_wait_dscnt 0x1
	v_cndmask_b32_e64 v7, v7, 1, vcc_lo
	v_cmp_eq_u16_e32 vcc_lo, 0, v55
	s_wait_dscnt 0x0
	v_cndmask_b32_e32 v11, 0, v11, vcc_lo
	v_cmp_gt_u32_e32 vcc_lo, v53, v10
	v_and_b32_e32 v10, 0xff, v50
	v_cndmask_b32_e32 v5, v7, v5, vcc_lo
	s_delay_alu instid0(VALU_DEP_4) | instskip(NEXT) | instid1(VALU_DEP_3)
	v_cndmask_b32_e64 v7, v11, 0, vcc_lo
	v_cmp_eq_u16_e32 vcc_lo, 0, v10
	s_delay_alu instid0(VALU_DEP_2) | instskip(NEXT) | instid1(VALU_DEP_1)
	v_dual_add_nc_u32 v4, v7, v4 :: v_dual_bitop2_b32 v7, 1, v50 bitop3:0x40
	v_dual_cndmask_b32 v4, 0, v4, vcc_lo :: v_dual_bitop2_b32 v5, 1, v5 bitop3:0x40
	s_delay_alu instid0(VALU_DEP_2) | instskip(NEXT) | instid1(VALU_DEP_2)
	v_cmp_eq_u32_e32 vcc_lo, 1, v7
	v_add_nc_u32_e32 v4, v4, v51
	s_delay_alu instid0(VALU_DEP_3)
	v_cndmask_b32_e64 v5, v5, 1, vcc_lo
.LBB86_102:                             ;   in Loop: Header=BB86_103 Depth=1
	s_and_b32 vcc_lo, exec_lo, s13
	s_cbranch_vccnz .LBB86_148
.LBB86_103:                             ; =>This Loop Header: Depth=1
                                        ;     Child Loop BB86_106 Depth 2
	v_and_b32_e32 v6, 0xff, v6
	s_delay_alu instid0(VALU_DEP_2) | instskip(SKIP_1) | instid1(VALU_DEP_2)
	v_dual_mov_b32 v50, v5 :: v_dual_mov_b32 v51, v4
	s_mov_b32 s13, -1
                                        ; implicit-def: $vgpr5
                                        ; implicit-def: $vgpr4
	v_cmp_ne_u16_e32 vcc_lo, 2, v6
                                        ; implicit-def: $vgpr6
	s_cmp_lg_u32 vcc_lo, exec_lo
	s_cbranch_scc1 .LBB86_102
; %bb.104:                              ;   in Loop: Header=BB86_103 Depth=1
	v_lshl_add_u64 v[10:11], v[8:9], 4, s[28:29]
	;;#ASMSTART
	global_load_b128 v[4:7], v[10:11] off scope:SCOPE_DEV	
s_wait_loadcnt 0x0
	;;#ASMEND
	v_and_b32_e32 v7, 0xff, v6
	v_and_b32_e32 v5, 0xff, v5
	s_mov_b32 s13, exec_lo
	s_delay_alu instid0(VALU_DEP_2)
	v_cmpx_eq_u16_e32 0, v7
	s_cbranch_execz .LBB86_101
; %bb.105:                              ;   in Loop: Header=BB86_103 Depth=1
	s_mov_b32 s21, 0
.LBB86_106:                             ;   Parent Loop BB86_103 Depth=1
                                        ; =>  This Inner Loop Header: Depth=2
	;;#ASMSTART
	global_load_b128 v[4:7], v[10:11] off scope:SCOPE_DEV	
s_wait_loadcnt 0x0
	;;#ASMEND
	v_and_b32_e32 v7, 0xff, v6
	s_delay_alu instid0(VALU_DEP_1) | instskip(SKIP_1) | instid1(SALU_CYCLE_1)
	v_cmp_ne_u16_e32 vcc_lo, 0, v7
	s_or_b32 s21, vcc_lo, s21
	s_and_not1_b32 exec_lo, exec_lo, s21
	s_cbranch_execnz .LBB86_106
	s_branch .LBB86_100
.LBB86_107:
                                        ; implicit-def: $vgpr13
                                        ; implicit-def: $vgpr5
                                        ; implicit-def: $vgpr9
                                        ; implicit-def: $vgpr14_vgpr15
	s_cbranch_execnz .LBB86_153
.LBB86_108:
	s_add_nc_u64 s[0:1], s[18:19], s[34:35]
	s_and_b32 vcc_lo, exec_lo, s25
	s_add_nc_u64 s[0:1], s[0:1], s[16:17]
	s_cbranch_vccz .LBB86_170
.LBB86_109:
	v_mul_u32_u24_e32 v1, 12, v0
	s_add_co_i32 s31, s31, s30
	s_mov_b32 s2, exec_lo
	s_delay_alu instid0(VALU_DEP_1)
	v_cmpx_gt_u32_e64 s31, v1
	s_cbranch_execz .LBB86_125
; %bb.110:
	v_or_b32_e32 v17, 1, v1
	s_mov_b32 s3, exec_lo
	s_delay_alu instid0(VALU_DEP_1)
	v_cmpx_gt_u32_e64 s31, v17
	s_cbranch_execz .LBB86_124
; %bb.111:
	v_or_b32_e32 v17, 2, v1
	;; [unrolled: 6-line block ×3, first 2 shown]
	s_mov_b32 s5, exec_lo
	s_delay_alu instid0(VALU_DEP_1)
	v_cmpx_gt_u32_e64 s31, v17
	s_cbranch_execz .LBB86_122
; %bb.113:
	v_add_nc_u32_e32 v17, 4, v1
	s_mov_b32 s6, exec_lo
	s_delay_alu instid0(VALU_DEP_1)
	v_cmpx_gt_u32_e64 s31, v17
	s_cbranch_execz .LBB86_121
; %bb.114:
	v_add_nc_u32_e32 v17, 5, v1
	;; [unrolled: 6-line block ×4, first 2 shown]
	s_mov_b32 s9, exec_lo
	s_delay_alu instid0(VALU_DEP_1)
	v_cmpx_gt_u32_e64 s31, v17
; %bb.117:
	v_add_nc_u32_e32 v17, 8, v1
	s_mov_b32 s10, exec_lo
	s_delay_alu instid0(VALU_DEP_1)
	v_cmpx_gt_u32_e64 s31, v17
	s_or_b32 exec_lo, exec_lo, s10
; %bb.118:
	s_delay_alu instid0(SALU_CYCLE_1)
	s_or_b32 exec_lo, exec_lo, s9
.LBB86_119:
	s_delay_alu instid0(SALU_CYCLE_1)
	s_or_b32 exec_lo, exec_lo, s8
.LBB86_120:
	s_delay_alu instid0(SALU_CYCLE_1)
	s_or_b32 exec_lo, exec_lo, s7
.LBB86_121:
	s_delay_alu instid0(SALU_CYCLE_1)
	s_or_b32 exec_lo, exec_lo, s6
.LBB86_122:
	s_delay_alu instid0(SALU_CYCLE_1)
	s_or_b32 exec_lo, exec_lo, s5
.LBB86_123:
	s_delay_alu instid0(SALU_CYCLE_1)
	s_or_b32 exec_lo, exec_lo, s4
.LBB86_124:
	s_delay_alu instid0(SALU_CYCLE_1)
	s_or_b32 exec_lo, exec_lo, s3
.LBB86_125:
	s_delay_alu instid0(SALU_CYCLE_1)
	s_or_b32 exec_lo, exec_lo, s2
	v_dual_lshlrev_b32 v1, 2, v1 :: v_dual_mov_b32 v17, 0
	s_barrier_signal -1
	s_barrier_wait -1
	ds_store_b128 v1, v[6:9]
	ds_store_b128 v1, v[2:5] offset:16
	ds_store_b128 v1, v[10:13] offset:32
	v_mad_i32_i24 v6, 0xffffffd4, v0, v1
	s_wait_dscnt 0x0
	s_barrier_signal -1
	s_barrier_wait -1
	ds_load_2addr_stride64_b32 v[26:27], v6 offset0:4 offset1:8
	ds_load_2addr_stride64_b32 v[24:25], v6 offset0:12 offset1:16
	;; [unrolled: 1-line block ×5, first 2 shown]
	ds_load_b32 v7, v6 offset:11264
	v_add_nc_u64_e32 v[16:17], s[0:1], v[16:17]
	s_mov_b32 s2, exec_lo
	v_cmpx_gt_u32_e64 s31, v0
	s_cbranch_execz .LBB86_127
; %bb.126:
	v_mul_i32_i24_e32 v6, 0xffffffd4, v0
	s_delay_alu instid0(VALU_DEP_1)
	v_add_nc_u32_e32 v1, v1, v6
	ds_load_b32 v1, v1
	s_wait_dscnt 0x0
	flat_store_b32 v[16:17], v1
.LBB86_127:
	s_wait_xcnt 0x0
	s_or_b32 exec_lo, exec_lo, s2
	v_or_b32_e32 v1, 0x100, v0
	s_mov_b32 s2, exec_lo
	s_delay_alu instid0(VALU_DEP_1)
	v_cmpx_gt_u32_e64 s31, v1
	s_cbranch_execz .LBB86_129
; %bb.128:
	s_wait_dscnt 0x5
	flat_store_b32 v[16:17], v26 offset:1024
.LBB86_129:
	s_wait_xcnt 0x0
	s_or_b32 exec_lo, exec_lo, s2
	v_or_b32_e32 v1, 0x200, v0
	s_mov_b32 s2, exec_lo
	s_delay_alu instid0(VALU_DEP_1)
	v_cmpx_gt_u32_e64 s31, v1
	s_cbranch_execz .LBB86_131
; %bb.130:
	s_wait_dscnt 0x5
	flat_store_b32 v[16:17], v27 offset:2048
.LBB86_131:
	;; [unrolled: 11-line block ×10, first 2 shown]
	s_wait_xcnt 0x0
	s_or_b32 exec_lo, exec_lo, s2
	v_or_b32_e32 v1, 0xb00, v0
	s_delay_alu instid0(VALU_DEP_1)
	v_cmp_gt_u32_e64 s2, s31, v1
	s_branch .LBB86_172
.LBB86_148:
	s_and_saveexec_b32 s13, s12
	s_cbranch_execz .LBB86_150
; %bb.149:
	v_and_b32_e32 v4, 0xff, v3
	s_mov_b32 s15, 0
	s_add_co_i32 s14, s24, 32
	v_and_b32_e32 v5, 1, v50
	s_lshl_b64 s[14:15], s[14:15], 4
	v_cmp_eq_u32_e32 vcc_lo, 0, v4
	s_add_nc_u64 s[14:15], s[28:29], s[14:15]
	s_delay_alu instid0(SALU_CYCLE_1) | instskip(SKIP_1) | instid1(VALU_DEP_1)
	v_mov_b64_e32 v[6:7], s[14:15]
	v_cndmask_b32_e32 v4, 0, v51, vcc_lo
	v_dual_add_nc_u32 v2, v4, v2 :: v_dual_bitop2_b32 v3, 1, v3 bitop3:0x40
	s_delay_alu instid0(VALU_DEP_1)
	v_cmp_eq_u32_e32 vcc_lo, 1, v3
	v_mov_b32_e32 v4, 2
	v_cndmask_b32_e64 v3, v5, 1, vcc_lo
	v_mov_b32_e32 v5, 0
	;;#ASMSTART
	global_store_b128 v[6:7], v[2:5] off scope:SCOPE_DEV	
s_wait_storecnt 0x0
	;;#ASMEND
.LBB86_150:
	s_or_b32 exec_lo, exec_lo, s13
	s_delay_alu instid0(SALU_CYCLE_1)
	s_and_b32 exec_lo, exec_lo, s11
	s_cbranch_execz .LBB86_152
; %bb.151:
	v_mov_b32_e32 v2, 0
	ds_store_b32 v2, v51
	ds_store_b8 v2, v50 offset:4
.LBB86_152:
	s_or_b32 exec_lo, exec_lo, s20
	v_dual_mov_b32 v2, 0 :: v_dual_bitop2_b32 v3, 1, v19 bitop3:0x40
	s_wait_dscnt 0x0
	s_barrier_signal -1
	s_barrier_wait -1
	s_delay_alu instid0(VALU_DEP_1) | instskip(SKIP_4) | instid1(VALU_DEP_2)
	v_cmp_eq_u32_e32 vcc_lo, 1, v3
	ds_load_b32 v2, v2
	s_mov_b64 s[12:13], 0x100000000
	v_cndmask_b32_e64 v3, v13, 1, vcc_lo
	v_cmp_gt_u64_e32 vcc_lo, s[12:13], v[18:19]
	v_dual_cndmask_b32 v3, v3, v19, s11 :: v_dual_cndmask_b32 v4, 0, v12, vcc_lo
	s_delay_alu instid0(VALU_DEP_1) | instskip(NEXT) | instid1(VALU_DEP_2)
	v_and_b32_e32 v3, 0xff, v3
	v_cndmask_b32_e64 v4, v4, 0, s11
	s_delay_alu instid0(VALU_DEP_2) | instskip(SKIP_2) | instid1(VALU_DEP_1)
	v_cmp_eq_u16_e32 vcc_lo, 0, v3
	s_wait_dscnt 0x0
	v_cndmask_b32_e32 v2, 0, v2, vcc_lo
	v_add3_u32 v6, v4, v18, v2
	s_delay_alu instid0(VALU_DEP_1) | instskip(NEXT) | instid1(VALU_DEP_1)
	v_cndmask_b32_e64 v2, 0, v6, s0
	v_add_nc_u32_e32 v7, v2, v38
	s_delay_alu instid0(VALU_DEP_1) | instskip(NEXT) | instid1(VALU_DEP_1)
	v_cndmask_b32_e64 v2, 0, v7, s1
	v_add_nc_u32_e32 v8, v2, v36
	v_mov_b64_e32 v[14:15], v[6:7]
	s_delay_alu instid0(VALU_DEP_2) | instskip(NEXT) | instid1(VALU_DEP_1)
	v_cndmask_b32_e64 v2, 0, v8, s2
	v_add_nc_u32_e32 v9, v2, v34
	s_delay_alu instid0(VALU_DEP_1) | instskip(NEXT) | instid1(VALU_DEP_1)
	v_cndmask_b32_e64 v2, 0, v9, s3
	v_add_nc_u32_e32 v2, v2, v32
	s_delay_alu instid0(VALU_DEP_1) | instskip(NEXT) | instid1(VALU_DEP_1)
	;; [unrolled: 3-line block ×8, first 2 shown]
	v_cndmask_b32_e64 v13, 0, v12, s10
	v_add_nc_u32_e32 v13, v13, v40
	s_branch .LBB86_108
.LBB86_153:
	s_cmp_lg_u64 s[36:37], 0
	v_cmp_eq_u32_e32 vcc_lo, 0, v0
	s_cselect_b32 s1, -1, 0
	s_cmp_lg_u64 s[22:23], 0
	v_cmp_ne_u32_e64 s0, 0, v0
	s_cselect_b32 s2, -1, 0
	s_delay_alu instid0(SALU_CYCLE_1) | instskip(NEXT) | instid1(SALU_CYCLE_1)
	s_and_b32 s1, s1, s2
	s_and_b32 s1, vcc_lo, s1
	s_delay_alu instid0(SALU_CYCLE_1)
	s_and_saveexec_b32 s2, s1
	s_cbranch_execz .LBB86_155
; %bb.154:
	s_mov_b64 s[4:5], 0x100000000
	s_delay_alu instid0(SALU_CYCLE_1)
	v_cmp_gt_u64_e64 s1, s[4:5], v[18:19]
	v_mov_b32_e32 v2, 0
	s_clause 0x1
	global_load_b32 v3, v2, s[22:23]
	global_load_u8 v4, v2, s[22:23] offset:4
	s_wait_loadcnt 0x1
	v_cndmask_b32_e64 v5, 0, v3, s1
	v_and_b32_e32 v3, 1, v19
	s_wait_loadcnt 0x0
	s_delay_alu instid0(VALU_DEP_2) | instskip(NEXT) | instid1(VALU_DEP_2)
	v_dual_add_nc_u32 v18, v5, v18 :: v_dual_bitop2_b32 v4, 1, v4 bitop3:0x40
	v_cmp_eq_u64_e64 s1, 0, v[2:3]
	s_delay_alu instid0(VALU_DEP_1)
	v_cndmask_b32_e64 v19, 1, v4, s1
.LBB86_155:
	s_or_b32 exec_lo, exec_lo, s2
	s_mov_b64 s[12:13], 0x100000000
	v_or3_b32 v12, v42, v29, v31
	v_cmp_gt_u64_e64 s1, s[12:13], v[38:39]
	v_cmp_gt_u64_e64 s6, s[12:13], v[28:29]
	;; [unrolled: 1-line block ×7, first 2 shown]
	v_cndmask_b32_e64 v2, 0, v18, s1
	v_cmp_gt_u64_e64 s8, s[12:13], v[24:25]
	v_cmp_gt_u64_e64 s10, s[12:13], v[20:21]
	;; [unrolled: 1-line block ×3, first 2 shown]
	v_dual_mov_b32 v14, 0 :: v_dual_bitop2_b32 v1, 56, v1 bitop3:0x40
	v_add_nc_u32_e32 v7, v2, v38
	v_cmp_gt_u64_e64 s11, s[12:13], v[40:41]
	s_mov_b32 s13, exec_lo
	v_lshl_add_u32 v1, v0, 3, v1
	v_cndmask_b32_e64 v2, 0, v7, s2
	s_delay_alu instid0(VALU_DEP_1) | instskip(NEXT) | instid1(VALU_DEP_1)
	v_add_nc_u32_e32 v8, v2, v36
	v_cndmask_b32_e64 v2, 0, v8, s3
	s_delay_alu instid0(VALU_DEP_1) | instskip(NEXT) | instid1(VALU_DEP_1)
	v_add_nc_u32_e32 v9, v2, v34
	;; [unrolled: 3-line block ×7, first 2 shown]
	v_cndmask_b32_e64 v6, 0, v10, s9
	s_delay_alu instid0(VALU_DEP_1) | instskip(SKIP_1) | instid1(VALU_DEP_2)
	v_add_nc_u32_e32 v11, v6, v22
	v_or3_b32 v6, v12, v33, v35
	v_cndmask_b32_e64 v12, 0, v11, s10
	s_delay_alu instid0(VALU_DEP_2) | instskip(NEXT) | instid1(VALU_DEP_2)
	v_or3_b32 v6, v6, v37, v39
	v_add_nc_u32_e32 v12, v12, v20
	s_delay_alu instid0(VALU_DEP_2) | instskip(NEXT) | instid1(VALU_DEP_1)
	v_or3_b32 v6, v41, v17, v6
	v_and_b32_e32 v15, 0xff, v6
	s_delay_alu instid0(VALU_DEP_1) | instskip(NEXT) | instid1(VALU_DEP_1)
	v_cmp_eq_u64_e64 s12, 0, v[14:15]
	v_dual_cndmask_b32 v13, 0, v12, s11 :: v_dual_cndmask_b32 v6, 1, v19, s12
	s_delay_alu instid0(VALU_DEP_1)
	v_add_nc_u32_e32 v13, v13, v40
	ds_store_b32 v1, v13
	ds_store_b8 v1, v6 offset:4
	s_wait_dscnt 0x0
	s_barrier_signal -1
	s_barrier_wait -1
	v_cmpx_gt_u32_e32 32, v0
	s_cbranch_execz .LBB86_165
; %bb.156:
	v_dual_lshlrev_b32 v1, 1, v0 :: v_dual_lshlrev_b32 v14, 6, v0
	s_mov_b32 s14, exec_lo
	s_delay_alu instid0(VALU_DEP_1) | instskip(NEXT) | instid1(VALU_DEP_1)
	v_and_b32_e32 v1, 0x1f8, v1
	v_add_nc_u32_e32 v1, v1, v14
	ds_load_u8 v17, v1 offset:12
	ds_load_b64 v[14:15], v1
	ds_load_2addr_b32 v[42:43], v1 offset0:2 offset1:4
	ds_load_u8 v21, v1 offset:20
	ds_load_u8 v23, v1 offset:28
	;; [unrolled: 1-line block ×5, first 2 shown]
	ds_load_b32 v33, v1 offset:56
	s_wait_dscnt 0x8
	v_cmp_eq_u16_e64 s12, 0, v17
	s_wait_dscnt 0x5
	s_delay_alu instid0(VALU_DEP_1)
	v_dual_cndmask_b32 v31, 0, v14, s12 :: v_dual_bitop2_b32 v17, v21, v17 bitop3:0x54
	ds_load_2addr_b32 v[44:45], v1 offset0:6 offset1:8
	v_cmp_eq_u16_e64 s12, 0, v21
	ds_load_u8 v35, v1 offset:60
	s_wait_dscnt 0x5
	v_bitop3_b16 v17, v17, v25, v23 bitop3:0xfe
	v_add_nc_u32_e32 v31, v31, v42
	s_delay_alu instid0(VALU_DEP_1)
	v_cndmask_b32_e64 v31, 0, v31, s12
	v_cmp_eq_u16_e64 s12, 0, v23
	s_wait_dscnt 0x3
	v_bitop3_b16 v23, v17, v29, v27 bitop3:0xfe
	v_and_b32_e32 v17, 1, v15
	v_add_nc_u32_e32 v31, v31, v43
	ds_load_2addr_b32 v[42:43], v1 offset0:10 offset1:12
	v_cndmask_b32_e64 v31, 0, v31, s12
	v_cmp_eq_u16_e64 s12, 0, v25
	s_wait_dscnt 0x1
	s_delay_alu instid0(VALU_DEP_2) | instskip(NEXT) | instid1(VALU_DEP_1)
	v_dual_add_nc_u32 v31, v31, v44 :: v_dual_bitop2_b32 v25, 1, v35 bitop3:0x40
	v_cndmask_b32_e64 v31, 0, v31, s12
	v_cmp_eq_u16_e64 s12, 0, v27
	s_delay_alu instid0(VALU_DEP_2) | instskip(NEXT) | instid1(VALU_DEP_1)
	v_add_nc_u32_e32 v21, v31, v45
	v_cndmask_b32_e64 v21, 0, v21, s12
	v_cmp_eq_u16_e64 s12, 0, v23
	s_wait_dscnt 0x0
	s_delay_alu instid0(VALU_DEP_1) | instskip(SKIP_1) | instid1(VALU_DEP_1)
	v_dual_add_nc_u32 v21, v21, v42 :: v_dual_cndmask_b32 v23, 1, v17, s12
	v_cmp_eq_u16_e64 s12, 0, v29
	v_cndmask_b32_e64 v21, 0, v21, s12
	v_cmp_eq_u32_e64 s12, 1, v25
	v_mbcnt_lo_u32_b32 v25, -1, 0
	s_delay_alu instid0(VALU_DEP_2) | instskip(SKIP_1) | instid1(VALU_DEP_2)
	v_cndmask_b32_e64 v27, v23, 1, s12
	v_cmp_eq_u16_e64 s12, 0, v35
	v_and_b32_e32 v29, 0xffff, v27
	v_add_nc_u32_e32 v23, v21, v43
	v_and_b32_e32 v21, 0xffffff00, v15
	s_delay_alu instid0(VALU_DEP_1) | instskip(SKIP_1) | instid1(VALU_DEP_2)
	v_dual_cndmask_b32 v23, 0, v23, s12 :: v_dual_bitop2_b32 v31, v21, v29 bitop3:0x54
	v_and_b32_e32 v29, 15, v25
	v_mov_b32_dpp v35, v31 row_shr:1 row_mask:0xf bank_mask:0xf
	s_delay_alu instid0(VALU_DEP_3) | instskip(NEXT) | instid1(VALU_DEP_1)
	v_add_nc_u32_e32 v23, v23, v33
	v_mov_b32_dpp v33, v23 row_shr:1 row_mask:0xf bank_mask:0xf
	s_delay_alu instid0(VALU_DEP_4)
	v_cmpx_ne_u32_e32 0, v29
	s_cbranch_execz .LBB86_158
; %bb.157:
	v_and_b32_e32 v31, 1, v27
	v_and_b32_e32 v35, 1, v35
	s_delay_alu instid0(VALU_DEP_2) | instskip(NEXT) | instid1(VALU_DEP_1)
	v_cmp_eq_u32_e64 s12, 1, v31
	v_cndmask_b32_e64 v35, v35, 1, s12
	v_cmp_eq_u16_e64 s12, 0, v27
	s_delay_alu instid0(VALU_DEP_2) | instskip(NEXT) | instid1(VALU_DEP_1)
	v_and_b32_e32 v31, 0xffff, v35
	v_dual_cndmask_b32 v27, 0, v33, s12 :: v_dual_bitop2_b32 v31, v21, v31 bitop3:0x54
	s_delay_alu instid0(VALU_DEP_1)
	v_add_nc_u32_e32 v23, v27, v23
	v_mov_b32_e32 v27, v35
.LBB86_158:
	s_or_b32 exec_lo, exec_lo, s14
	s_delay_alu instid0(VALU_DEP_2)
	v_mov_b32_dpp v33, v23 row_shr:2 row_mask:0xf bank_mask:0xf
	v_mov_b32_dpp v35, v31 row_shr:2 row_mask:0xf bank_mask:0xf
	s_mov_b32 s14, exec_lo
	v_cmpx_lt_u32_e32 1, v29
	s_cbranch_execz .LBB86_160
; %bb.159:
	v_and_b32_e32 v31, 1, v27
	v_and_b32_e32 v35, 1, v35
	s_delay_alu instid0(VALU_DEP_2) | instskip(NEXT) | instid1(VALU_DEP_1)
	v_cmp_eq_u32_e64 s12, 1, v31
	v_cndmask_b32_e64 v35, v35, 1, s12
	v_cmp_eq_u16_e64 s12, 0, v27
	s_delay_alu instid0(VALU_DEP_2) | instskip(NEXT) | instid1(VALU_DEP_1)
	v_and_b32_e32 v31, 0xffff, v35
	v_dual_cndmask_b32 v27, 0, v33, s12 :: v_dual_bitop2_b32 v31, v21, v31 bitop3:0x54
	s_delay_alu instid0(VALU_DEP_1)
	v_add_nc_u32_e32 v23, v27, v23
	v_mov_b32_e32 v27, v35
.LBB86_160:
	s_or_b32 exec_lo, exec_lo, s14
	s_delay_alu instid0(VALU_DEP_2)
	v_mov_b32_dpp v33, v23 row_shr:4 row_mask:0xf bank_mask:0xf
	v_mov_b32_dpp v35, v31 row_shr:4 row_mask:0xf bank_mask:0xf
	s_mov_b32 s14, exec_lo
	v_cmpx_lt_u32_e32 3, v29
	;; [unrolled: 21-line block ×3, first 2 shown]
	s_cbranch_execz .LBB86_164
; %bb.163:
	v_and_b32_e32 v29, 1, v27
	v_and_b32_e32 v31, 1, v35
	s_delay_alu instid0(VALU_DEP_2) | instskip(NEXT) | instid1(VALU_DEP_1)
	v_cmp_eq_u32_e64 s12, 1, v29
	v_cndmask_b32_e64 v29, v31, 1, s12
	v_cmp_eq_u16_e64 s12, 0, v27
	s_delay_alu instid0(VALU_DEP_2) | instskip(NEXT) | instid1(VALU_DEP_1)
	v_and_b32_e32 v31, 0xffff, v29
	v_dual_cndmask_b32 v27, 0, v33, s12 :: v_dual_bitop2_b32 v31, v21, v31 bitop3:0x54
	s_delay_alu instid0(VALU_DEP_1)
	v_dual_add_nc_u32 v23, v27, v23 :: v_dual_mov_b32 v27, v29
.LBB86_164:
	s_or_b32 exec_lo, exec_lo, s14
	ds_swizzle_b32 v29, v31 offset:swizzle(BROADCAST,32,15)
	ds_swizzle_b32 v31, v23 offset:swizzle(BROADCAST,32,15)
	v_and_b32_e32 v33, 1, v27
	v_and_b32_e32 v35, 16, v25
	v_bfe_i32 v37, v25, 4, 1
	v_and_b32_e32 v15, 0xff, v15
	s_delay_alu instid0(VALU_DEP_4) | instskip(SKIP_3) | instid1(VALU_DEP_1)
	v_cmp_eq_u32_e64 s12, 1, v33
	v_add_nc_u32_e32 v33, -1, v25
	; wave barrier
	s_wait_dscnt 0x1
	v_and_b32_e32 v29, 1, v29
	v_cndmask_b32_e64 v29, v29, 1, s12
	v_cmp_eq_u16_e64 s12, 0, v27
	s_wait_dscnt 0x0
	s_delay_alu instid0(VALU_DEP_1) | instskip(SKIP_1) | instid1(VALU_DEP_1)
	v_cndmask_b32_e64 v31, 0, v31, s12
	v_cmp_eq_u32_e64 s12, 0, v35
	v_cndmask_b32_e64 v27, v29, v27, s12
	v_cmp_gt_i32_e64 s12, 0, v33
	s_delay_alu instid0(VALU_DEP_2) | instskip(NEXT) | instid1(VALU_DEP_2)
	v_and_b32_e32 v27, 0xffff, v27
	v_cndmask_b32_e64 v25, v33, v25, s12
	v_and_b32_e32 v29, v37, v31
	v_cmp_eq_u16_e64 s12, 0, v15
	s_delay_alu instid0(VALU_DEP_3)
	v_dual_lshlrev_b32 v25, 2, v25 :: v_dual_bitop2_b32 v21, v21, v27 bitop3:0x54
	ds_bpermute_b32 v21, v25, v21
	s_wait_dscnt 0x0
	v_dual_add_nc_u32 v23, v29, v23 :: v_dual_bitop2_b32 v21, 1, v21 bitop3:0x40
	ds_bpermute_b32 v23, v25, v23
	s_wait_dscnt 0x0
	v_cndmask_b32_e64 v15, 0, v23, s12
	v_cmp_eq_u32_e64 s12, 1, v17
	s_delay_alu instid0(VALU_DEP_2) | instskip(NEXT) | instid1(VALU_DEP_2)
	v_add_nc_u32_e32 v14, v15, v14
	v_cndmask_b32_e64 v15, v21, 1, s12
	s_delay_alu instid0(VALU_DEP_1)
	v_dual_cndmask_b32 v17, v14, v13 :: v_dual_cndmask_b32 v6, v15, v6
	ds_store_b32 v1, v17
	ds_store_b8 v1, v6 offset:4
	; wave barrier
	ds_load_u8 v21, v1 offset:12
	ds_load_2addr_b32 v[14:15], v1 offset0:2 offset1:4
	ds_load_u8 v23, v1 offset:20
	ds_load_u8 v25, v1 offset:28
	;; [unrolled: 1-line block ×5, first 2 shown]
	ds_load_b32 v33, v1 offset:56
	ds_load_u8 v35, v1 offset:60
	ds_load_2addr_b32 v[42:43], v1 offset0:6 offset1:8
	s_wait_dscnt 0x9
	v_cmp_eq_u16_e64 s12, 0, v21
	s_delay_alu instid0(VALU_DEP_1) | instskip(SKIP_2) | instid1(VALU_DEP_2)
	v_cndmask_b32_e64 v17, 0, v17, s12
	s_wait_dscnt 0x7
	v_cmp_eq_u16_e64 s12, 0, v23
	v_add_nc_u32_e32 v17, v17, v14
	s_delay_alu instid0(VALU_DEP_1) | instskip(SKIP_2) | instid1(VALU_DEP_2)
	v_cndmask_b32_e64 v14, 0, v17, s12
	s_wait_dscnt 0x6
	v_cmp_eq_u16_e64 s12, 0, v25
	v_add_nc_u32_e32 v37, v14, v15
	ds_load_2addr_b32 v[14:15], v1 offset0:10 offset1:12
	v_cndmask_b32_e64 v39, 0, v37, s12
	s_wait_dscnt 0x6
	v_cmp_eq_u16_e64 s12, 0, v27
	ds_store_2addr_b32 v1, v17, v37 offset0:2 offset1:4
	s_wait_dscnt 0x2
	v_dual_add_nc_u32 v39, v39, v42 :: v_dual_bitop2_b32 v21, 1, v21 bitop3:0x40
	v_and_b32_e32 v42, 1, v35
	s_delay_alu instid0(VALU_DEP_2) | instskip(NEXT) | instid1(VALU_DEP_3)
	v_cndmask_b32_e64 v41, 0, v39, s12
	v_cmp_eq_u32_e64 s12, 1, v21
	s_delay_alu instid0(VALU_DEP_2) | instskip(SKIP_1) | instid1(VALU_DEP_3)
	v_dual_add_nc_u32 v25, v41, v43 :: v_dual_bitop2_b32 v21, 1, v25 bitop3:0x40
	v_and_b32_e32 v23, 1, v23
	v_cndmask_b32_e64 v6, v6, 1, s12
	s_delay_alu instid0(VALU_DEP_2) | instskip(NEXT) | instid1(VALU_DEP_1)
	v_cmp_eq_u32_e64 s12, 1, v23
	v_cndmask_b32_e64 v23, v6, 1, s12
	v_cmp_eq_u16_e64 s12, 0, v29
	s_delay_alu instid0(VALU_DEP_1) | instskip(SKIP_2) | instid1(VALU_DEP_2)
	v_dual_cndmask_b32 v41, 0, v25, s12 :: v_dual_bitop2_b32 v27, 1, v27 bitop3:0x40
	v_cmp_eq_u32_e64 s12, 1, v21
	s_wait_dscnt 0x1
	v_dual_add_nc_u32 v14, v41, v14 :: v_dual_bitop2_b32 v41, 1, v31 bitop3:0x40
	s_delay_alu instid0(VALU_DEP_2) | instskip(SKIP_1) | instid1(VALU_DEP_1)
	v_cndmask_b32_e64 v21, v23, 1, s12
	v_cmp_eq_u32_e64 s12, 1, v27
	v_cndmask_b32_e64 v27, v21, 1, s12
	v_cmp_eq_u16_e64 s12, 0, v31
	s_delay_alu instid0(VALU_DEP_1) | instskip(NEXT) | instid1(VALU_DEP_1)
	v_dual_cndmask_b32 v31, 0, v14, s12 :: v_dual_bitop2_b32 v29, 1, v29 bitop3:0x40
	v_cmp_eq_u32_e64 s12, 1, v29
	s_delay_alu instid0(VALU_DEP_2) | instskip(NEXT) | instid1(VALU_DEP_2)
	v_add_nc_u32_e32 v15, v31, v15
	v_cndmask_b32_e64 v29, v27, 1, s12
	v_cmp_eq_u32_e64 s12, 1, v41
	ds_store_2addr_b32 v1, v39, v25 offset0:6 offset1:8
	ds_store_2addr_b32 v1, v14, v15 offset0:10 offset1:12
	v_cndmask_b32_e64 v31, v29, 1, s12
	v_cmp_eq_u16_e64 s12, 0, v35
	s_delay_alu instid0(VALU_DEP_1) | instskip(SKIP_1) | instid1(VALU_DEP_2)
	v_cndmask_b32_e64 v17, 0, v15, s12
	v_cmp_eq_u32_e64 s12, 1, v42
	v_add_nc_u32_e32 v14, v17, v33
	s_delay_alu instid0(VALU_DEP_2)
	v_cndmask_b32_e64 v35, v31, 1, s12
	ds_store_b8 v1, v6 offset:12
	ds_store_b8 v1, v23 offset:20
	;; [unrolled: 1-line block ×6, first 2 shown]
	ds_store_b32 v1, v14 offset:56
	ds_store_b8 v1, v35 offset:60
.LBB86_165:
	s_or_b32 exec_lo, exec_lo, s13
	v_mov_b32_e32 v6, v18
	s_wait_dscnt 0x0
	s_barrier_signal -1
	s_barrier_wait -1
	s_delay_alu instid0(VALU_DEP_1)
	v_mov_b64_e32 v[14:15], v[6:7]
	s_and_saveexec_b32 s12, s0
	s_cbranch_execz .LBB86_167
; %bb.166:
	v_add_nc_u32_e32 v1, -1, v0
	v_and_b32_e32 v3, 0xff, v19
	s_delay_alu instid0(VALU_DEP_2) | instskip(NEXT) | instid1(VALU_DEP_1)
	v_lshrrev_b32_e32 v2, 2, v1
	v_and_b32_e32 v2, 0x3ffffff8, v2
	s_delay_alu instid0(VALU_DEP_1)
	v_lshl_add_u32 v1, v1, 3, v2
	v_mov_b32_e32 v2, 0
	ds_load_b32 v1, v1
	v_cmp_eq_u64_e64 s0, 0, v[2:3]
	;;#ASMSTART
	;;#ASMEND
	s_wait_dscnt 0x0
	s_delay_alu instid0(VALU_DEP_1) | instskip(NEXT) | instid1(VALU_DEP_1)
	v_cndmask_b32_e64 v1, 0, v1, s0
	v_add_nc_u32_e32 v14, v1, v18
	s_delay_alu instid0(VALU_DEP_1) | instskip(NEXT) | instid1(VALU_DEP_1)
	v_cndmask_b32_e64 v1, 0, v14, s1
	v_add_nc_u32_e32 v15, v1, v38
	s_delay_alu instid0(VALU_DEP_1) | instskip(NEXT) | instid1(VALU_DEP_1)
	v_dual_cndmask_b32 v1, 0, v15, s2 :: v_dual_mov_b32 v18, v14
	v_dual_mov_b32 v7, v15 :: v_dual_add_nc_u32 v8, v1, v36
	s_delay_alu instid0(VALU_DEP_1) | instskip(NEXT) | instid1(VALU_DEP_1)
	v_cndmask_b32_e64 v1, 0, v8, s3
	v_add_nc_u32_e32 v9, v1, v34
	s_delay_alu instid0(VALU_DEP_1) | instskip(NEXT) | instid1(VALU_DEP_1)
	v_cndmask_b32_e64 v1, 0, v9, s4
	v_add_nc_u32_e32 v2, v1, v32
	;; [unrolled: 3-line block ×9, first 2 shown]
.LBB86_167:
	s_or_b32 exec_lo, exec_lo, s12
	s_and_saveexec_b32 s0, vcc_lo
	s_cbranch_execz .LBB86_169
; %bb.168:
	v_dual_mov_b32 v23, 0 :: v_dual_mov_b32 v22, 2
	s_add_nc_u64 s[2:3], s[28:29], 0x200
	ds_load_b32 v20, v23 offset:2096
	ds_load_u8 v21, v23 offset:2100
	v_mov_b64_e32 v[24:25], s[2:3]
	s_wait_dscnt 0x0
	;;#ASMSTART
	global_store_b128 v[24:25], v[20:23] off scope:SCOPE_DEV	
s_wait_storecnt 0x0
	;;#ASMEND
.LBB86_169:
	s_or_b32 exec_lo, exec_lo, s0
	v_mov_b32_e32 v6, v18
	s_add_nc_u64 s[0:1], s[18:19], s[34:35]
	s_and_b32 vcc_lo, exec_lo, s25
	s_add_nc_u64 s[0:1], s[0:1], s[16:17]
	s_cbranch_vccnz .LBB86_109
.LBB86_170:
	s_mov_b32 s2, 0
                                        ; implicit-def: $vgpr7
	s_cbranch_execz .LBB86_172
; %bb.171:
	v_mul_u32_u24_e32 v1, 48, v0
	v_dual_mov_b32 v16, v8 :: v_dual_mov_b32 v17, v9
	v_mul_i32_i24_e32 v6, 0xffffffd4, v0
	s_wait_storecnt_dscnt 0x0
	s_barrier_signal -1
	s_barrier_wait -1
	ds_store_b128 v1, v[14:17]
	ds_store_b128 v1, v[2:5] offset:16
	ds_store_b128 v1, v[10:13] offset:32
	v_mad_u32_u24 v1, v0, 48, v6
	s_wait_dscnt 0x0
	s_barrier_signal -1
	s_barrier_wait -1
	ds_load_2addr_stride64_b32 v[2:3], v1 offset1:4
	ds_load_2addr_stride64_b32 v[4:5], v1 offset0:8 offset1:12
	ds_load_2addr_stride64_b32 v[8:9], v1 offset0:16 offset1:20
	;; [unrolled: 1-line block ×5, first 2 shown]
	s_or_b32 s2, s2, exec_lo
	s_wait_dscnt 0x5
	s_clause 0x1
	flat_store_b32 v0, v2, s[0:1] scale_offset
	flat_store_b32 v0, v3, s[0:1] offset:1024 scale_offset
	s_wait_dscnt 0x6
	s_clause 0x1
	flat_store_b32 v0, v4, s[0:1] offset:2048 scale_offset
	flat_store_b32 v0, v5, s[0:1] offset:3072 scale_offset
	s_wait_dscnt 0x7
	s_clause 0x1
	flat_store_b32 v0, v8, s[0:1] offset:4096 scale_offset
	;; [unrolled: 4-line block ×4, first 2 shown]
	flat_store_b32 v0, v13, s[0:1] offset:9216 scale_offset
	s_wait_dscnt 0xa
	flat_store_b32 v0, v6, s[0:1] offset:10240 scale_offset
.LBB86_172:
	s_wait_xcnt 0x0
	s_delay_alu instid0(VALU_DEP_1)
	s_and_saveexec_b32 s3, s2
	s_cbranch_execnz .LBB86_174
; %bb.173:
	s_endpgm
.LBB86_174:
	s_wait_dscnt 0x0
	flat_store_b32 v0, v7, s[0:1] offset:11264 scale_offset
	s_endpgm
.LBB86_175:
	flat_load_b32 v3, v0, s[14:15] scale_offset
	s_wait_xcnt 0x0
	s_or_b32 exec_lo, exec_lo, s20
                                        ; implicit-def: $vgpr5
	s_and_saveexec_b32 s0, s1
	s_cbranch_execz .LBB86_33
.LBB86_176:
	flat_load_b32 v5, v0, s[14:15] offset:1024 scale_offset
	s_wait_xcnt 0x0
	s_or_b32 exec_lo, exec_lo, s0
                                        ; implicit-def: $vgpr19
	s_and_saveexec_b32 s0, s2
	s_cbranch_execz .LBB86_34
.LBB86_177:
	flat_load_b32 v19, v0, s[14:15] offset:2048 scale_offset
	s_wait_xcnt 0x0
	s_or_b32 exec_lo, exec_lo, s0
                                        ; implicit-def: $vgpr20
	s_and_saveexec_b32 s0, s3
	s_cbranch_execz .LBB86_35
.LBB86_178:
	flat_load_b32 v20, v0, s[14:15] offset:3072 scale_offset
	s_wait_xcnt 0x0
	s_or_b32 exec_lo, exec_lo, s0
                                        ; implicit-def: $vgpr21
	s_and_saveexec_b32 s0, s4
	s_cbranch_execz .LBB86_36
.LBB86_179:
	flat_load_b32 v21, v0, s[14:15] offset:4096 scale_offset
	s_wait_xcnt 0x0
	s_or_b32 exec_lo, exec_lo, s0
                                        ; implicit-def: $vgpr22
	s_and_saveexec_b32 s0, s5
	s_cbranch_execz .LBB86_37
.LBB86_180:
	flat_load_b32 v22, v0, s[14:15] offset:5120 scale_offset
	s_wait_xcnt 0x0
	s_or_b32 exec_lo, exec_lo, s0
                                        ; implicit-def: $vgpr23
	s_and_saveexec_b32 s0, s6
	s_cbranch_execz .LBB86_38
.LBB86_181:
	flat_load_b32 v23, v0, s[14:15] offset:6144 scale_offset
	s_wait_xcnt 0x0
	s_or_b32 exec_lo, exec_lo, s0
                                        ; implicit-def: $vgpr24
	s_and_saveexec_b32 s0, s7
	s_cbranch_execz .LBB86_39
.LBB86_182:
	flat_load_b32 v24, v0, s[14:15] offset:7168 scale_offset
	s_wait_xcnt 0x0
	s_or_b32 exec_lo, exec_lo, s0
                                        ; implicit-def: $vgpr25
	s_and_saveexec_b32 s0, s8
	s_cbranch_execz .LBB86_40
.LBB86_183:
	flat_load_b32 v25, v0, s[14:15] offset:8192 scale_offset
	s_wait_xcnt 0x0
	s_or_b32 exec_lo, exec_lo, s0
                                        ; implicit-def: $vgpr26
	s_and_saveexec_b32 s0, s9
	s_cbranch_execz .LBB86_41
.LBB86_184:
	flat_load_b32 v26, v0, s[14:15] offset:9216 scale_offset
	s_wait_xcnt 0x0
	s_or_b32 exec_lo, exec_lo, s0
                                        ; implicit-def: $vgpr27
	s_and_saveexec_b32 s0, s10
	s_cbranch_execz .LBB86_42
.LBB86_185:
	flat_load_b32 v27, v0, s[14:15] offset:10240 scale_offset
	s_wait_xcnt 0x0
	s_or_b32 exec_lo, exec_lo, s0
                                        ; implicit-def: $vgpr28
	s_and_saveexec_b32 s0, s11
	s_cbranch_execnz .LBB86_43
	s_branch .LBB86_44
.LBB86_186:
                                        ; implicit-def: $sgpr0
	s_branch .LBB86_73
.LBB86_187:
                                        ; implicit-def: $sgpr43
	s_branch .LBB86_28
.LBB86_188:
                                        ; implicit-def: $sgpr0
	s_branch .LBB86_71
	.section	.rodata,"a",@progbits
	.p2align	6, 0x0
	.amdhsa_kernel _ZN7rocprim17ROCPRIM_400000_NS6detail17trampoline_kernelINS0_14default_configENS1_27scan_by_key_config_selectorIiiEEZZNS1_16scan_by_key_implILNS1_25lookback_scan_determinismE0ELb0ES3_N6thrust23THRUST_200600_302600_NS18transform_iteratorI9which_rowNS9_17counting_iteratorIiNS9_11use_defaultESD_SD_EESD_SD_EENS9_6detail15normal_iteratorINS9_10device_ptrIiEEEESK_iNS9_4plusIvEENS9_8equal_toIvEEiEE10hipError_tPvRmT2_T3_T4_T5_mT6_T7_P12ihipStream_tbENKUlT_T0_E_clISt17integral_constantIbLb0EES15_EEDaS10_S11_EUlS10_E_NS1_11comp_targetILNS1_3genE0ELNS1_11target_archE4294967295ELNS1_3gpuE0ELNS1_3repE0EEENS1_30default_config_static_selectorELNS0_4arch9wavefront6targetE0EEEvT1_
		.amdhsa_group_segment_fixed_size 14336
		.amdhsa_private_segment_fixed_size 0
		.amdhsa_kernarg_size 112
		.amdhsa_user_sgpr_count 2
		.amdhsa_user_sgpr_dispatch_ptr 0
		.amdhsa_user_sgpr_queue_ptr 0
		.amdhsa_user_sgpr_kernarg_segment_ptr 1
		.amdhsa_user_sgpr_dispatch_id 0
		.amdhsa_user_sgpr_kernarg_preload_length 0
		.amdhsa_user_sgpr_kernarg_preload_offset 0
		.amdhsa_user_sgpr_private_segment_size 0
		.amdhsa_wavefront_size32 1
		.amdhsa_uses_dynamic_stack 0
		.amdhsa_enable_private_segment 0
		.amdhsa_system_sgpr_workgroup_id_x 1
		.amdhsa_system_sgpr_workgroup_id_y 0
		.amdhsa_system_sgpr_workgroup_id_z 0
		.amdhsa_system_sgpr_workgroup_info 0
		.amdhsa_system_vgpr_workitem_id 0
		.amdhsa_next_free_vgpr 60
		.amdhsa_next_free_sgpr 46
		.amdhsa_named_barrier_count 0
		.amdhsa_reserve_vcc 1
		.amdhsa_float_round_mode_32 0
		.amdhsa_float_round_mode_16_64 0
		.amdhsa_float_denorm_mode_32 3
		.amdhsa_float_denorm_mode_16_64 3
		.amdhsa_fp16_overflow 0
		.amdhsa_memory_ordered 1
		.amdhsa_forward_progress 1
		.amdhsa_inst_pref_size 117
		.amdhsa_round_robin_scheduling 0
		.amdhsa_exception_fp_ieee_invalid_op 0
		.amdhsa_exception_fp_denorm_src 0
		.amdhsa_exception_fp_ieee_div_zero 0
		.amdhsa_exception_fp_ieee_overflow 0
		.amdhsa_exception_fp_ieee_underflow 0
		.amdhsa_exception_fp_ieee_inexact 0
		.amdhsa_exception_int_div_zero 0
	.end_amdhsa_kernel
	.section	.text._ZN7rocprim17ROCPRIM_400000_NS6detail17trampoline_kernelINS0_14default_configENS1_27scan_by_key_config_selectorIiiEEZZNS1_16scan_by_key_implILNS1_25lookback_scan_determinismE0ELb0ES3_N6thrust23THRUST_200600_302600_NS18transform_iteratorI9which_rowNS9_17counting_iteratorIiNS9_11use_defaultESD_SD_EESD_SD_EENS9_6detail15normal_iteratorINS9_10device_ptrIiEEEESK_iNS9_4plusIvEENS9_8equal_toIvEEiEE10hipError_tPvRmT2_T3_T4_T5_mT6_T7_P12ihipStream_tbENKUlT_T0_E_clISt17integral_constantIbLb0EES15_EEDaS10_S11_EUlS10_E_NS1_11comp_targetILNS1_3genE0ELNS1_11target_archE4294967295ELNS1_3gpuE0ELNS1_3repE0EEENS1_30default_config_static_selectorELNS0_4arch9wavefront6targetE0EEEvT1_,"axG",@progbits,_ZN7rocprim17ROCPRIM_400000_NS6detail17trampoline_kernelINS0_14default_configENS1_27scan_by_key_config_selectorIiiEEZZNS1_16scan_by_key_implILNS1_25lookback_scan_determinismE0ELb0ES3_N6thrust23THRUST_200600_302600_NS18transform_iteratorI9which_rowNS9_17counting_iteratorIiNS9_11use_defaultESD_SD_EESD_SD_EENS9_6detail15normal_iteratorINS9_10device_ptrIiEEEESK_iNS9_4plusIvEENS9_8equal_toIvEEiEE10hipError_tPvRmT2_T3_T4_T5_mT6_T7_P12ihipStream_tbENKUlT_T0_E_clISt17integral_constantIbLb0EES15_EEDaS10_S11_EUlS10_E_NS1_11comp_targetILNS1_3genE0ELNS1_11target_archE4294967295ELNS1_3gpuE0ELNS1_3repE0EEENS1_30default_config_static_selectorELNS0_4arch9wavefront6targetE0EEEvT1_,comdat
.Lfunc_end86:
	.size	_ZN7rocprim17ROCPRIM_400000_NS6detail17trampoline_kernelINS0_14default_configENS1_27scan_by_key_config_selectorIiiEEZZNS1_16scan_by_key_implILNS1_25lookback_scan_determinismE0ELb0ES3_N6thrust23THRUST_200600_302600_NS18transform_iteratorI9which_rowNS9_17counting_iteratorIiNS9_11use_defaultESD_SD_EESD_SD_EENS9_6detail15normal_iteratorINS9_10device_ptrIiEEEESK_iNS9_4plusIvEENS9_8equal_toIvEEiEE10hipError_tPvRmT2_T3_T4_T5_mT6_T7_P12ihipStream_tbENKUlT_T0_E_clISt17integral_constantIbLb0EES15_EEDaS10_S11_EUlS10_E_NS1_11comp_targetILNS1_3genE0ELNS1_11target_archE4294967295ELNS1_3gpuE0ELNS1_3repE0EEENS1_30default_config_static_selectorELNS0_4arch9wavefront6targetE0EEEvT1_, .Lfunc_end86-_ZN7rocprim17ROCPRIM_400000_NS6detail17trampoline_kernelINS0_14default_configENS1_27scan_by_key_config_selectorIiiEEZZNS1_16scan_by_key_implILNS1_25lookback_scan_determinismE0ELb0ES3_N6thrust23THRUST_200600_302600_NS18transform_iteratorI9which_rowNS9_17counting_iteratorIiNS9_11use_defaultESD_SD_EESD_SD_EENS9_6detail15normal_iteratorINS9_10device_ptrIiEEEESK_iNS9_4plusIvEENS9_8equal_toIvEEiEE10hipError_tPvRmT2_T3_T4_T5_mT6_T7_P12ihipStream_tbENKUlT_T0_E_clISt17integral_constantIbLb0EES15_EEDaS10_S11_EUlS10_E_NS1_11comp_targetILNS1_3genE0ELNS1_11target_archE4294967295ELNS1_3gpuE0ELNS1_3repE0EEENS1_30default_config_static_selectorELNS0_4arch9wavefront6targetE0EEEvT1_
                                        ; -- End function
	.set _ZN7rocprim17ROCPRIM_400000_NS6detail17trampoline_kernelINS0_14default_configENS1_27scan_by_key_config_selectorIiiEEZZNS1_16scan_by_key_implILNS1_25lookback_scan_determinismE0ELb0ES3_N6thrust23THRUST_200600_302600_NS18transform_iteratorI9which_rowNS9_17counting_iteratorIiNS9_11use_defaultESD_SD_EESD_SD_EENS9_6detail15normal_iteratorINS9_10device_ptrIiEEEESK_iNS9_4plusIvEENS9_8equal_toIvEEiEE10hipError_tPvRmT2_T3_T4_T5_mT6_T7_P12ihipStream_tbENKUlT_T0_E_clISt17integral_constantIbLb0EES15_EEDaS10_S11_EUlS10_E_NS1_11comp_targetILNS1_3genE0ELNS1_11target_archE4294967295ELNS1_3gpuE0ELNS1_3repE0EEENS1_30default_config_static_selectorELNS0_4arch9wavefront6targetE0EEEvT1_.num_vgpr, 60
	.set _ZN7rocprim17ROCPRIM_400000_NS6detail17trampoline_kernelINS0_14default_configENS1_27scan_by_key_config_selectorIiiEEZZNS1_16scan_by_key_implILNS1_25lookback_scan_determinismE0ELb0ES3_N6thrust23THRUST_200600_302600_NS18transform_iteratorI9which_rowNS9_17counting_iteratorIiNS9_11use_defaultESD_SD_EESD_SD_EENS9_6detail15normal_iteratorINS9_10device_ptrIiEEEESK_iNS9_4plusIvEENS9_8equal_toIvEEiEE10hipError_tPvRmT2_T3_T4_T5_mT6_T7_P12ihipStream_tbENKUlT_T0_E_clISt17integral_constantIbLb0EES15_EEDaS10_S11_EUlS10_E_NS1_11comp_targetILNS1_3genE0ELNS1_11target_archE4294967295ELNS1_3gpuE0ELNS1_3repE0EEENS1_30default_config_static_selectorELNS0_4arch9wavefront6targetE0EEEvT1_.num_agpr, 0
	.set _ZN7rocprim17ROCPRIM_400000_NS6detail17trampoline_kernelINS0_14default_configENS1_27scan_by_key_config_selectorIiiEEZZNS1_16scan_by_key_implILNS1_25lookback_scan_determinismE0ELb0ES3_N6thrust23THRUST_200600_302600_NS18transform_iteratorI9which_rowNS9_17counting_iteratorIiNS9_11use_defaultESD_SD_EESD_SD_EENS9_6detail15normal_iteratorINS9_10device_ptrIiEEEESK_iNS9_4plusIvEENS9_8equal_toIvEEiEE10hipError_tPvRmT2_T3_T4_T5_mT6_T7_P12ihipStream_tbENKUlT_T0_E_clISt17integral_constantIbLb0EES15_EEDaS10_S11_EUlS10_E_NS1_11comp_targetILNS1_3genE0ELNS1_11target_archE4294967295ELNS1_3gpuE0ELNS1_3repE0EEENS1_30default_config_static_selectorELNS0_4arch9wavefront6targetE0EEEvT1_.numbered_sgpr, 46
	.set _ZN7rocprim17ROCPRIM_400000_NS6detail17trampoline_kernelINS0_14default_configENS1_27scan_by_key_config_selectorIiiEEZZNS1_16scan_by_key_implILNS1_25lookback_scan_determinismE0ELb0ES3_N6thrust23THRUST_200600_302600_NS18transform_iteratorI9which_rowNS9_17counting_iteratorIiNS9_11use_defaultESD_SD_EESD_SD_EENS9_6detail15normal_iteratorINS9_10device_ptrIiEEEESK_iNS9_4plusIvEENS9_8equal_toIvEEiEE10hipError_tPvRmT2_T3_T4_T5_mT6_T7_P12ihipStream_tbENKUlT_T0_E_clISt17integral_constantIbLb0EES15_EEDaS10_S11_EUlS10_E_NS1_11comp_targetILNS1_3genE0ELNS1_11target_archE4294967295ELNS1_3gpuE0ELNS1_3repE0EEENS1_30default_config_static_selectorELNS0_4arch9wavefront6targetE0EEEvT1_.num_named_barrier, 0
	.set _ZN7rocprim17ROCPRIM_400000_NS6detail17trampoline_kernelINS0_14default_configENS1_27scan_by_key_config_selectorIiiEEZZNS1_16scan_by_key_implILNS1_25lookback_scan_determinismE0ELb0ES3_N6thrust23THRUST_200600_302600_NS18transform_iteratorI9which_rowNS9_17counting_iteratorIiNS9_11use_defaultESD_SD_EESD_SD_EENS9_6detail15normal_iteratorINS9_10device_ptrIiEEEESK_iNS9_4plusIvEENS9_8equal_toIvEEiEE10hipError_tPvRmT2_T3_T4_T5_mT6_T7_P12ihipStream_tbENKUlT_T0_E_clISt17integral_constantIbLb0EES15_EEDaS10_S11_EUlS10_E_NS1_11comp_targetILNS1_3genE0ELNS1_11target_archE4294967295ELNS1_3gpuE0ELNS1_3repE0EEENS1_30default_config_static_selectorELNS0_4arch9wavefront6targetE0EEEvT1_.private_seg_size, 0
	.set _ZN7rocprim17ROCPRIM_400000_NS6detail17trampoline_kernelINS0_14default_configENS1_27scan_by_key_config_selectorIiiEEZZNS1_16scan_by_key_implILNS1_25lookback_scan_determinismE0ELb0ES3_N6thrust23THRUST_200600_302600_NS18transform_iteratorI9which_rowNS9_17counting_iteratorIiNS9_11use_defaultESD_SD_EESD_SD_EENS9_6detail15normal_iteratorINS9_10device_ptrIiEEEESK_iNS9_4plusIvEENS9_8equal_toIvEEiEE10hipError_tPvRmT2_T3_T4_T5_mT6_T7_P12ihipStream_tbENKUlT_T0_E_clISt17integral_constantIbLb0EES15_EEDaS10_S11_EUlS10_E_NS1_11comp_targetILNS1_3genE0ELNS1_11target_archE4294967295ELNS1_3gpuE0ELNS1_3repE0EEENS1_30default_config_static_selectorELNS0_4arch9wavefront6targetE0EEEvT1_.uses_vcc, 1
	.set _ZN7rocprim17ROCPRIM_400000_NS6detail17trampoline_kernelINS0_14default_configENS1_27scan_by_key_config_selectorIiiEEZZNS1_16scan_by_key_implILNS1_25lookback_scan_determinismE0ELb0ES3_N6thrust23THRUST_200600_302600_NS18transform_iteratorI9which_rowNS9_17counting_iteratorIiNS9_11use_defaultESD_SD_EESD_SD_EENS9_6detail15normal_iteratorINS9_10device_ptrIiEEEESK_iNS9_4plusIvEENS9_8equal_toIvEEiEE10hipError_tPvRmT2_T3_T4_T5_mT6_T7_P12ihipStream_tbENKUlT_T0_E_clISt17integral_constantIbLb0EES15_EEDaS10_S11_EUlS10_E_NS1_11comp_targetILNS1_3genE0ELNS1_11target_archE4294967295ELNS1_3gpuE0ELNS1_3repE0EEENS1_30default_config_static_selectorELNS0_4arch9wavefront6targetE0EEEvT1_.uses_flat_scratch, 1
	.set _ZN7rocprim17ROCPRIM_400000_NS6detail17trampoline_kernelINS0_14default_configENS1_27scan_by_key_config_selectorIiiEEZZNS1_16scan_by_key_implILNS1_25lookback_scan_determinismE0ELb0ES3_N6thrust23THRUST_200600_302600_NS18transform_iteratorI9which_rowNS9_17counting_iteratorIiNS9_11use_defaultESD_SD_EESD_SD_EENS9_6detail15normal_iteratorINS9_10device_ptrIiEEEESK_iNS9_4plusIvEENS9_8equal_toIvEEiEE10hipError_tPvRmT2_T3_T4_T5_mT6_T7_P12ihipStream_tbENKUlT_T0_E_clISt17integral_constantIbLb0EES15_EEDaS10_S11_EUlS10_E_NS1_11comp_targetILNS1_3genE0ELNS1_11target_archE4294967295ELNS1_3gpuE0ELNS1_3repE0EEENS1_30default_config_static_selectorELNS0_4arch9wavefront6targetE0EEEvT1_.has_dyn_sized_stack, 0
	.set _ZN7rocprim17ROCPRIM_400000_NS6detail17trampoline_kernelINS0_14default_configENS1_27scan_by_key_config_selectorIiiEEZZNS1_16scan_by_key_implILNS1_25lookback_scan_determinismE0ELb0ES3_N6thrust23THRUST_200600_302600_NS18transform_iteratorI9which_rowNS9_17counting_iteratorIiNS9_11use_defaultESD_SD_EESD_SD_EENS9_6detail15normal_iteratorINS9_10device_ptrIiEEEESK_iNS9_4plusIvEENS9_8equal_toIvEEiEE10hipError_tPvRmT2_T3_T4_T5_mT6_T7_P12ihipStream_tbENKUlT_T0_E_clISt17integral_constantIbLb0EES15_EEDaS10_S11_EUlS10_E_NS1_11comp_targetILNS1_3genE0ELNS1_11target_archE4294967295ELNS1_3gpuE0ELNS1_3repE0EEENS1_30default_config_static_selectorELNS0_4arch9wavefront6targetE0EEEvT1_.has_recursion, 0
	.set _ZN7rocprim17ROCPRIM_400000_NS6detail17trampoline_kernelINS0_14default_configENS1_27scan_by_key_config_selectorIiiEEZZNS1_16scan_by_key_implILNS1_25lookback_scan_determinismE0ELb0ES3_N6thrust23THRUST_200600_302600_NS18transform_iteratorI9which_rowNS9_17counting_iteratorIiNS9_11use_defaultESD_SD_EESD_SD_EENS9_6detail15normal_iteratorINS9_10device_ptrIiEEEESK_iNS9_4plusIvEENS9_8equal_toIvEEiEE10hipError_tPvRmT2_T3_T4_T5_mT6_T7_P12ihipStream_tbENKUlT_T0_E_clISt17integral_constantIbLb0EES15_EEDaS10_S11_EUlS10_E_NS1_11comp_targetILNS1_3genE0ELNS1_11target_archE4294967295ELNS1_3gpuE0ELNS1_3repE0EEENS1_30default_config_static_selectorELNS0_4arch9wavefront6targetE0EEEvT1_.has_indirect_call, 0
	.section	.AMDGPU.csdata,"",@progbits
; Kernel info:
; codeLenInByte = 14880
; TotalNumSgprs: 48
; NumVgprs: 60
; ScratchSize: 0
; MemoryBound: 0
; FloatMode: 240
; IeeeMode: 1
; LDSByteSize: 14336 bytes/workgroup (compile time only)
; SGPRBlocks: 0
; VGPRBlocks: 3
; NumSGPRsForWavesPerEU: 48
; NumVGPRsForWavesPerEU: 60
; NamedBarCnt: 0
; Occupancy: 16
; WaveLimiterHint : 1
; COMPUTE_PGM_RSRC2:SCRATCH_EN: 0
; COMPUTE_PGM_RSRC2:USER_SGPR: 2
; COMPUTE_PGM_RSRC2:TRAP_HANDLER: 0
; COMPUTE_PGM_RSRC2:TGID_X_EN: 1
; COMPUTE_PGM_RSRC2:TGID_Y_EN: 0
; COMPUTE_PGM_RSRC2:TGID_Z_EN: 0
; COMPUTE_PGM_RSRC2:TIDIG_COMP_CNT: 0
	.section	.text._ZN7rocprim17ROCPRIM_400000_NS6detail17trampoline_kernelINS0_14default_configENS1_27scan_by_key_config_selectorIiiEEZZNS1_16scan_by_key_implILNS1_25lookback_scan_determinismE0ELb0ES3_N6thrust23THRUST_200600_302600_NS18transform_iteratorI9which_rowNS9_17counting_iteratorIiNS9_11use_defaultESD_SD_EESD_SD_EENS9_6detail15normal_iteratorINS9_10device_ptrIiEEEESK_iNS9_4plusIvEENS9_8equal_toIvEEiEE10hipError_tPvRmT2_T3_T4_T5_mT6_T7_P12ihipStream_tbENKUlT_T0_E_clISt17integral_constantIbLb0EES15_EEDaS10_S11_EUlS10_E_NS1_11comp_targetILNS1_3genE10ELNS1_11target_archE1201ELNS1_3gpuE5ELNS1_3repE0EEENS1_30default_config_static_selectorELNS0_4arch9wavefront6targetE0EEEvT1_,"axG",@progbits,_ZN7rocprim17ROCPRIM_400000_NS6detail17trampoline_kernelINS0_14default_configENS1_27scan_by_key_config_selectorIiiEEZZNS1_16scan_by_key_implILNS1_25lookback_scan_determinismE0ELb0ES3_N6thrust23THRUST_200600_302600_NS18transform_iteratorI9which_rowNS9_17counting_iteratorIiNS9_11use_defaultESD_SD_EESD_SD_EENS9_6detail15normal_iteratorINS9_10device_ptrIiEEEESK_iNS9_4plusIvEENS9_8equal_toIvEEiEE10hipError_tPvRmT2_T3_T4_T5_mT6_T7_P12ihipStream_tbENKUlT_T0_E_clISt17integral_constantIbLb0EES15_EEDaS10_S11_EUlS10_E_NS1_11comp_targetILNS1_3genE10ELNS1_11target_archE1201ELNS1_3gpuE5ELNS1_3repE0EEENS1_30default_config_static_selectorELNS0_4arch9wavefront6targetE0EEEvT1_,comdat
	.protected	_ZN7rocprim17ROCPRIM_400000_NS6detail17trampoline_kernelINS0_14default_configENS1_27scan_by_key_config_selectorIiiEEZZNS1_16scan_by_key_implILNS1_25lookback_scan_determinismE0ELb0ES3_N6thrust23THRUST_200600_302600_NS18transform_iteratorI9which_rowNS9_17counting_iteratorIiNS9_11use_defaultESD_SD_EESD_SD_EENS9_6detail15normal_iteratorINS9_10device_ptrIiEEEESK_iNS9_4plusIvEENS9_8equal_toIvEEiEE10hipError_tPvRmT2_T3_T4_T5_mT6_T7_P12ihipStream_tbENKUlT_T0_E_clISt17integral_constantIbLb0EES15_EEDaS10_S11_EUlS10_E_NS1_11comp_targetILNS1_3genE10ELNS1_11target_archE1201ELNS1_3gpuE5ELNS1_3repE0EEENS1_30default_config_static_selectorELNS0_4arch9wavefront6targetE0EEEvT1_ ; -- Begin function _ZN7rocprim17ROCPRIM_400000_NS6detail17trampoline_kernelINS0_14default_configENS1_27scan_by_key_config_selectorIiiEEZZNS1_16scan_by_key_implILNS1_25lookback_scan_determinismE0ELb0ES3_N6thrust23THRUST_200600_302600_NS18transform_iteratorI9which_rowNS9_17counting_iteratorIiNS9_11use_defaultESD_SD_EESD_SD_EENS9_6detail15normal_iteratorINS9_10device_ptrIiEEEESK_iNS9_4plusIvEENS9_8equal_toIvEEiEE10hipError_tPvRmT2_T3_T4_T5_mT6_T7_P12ihipStream_tbENKUlT_T0_E_clISt17integral_constantIbLb0EES15_EEDaS10_S11_EUlS10_E_NS1_11comp_targetILNS1_3genE10ELNS1_11target_archE1201ELNS1_3gpuE5ELNS1_3repE0EEENS1_30default_config_static_selectorELNS0_4arch9wavefront6targetE0EEEvT1_
	.globl	_ZN7rocprim17ROCPRIM_400000_NS6detail17trampoline_kernelINS0_14default_configENS1_27scan_by_key_config_selectorIiiEEZZNS1_16scan_by_key_implILNS1_25lookback_scan_determinismE0ELb0ES3_N6thrust23THRUST_200600_302600_NS18transform_iteratorI9which_rowNS9_17counting_iteratorIiNS9_11use_defaultESD_SD_EESD_SD_EENS9_6detail15normal_iteratorINS9_10device_ptrIiEEEESK_iNS9_4plusIvEENS9_8equal_toIvEEiEE10hipError_tPvRmT2_T3_T4_T5_mT6_T7_P12ihipStream_tbENKUlT_T0_E_clISt17integral_constantIbLb0EES15_EEDaS10_S11_EUlS10_E_NS1_11comp_targetILNS1_3genE10ELNS1_11target_archE1201ELNS1_3gpuE5ELNS1_3repE0EEENS1_30default_config_static_selectorELNS0_4arch9wavefront6targetE0EEEvT1_
	.p2align	8
	.type	_ZN7rocprim17ROCPRIM_400000_NS6detail17trampoline_kernelINS0_14default_configENS1_27scan_by_key_config_selectorIiiEEZZNS1_16scan_by_key_implILNS1_25lookback_scan_determinismE0ELb0ES3_N6thrust23THRUST_200600_302600_NS18transform_iteratorI9which_rowNS9_17counting_iteratorIiNS9_11use_defaultESD_SD_EESD_SD_EENS9_6detail15normal_iteratorINS9_10device_ptrIiEEEESK_iNS9_4plusIvEENS9_8equal_toIvEEiEE10hipError_tPvRmT2_T3_T4_T5_mT6_T7_P12ihipStream_tbENKUlT_T0_E_clISt17integral_constantIbLb0EES15_EEDaS10_S11_EUlS10_E_NS1_11comp_targetILNS1_3genE10ELNS1_11target_archE1201ELNS1_3gpuE5ELNS1_3repE0EEENS1_30default_config_static_selectorELNS0_4arch9wavefront6targetE0EEEvT1_,@function
_ZN7rocprim17ROCPRIM_400000_NS6detail17trampoline_kernelINS0_14default_configENS1_27scan_by_key_config_selectorIiiEEZZNS1_16scan_by_key_implILNS1_25lookback_scan_determinismE0ELb0ES3_N6thrust23THRUST_200600_302600_NS18transform_iteratorI9which_rowNS9_17counting_iteratorIiNS9_11use_defaultESD_SD_EESD_SD_EENS9_6detail15normal_iteratorINS9_10device_ptrIiEEEESK_iNS9_4plusIvEENS9_8equal_toIvEEiEE10hipError_tPvRmT2_T3_T4_T5_mT6_T7_P12ihipStream_tbENKUlT_T0_E_clISt17integral_constantIbLb0EES15_EEDaS10_S11_EUlS10_E_NS1_11comp_targetILNS1_3genE10ELNS1_11target_archE1201ELNS1_3gpuE5ELNS1_3repE0EEENS1_30default_config_static_selectorELNS0_4arch9wavefront6targetE0EEEvT1_: ; @_ZN7rocprim17ROCPRIM_400000_NS6detail17trampoline_kernelINS0_14default_configENS1_27scan_by_key_config_selectorIiiEEZZNS1_16scan_by_key_implILNS1_25lookback_scan_determinismE0ELb0ES3_N6thrust23THRUST_200600_302600_NS18transform_iteratorI9which_rowNS9_17counting_iteratorIiNS9_11use_defaultESD_SD_EESD_SD_EENS9_6detail15normal_iteratorINS9_10device_ptrIiEEEESK_iNS9_4plusIvEENS9_8equal_toIvEEiEE10hipError_tPvRmT2_T3_T4_T5_mT6_T7_P12ihipStream_tbENKUlT_T0_E_clISt17integral_constantIbLb0EES15_EEDaS10_S11_EUlS10_E_NS1_11comp_targetILNS1_3genE10ELNS1_11target_archE1201ELNS1_3gpuE5ELNS1_3repE0EEENS1_30default_config_static_selectorELNS0_4arch9wavefront6targetE0EEEvT1_
; %bb.0:
	.section	.rodata,"a",@progbits
	.p2align	6, 0x0
	.amdhsa_kernel _ZN7rocprim17ROCPRIM_400000_NS6detail17trampoline_kernelINS0_14default_configENS1_27scan_by_key_config_selectorIiiEEZZNS1_16scan_by_key_implILNS1_25lookback_scan_determinismE0ELb0ES3_N6thrust23THRUST_200600_302600_NS18transform_iteratorI9which_rowNS9_17counting_iteratorIiNS9_11use_defaultESD_SD_EESD_SD_EENS9_6detail15normal_iteratorINS9_10device_ptrIiEEEESK_iNS9_4plusIvEENS9_8equal_toIvEEiEE10hipError_tPvRmT2_T3_T4_T5_mT6_T7_P12ihipStream_tbENKUlT_T0_E_clISt17integral_constantIbLb0EES15_EEDaS10_S11_EUlS10_E_NS1_11comp_targetILNS1_3genE10ELNS1_11target_archE1201ELNS1_3gpuE5ELNS1_3repE0EEENS1_30default_config_static_selectorELNS0_4arch9wavefront6targetE0EEEvT1_
		.amdhsa_group_segment_fixed_size 0
		.amdhsa_private_segment_fixed_size 0
		.amdhsa_kernarg_size 112
		.amdhsa_user_sgpr_count 2
		.amdhsa_user_sgpr_dispatch_ptr 0
		.amdhsa_user_sgpr_queue_ptr 0
		.amdhsa_user_sgpr_kernarg_segment_ptr 1
		.amdhsa_user_sgpr_dispatch_id 0
		.amdhsa_user_sgpr_kernarg_preload_length 0
		.amdhsa_user_sgpr_kernarg_preload_offset 0
		.amdhsa_user_sgpr_private_segment_size 0
		.amdhsa_wavefront_size32 1
		.amdhsa_uses_dynamic_stack 0
		.amdhsa_enable_private_segment 0
		.amdhsa_system_sgpr_workgroup_id_x 1
		.amdhsa_system_sgpr_workgroup_id_y 0
		.amdhsa_system_sgpr_workgroup_id_z 0
		.amdhsa_system_sgpr_workgroup_info 0
		.amdhsa_system_vgpr_workitem_id 0
		.amdhsa_next_free_vgpr 1
		.amdhsa_next_free_sgpr 1
		.amdhsa_named_barrier_count 0
		.amdhsa_reserve_vcc 0
		.amdhsa_float_round_mode_32 0
		.amdhsa_float_round_mode_16_64 0
		.amdhsa_float_denorm_mode_32 3
		.amdhsa_float_denorm_mode_16_64 3
		.amdhsa_fp16_overflow 0
		.amdhsa_memory_ordered 1
		.amdhsa_forward_progress 1
		.amdhsa_inst_pref_size 0
		.amdhsa_round_robin_scheduling 0
		.amdhsa_exception_fp_ieee_invalid_op 0
		.amdhsa_exception_fp_denorm_src 0
		.amdhsa_exception_fp_ieee_div_zero 0
		.amdhsa_exception_fp_ieee_overflow 0
		.amdhsa_exception_fp_ieee_underflow 0
		.amdhsa_exception_fp_ieee_inexact 0
		.amdhsa_exception_int_div_zero 0
	.end_amdhsa_kernel
	.section	.text._ZN7rocprim17ROCPRIM_400000_NS6detail17trampoline_kernelINS0_14default_configENS1_27scan_by_key_config_selectorIiiEEZZNS1_16scan_by_key_implILNS1_25lookback_scan_determinismE0ELb0ES3_N6thrust23THRUST_200600_302600_NS18transform_iteratorI9which_rowNS9_17counting_iteratorIiNS9_11use_defaultESD_SD_EESD_SD_EENS9_6detail15normal_iteratorINS9_10device_ptrIiEEEESK_iNS9_4plusIvEENS9_8equal_toIvEEiEE10hipError_tPvRmT2_T3_T4_T5_mT6_T7_P12ihipStream_tbENKUlT_T0_E_clISt17integral_constantIbLb0EES15_EEDaS10_S11_EUlS10_E_NS1_11comp_targetILNS1_3genE10ELNS1_11target_archE1201ELNS1_3gpuE5ELNS1_3repE0EEENS1_30default_config_static_selectorELNS0_4arch9wavefront6targetE0EEEvT1_,"axG",@progbits,_ZN7rocprim17ROCPRIM_400000_NS6detail17trampoline_kernelINS0_14default_configENS1_27scan_by_key_config_selectorIiiEEZZNS1_16scan_by_key_implILNS1_25lookback_scan_determinismE0ELb0ES3_N6thrust23THRUST_200600_302600_NS18transform_iteratorI9which_rowNS9_17counting_iteratorIiNS9_11use_defaultESD_SD_EESD_SD_EENS9_6detail15normal_iteratorINS9_10device_ptrIiEEEESK_iNS9_4plusIvEENS9_8equal_toIvEEiEE10hipError_tPvRmT2_T3_T4_T5_mT6_T7_P12ihipStream_tbENKUlT_T0_E_clISt17integral_constantIbLb0EES15_EEDaS10_S11_EUlS10_E_NS1_11comp_targetILNS1_3genE10ELNS1_11target_archE1201ELNS1_3gpuE5ELNS1_3repE0EEENS1_30default_config_static_selectorELNS0_4arch9wavefront6targetE0EEEvT1_,comdat
.Lfunc_end87:
	.size	_ZN7rocprim17ROCPRIM_400000_NS6detail17trampoline_kernelINS0_14default_configENS1_27scan_by_key_config_selectorIiiEEZZNS1_16scan_by_key_implILNS1_25lookback_scan_determinismE0ELb0ES3_N6thrust23THRUST_200600_302600_NS18transform_iteratorI9which_rowNS9_17counting_iteratorIiNS9_11use_defaultESD_SD_EESD_SD_EENS9_6detail15normal_iteratorINS9_10device_ptrIiEEEESK_iNS9_4plusIvEENS9_8equal_toIvEEiEE10hipError_tPvRmT2_T3_T4_T5_mT6_T7_P12ihipStream_tbENKUlT_T0_E_clISt17integral_constantIbLb0EES15_EEDaS10_S11_EUlS10_E_NS1_11comp_targetILNS1_3genE10ELNS1_11target_archE1201ELNS1_3gpuE5ELNS1_3repE0EEENS1_30default_config_static_selectorELNS0_4arch9wavefront6targetE0EEEvT1_, .Lfunc_end87-_ZN7rocprim17ROCPRIM_400000_NS6detail17trampoline_kernelINS0_14default_configENS1_27scan_by_key_config_selectorIiiEEZZNS1_16scan_by_key_implILNS1_25lookback_scan_determinismE0ELb0ES3_N6thrust23THRUST_200600_302600_NS18transform_iteratorI9which_rowNS9_17counting_iteratorIiNS9_11use_defaultESD_SD_EESD_SD_EENS9_6detail15normal_iteratorINS9_10device_ptrIiEEEESK_iNS9_4plusIvEENS9_8equal_toIvEEiEE10hipError_tPvRmT2_T3_T4_T5_mT6_T7_P12ihipStream_tbENKUlT_T0_E_clISt17integral_constantIbLb0EES15_EEDaS10_S11_EUlS10_E_NS1_11comp_targetILNS1_3genE10ELNS1_11target_archE1201ELNS1_3gpuE5ELNS1_3repE0EEENS1_30default_config_static_selectorELNS0_4arch9wavefront6targetE0EEEvT1_
                                        ; -- End function
	.set _ZN7rocprim17ROCPRIM_400000_NS6detail17trampoline_kernelINS0_14default_configENS1_27scan_by_key_config_selectorIiiEEZZNS1_16scan_by_key_implILNS1_25lookback_scan_determinismE0ELb0ES3_N6thrust23THRUST_200600_302600_NS18transform_iteratorI9which_rowNS9_17counting_iteratorIiNS9_11use_defaultESD_SD_EESD_SD_EENS9_6detail15normal_iteratorINS9_10device_ptrIiEEEESK_iNS9_4plusIvEENS9_8equal_toIvEEiEE10hipError_tPvRmT2_T3_T4_T5_mT6_T7_P12ihipStream_tbENKUlT_T0_E_clISt17integral_constantIbLb0EES15_EEDaS10_S11_EUlS10_E_NS1_11comp_targetILNS1_3genE10ELNS1_11target_archE1201ELNS1_3gpuE5ELNS1_3repE0EEENS1_30default_config_static_selectorELNS0_4arch9wavefront6targetE0EEEvT1_.num_vgpr, 0
	.set _ZN7rocprim17ROCPRIM_400000_NS6detail17trampoline_kernelINS0_14default_configENS1_27scan_by_key_config_selectorIiiEEZZNS1_16scan_by_key_implILNS1_25lookback_scan_determinismE0ELb0ES3_N6thrust23THRUST_200600_302600_NS18transform_iteratorI9which_rowNS9_17counting_iteratorIiNS9_11use_defaultESD_SD_EESD_SD_EENS9_6detail15normal_iteratorINS9_10device_ptrIiEEEESK_iNS9_4plusIvEENS9_8equal_toIvEEiEE10hipError_tPvRmT2_T3_T4_T5_mT6_T7_P12ihipStream_tbENKUlT_T0_E_clISt17integral_constantIbLb0EES15_EEDaS10_S11_EUlS10_E_NS1_11comp_targetILNS1_3genE10ELNS1_11target_archE1201ELNS1_3gpuE5ELNS1_3repE0EEENS1_30default_config_static_selectorELNS0_4arch9wavefront6targetE0EEEvT1_.num_agpr, 0
	.set _ZN7rocprim17ROCPRIM_400000_NS6detail17trampoline_kernelINS0_14default_configENS1_27scan_by_key_config_selectorIiiEEZZNS1_16scan_by_key_implILNS1_25lookback_scan_determinismE0ELb0ES3_N6thrust23THRUST_200600_302600_NS18transform_iteratorI9which_rowNS9_17counting_iteratorIiNS9_11use_defaultESD_SD_EESD_SD_EENS9_6detail15normal_iteratorINS9_10device_ptrIiEEEESK_iNS9_4plusIvEENS9_8equal_toIvEEiEE10hipError_tPvRmT2_T3_T4_T5_mT6_T7_P12ihipStream_tbENKUlT_T0_E_clISt17integral_constantIbLb0EES15_EEDaS10_S11_EUlS10_E_NS1_11comp_targetILNS1_3genE10ELNS1_11target_archE1201ELNS1_3gpuE5ELNS1_3repE0EEENS1_30default_config_static_selectorELNS0_4arch9wavefront6targetE0EEEvT1_.numbered_sgpr, 0
	.set _ZN7rocprim17ROCPRIM_400000_NS6detail17trampoline_kernelINS0_14default_configENS1_27scan_by_key_config_selectorIiiEEZZNS1_16scan_by_key_implILNS1_25lookback_scan_determinismE0ELb0ES3_N6thrust23THRUST_200600_302600_NS18transform_iteratorI9which_rowNS9_17counting_iteratorIiNS9_11use_defaultESD_SD_EESD_SD_EENS9_6detail15normal_iteratorINS9_10device_ptrIiEEEESK_iNS9_4plusIvEENS9_8equal_toIvEEiEE10hipError_tPvRmT2_T3_T4_T5_mT6_T7_P12ihipStream_tbENKUlT_T0_E_clISt17integral_constantIbLb0EES15_EEDaS10_S11_EUlS10_E_NS1_11comp_targetILNS1_3genE10ELNS1_11target_archE1201ELNS1_3gpuE5ELNS1_3repE0EEENS1_30default_config_static_selectorELNS0_4arch9wavefront6targetE0EEEvT1_.num_named_barrier, 0
	.set _ZN7rocprim17ROCPRIM_400000_NS6detail17trampoline_kernelINS0_14default_configENS1_27scan_by_key_config_selectorIiiEEZZNS1_16scan_by_key_implILNS1_25lookback_scan_determinismE0ELb0ES3_N6thrust23THRUST_200600_302600_NS18transform_iteratorI9which_rowNS9_17counting_iteratorIiNS9_11use_defaultESD_SD_EESD_SD_EENS9_6detail15normal_iteratorINS9_10device_ptrIiEEEESK_iNS9_4plusIvEENS9_8equal_toIvEEiEE10hipError_tPvRmT2_T3_T4_T5_mT6_T7_P12ihipStream_tbENKUlT_T0_E_clISt17integral_constantIbLb0EES15_EEDaS10_S11_EUlS10_E_NS1_11comp_targetILNS1_3genE10ELNS1_11target_archE1201ELNS1_3gpuE5ELNS1_3repE0EEENS1_30default_config_static_selectorELNS0_4arch9wavefront6targetE0EEEvT1_.private_seg_size, 0
	.set _ZN7rocprim17ROCPRIM_400000_NS6detail17trampoline_kernelINS0_14default_configENS1_27scan_by_key_config_selectorIiiEEZZNS1_16scan_by_key_implILNS1_25lookback_scan_determinismE0ELb0ES3_N6thrust23THRUST_200600_302600_NS18transform_iteratorI9which_rowNS9_17counting_iteratorIiNS9_11use_defaultESD_SD_EESD_SD_EENS9_6detail15normal_iteratorINS9_10device_ptrIiEEEESK_iNS9_4plusIvEENS9_8equal_toIvEEiEE10hipError_tPvRmT2_T3_T4_T5_mT6_T7_P12ihipStream_tbENKUlT_T0_E_clISt17integral_constantIbLb0EES15_EEDaS10_S11_EUlS10_E_NS1_11comp_targetILNS1_3genE10ELNS1_11target_archE1201ELNS1_3gpuE5ELNS1_3repE0EEENS1_30default_config_static_selectorELNS0_4arch9wavefront6targetE0EEEvT1_.uses_vcc, 0
	.set _ZN7rocprim17ROCPRIM_400000_NS6detail17trampoline_kernelINS0_14default_configENS1_27scan_by_key_config_selectorIiiEEZZNS1_16scan_by_key_implILNS1_25lookback_scan_determinismE0ELb0ES3_N6thrust23THRUST_200600_302600_NS18transform_iteratorI9which_rowNS9_17counting_iteratorIiNS9_11use_defaultESD_SD_EESD_SD_EENS9_6detail15normal_iteratorINS9_10device_ptrIiEEEESK_iNS9_4plusIvEENS9_8equal_toIvEEiEE10hipError_tPvRmT2_T3_T4_T5_mT6_T7_P12ihipStream_tbENKUlT_T0_E_clISt17integral_constantIbLb0EES15_EEDaS10_S11_EUlS10_E_NS1_11comp_targetILNS1_3genE10ELNS1_11target_archE1201ELNS1_3gpuE5ELNS1_3repE0EEENS1_30default_config_static_selectorELNS0_4arch9wavefront6targetE0EEEvT1_.uses_flat_scratch, 0
	.set _ZN7rocprim17ROCPRIM_400000_NS6detail17trampoline_kernelINS0_14default_configENS1_27scan_by_key_config_selectorIiiEEZZNS1_16scan_by_key_implILNS1_25lookback_scan_determinismE0ELb0ES3_N6thrust23THRUST_200600_302600_NS18transform_iteratorI9which_rowNS9_17counting_iteratorIiNS9_11use_defaultESD_SD_EESD_SD_EENS9_6detail15normal_iteratorINS9_10device_ptrIiEEEESK_iNS9_4plusIvEENS9_8equal_toIvEEiEE10hipError_tPvRmT2_T3_T4_T5_mT6_T7_P12ihipStream_tbENKUlT_T0_E_clISt17integral_constantIbLb0EES15_EEDaS10_S11_EUlS10_E_NS1_11comp_targetILNS1_3genE10ELNS1_11target_archE1201ELNS1_3gpuE5ELNS1_3repE0EEENS1_30default_config_static_selectorELNS0_4arch9wavefront6targetE0EEEvT1_.has_dyn_sized_stack, 0
	.set _ZN7rocprim17ROCPRIM_400000_NS6detail17trampoline_kernelINS0_14default_configENS1_27scan_by_key_config_selectorIiiEEZZNS1_16scan_by_key_implILNS1_25lookback_scan_determinismE0ELb0ES3_N6thrust23THRUST_200600_302600_NS18transform_iteratorI9which_rowNS9_17counting_iteratorIiNS9_11use_defaultESD_SD_EESD_SD_EENS9_6detail15normal_iteratorINS9_10device_ptrIiEEEESK_iNS9_4plusIvEENS9_8equal_toIvEEiEE10hipError_tPvRmT2_T3_T4_T5_mT6_T7_P12ihipStream_tbENKUlT_T0_E_clISt17integral_constantIbLb0EES15_EEDaS10_S11_EUlS10_E_NS1_11comp_targetILNS1_3genE10ELNS1_11target_archE1201ELNS1_3gpuE5ELNS1_3repE0EEENS1_30default_config_static_selectorELNS0_4arch9wavefront6targetE0EEEvT1_.has_recursion, 0
	.set _ZN7rocprim17ROCPRIM_400000_NS6detail17trampoline_kernelINS0_14default_configENS1_27scan_by_key_config_selectorIiiEEZZNS1_16scan_by_key_implILNS1_25lookback_scan_determinismE0ELb0ES3_N6thrust23THRUST_200600_302600_NS18transform_iteratorI9which_rowNS9_17counting_iteratorIiNS9_11use_defaultESD_SD_EESD_SD_EENS9_6detail15normal_iteratorINS9_10device_ptrIiEEEESK_iNS9_4plusIvEENS9_8equal_toIvEEiEE10hipError_tPvRmT2_T3_T4_T5_mT6_T7_P12ihipStream_tbENKUlT_T0_E_clISt17integral_constantIbLb0EES15_EEDaS10_S11_EUlS10_E_NS1_11comp_targetILNS1_3genE10ELNS1_11target_archE1201ELNS1_3gpuE5ELNS1_3repE0EEENS1_30default_config_static_selectorELNS0_4arch9wavefront6targetE0EEEvT1_.has_indirect_call, 0
	.section	.AMDGPU.csdata,"",@progbits
; Kernel info:
; codeLenInByte = 0
; TotalNumSgprs: 0
; NumVgprs: 0
; ScratchSize: 0
; MemoryBound: 0
; FloatMode: 240
; IeeeMode: 1
; LDSByteSize: 0 bytes/workgroup (compile time only)
; SGPRBlocks: 0
; VGPRBlocks: 0
; NumSGPRsForWavesPerEU: 1
; NumVGPRsForWavesPerEU: 1
; NamedBarCnt: 0
; Occupancy: 16
; WaveLimiterHint : 0
; COMPUTE_PGM_RSRC2:SCRATCH_EN: 0
; COMPUTE_PGM_RSRC2:USER_SGPR: 2
; COMPUTE_PGM_RSRC2:TRAP_HANDLER: 0
; COMPUTE_PGM_RSRC2:TGID_X_EN: 1
; COMPUTE_PGM_RSRC2:TGID_Y_EN: 0
; COMPUTE_PGM_RSRC2:TGID_Z_EN: 0
; COMPUTE_PGM_RSRC2:TIDIG_COMP_CNT: 0
	.section	.text._ZN7rocprim17ROCPRIM_400000_NS6detail17trampoline_kernelINS0_14default_configENS1_27scan_by_key_config_selectorIiiEEZZNS1_16scan_by_key_implILNS1_25lookback_scan_determinismE0ELb0ES3_N6thrust23THRUST_200600_302600_NS18transform_iteratorI9which_rowNS9_17counting_iteratorIiNS9_11use_defaultESD_SD_EESD_SD_EENS9_6detail15normal_iteratorINS9_10device_ptrIiEEEESK_iNS9_4plusIvEENS9_8equal_toIvEEiEE10hipError_tPvRmT2_T3_T4_T5_mT6_T7_P12ihipStream_tbENKUlT_T0_E_clISt17integral_constantIbLb0EES15_EEDaS10_S11_EUlS10_E_NS1_11comp_targetILNS1_3genE5ELNS1_11target_archE942ELNS1_3gpuE9ELNS1_3repE0EEENS1_30default_config_static_selectorELNS0_4arch9wavefront6targetE0EEEvT1_,"axG",@progbits,_ZN7rocprim17ROCPRIM_400000_NS6detail17trampoline_kernelINS0_14default_configENS1_27scan_by_key_config_selectorIiiEEZZNS1_16scan_by_key_implILNS1_25lookback_scan_determinismE0ELb0ES3_N6thrust23THRUST_200600_302600_NS18transform_iteratorI9which_rowNS9_17counting_iteratorIiNS9_11use_defaultESD_SD_EESD_SD_EENS9_6detail15normal_iteratorINS9_10device_ptrIiEEEESK_iNS9_4plusIvEENS9_8equal_toIvEEiEE10hipError_tPvRmT2_T3_T4_T5_mT6_T7_P12ihipStream_tbENKUlT_T0_E_clISt17integral_constantIbLb0EES15_EEDaS10_S11_EUlS10_E_NS1_11comp_targetILNS1_3genE5ELNS1_11target_archE942ELNS1_3gpuE9ELNS1_3repE0EEENS1_30default_config_static_selectorELNS0_4arch9wavefront6targetE0EEEvT1_,comdat
	.protected	_ZN7rocprim17ROCPRIM_400000_NS6detail17trampoline_kernelINS0_14default_configENS1_27scan_by_key_config_selectorIiiEEZZNS1_16scan_by_key_implILNS1_25lookback_scan_determinismE0ELb0ES3_N6thrust23THRUST_200600_302600_NS18transform_iteratorI9which_rowNS9_17counting_iteratorIiNS9_11use_defaultESD_SD_EESD_SD_EENS9_6detail15normal_iteratorINS9_10device_ptrIiEEEESK_iNS9_4plusIvEENS9_8equal_toIvEEiEE10hipError_tPvRmT2_T3_T4_T5_mT6_T7_P12ihipStream_tbENKUlT_T0_E_clISt17integral_constantIbLb0EES15_EEDaS10_S11_EUlS10_E_NS1_11comp_targetILNS1_3genE5ELNS1_11target_archE942ELNS1_3gpuE9ELNS1_3repE0EEENS1_30default_config_static_selectorELNS0_4arch9wavefront6targetE0EEEvT1_ ; -- Begin function _ZN7rocprim17ROCPRIM_400000_NS6detail17trampoline_kernelINS0_14default_configENS1_27scan_by_key_config_selectorIiiEEZZNS1_16scan_by_key_implILNS1_25lookback_scan_determinismE0ELb0ES3_N6thrust23THRUST_200600_302600_NS18transform_iteratorI9which_rowNS9_17counting_iteratorIiNS9_11use_defaultESD_SD_EESD_SD_EENS9_6detail15normal_iteratorINS9_10device_ptrIiEEEESK_iNS9_4plusIvEENS9_8equal_toIvEEiEE10hipError_tPvRmT2_T3_T4_T5_mT6_T7_P12ihipStream_tbENKUlT_T0_E_clISt17integral_constantIbLb0EES15_EEDaS10_S11_EUlS10_E_NS1_11comp_targetILNS1_3genE5ELNS1_11target_archE942ELNS1_3gpuE9ELNS1_3repE0EEENS1_30default_config_static_selectorELNS0_4arch9wavefront6targetE0EEEvT1_
	.globl	_ZN7rocprim17ROCPRIM_400000_NS6detail17trampoline_kernelINS0_14default_configENS1_27scan_by_key_config_selectorIiiEEZZNS1_16scan_by_key_implILNS1_25lookback_scan_determinismE0ELb0ES3_N6thrust23THRUST_200600_302600_NS18transform_iteratorI9which_rowNS9_17counting_iteratorIiNS9_11use_defaultESD_SD_EESD_SD_EENS9_6detail15normal_iteratorINS9_10device_ptrIiEEEESK_iNS9_4plusIvEENS9_8equal_toIvEEiEE10hipError_tPvRmT2_T3_T4_T5_mT6_T7_P12ihipStream_tbENKUlT_T0_E_clISt17integral_constantIbLb0EES15_EEDaS10_S11_EUlS10_E_NS1_11comp_targetILNS1_3genE5ELNS1_11target_archE942ELNS1_3gpuE9ELNS1_3repE0EEENS1_30default_config_static_selectorELNS0_4arch9wavefront6targetE0EEEvT1_
	.p2align	8
	.type	_ZN7rocprim17ROCPRIM_400000_NS6detail17trampoline_kernelINS0_14default_configENS1_27scan_by_key_config_selectorIiiEEZZNS1_16scan_by_key_implILNS1_25lookback_scan_determinismE0ELb0ES3_N6thrust23THRUST_200600_302600_NS18transform_iteratorI9which_rowNS9_17counting_iteratorIiNS9_11use_defaultESD_SD_EESD_SD_EENS9_6detail15normal_iteratorINS9_10device_ptrIiEEEESK_iNS9_4plusIvEENS9_8equal_toIvEEiEE10hipError_tPvRmT2_T3_T4_T5_mT6_T7_P12ihipStream_tbENKUlT_T0_E_clISt17integral_constantIbLb0EES15_EEDaS10_S11_EUlS10_E_NS1_11comp_targetILNS1_3genE5ELNS1_11target_archE942ELNS1_3gpuE9ELNS1_3repE0EEENS1_30default_config_static_selectorELNS0_4arch9wavefront6targetE0EEEvT1_,@function
_ZN7rocprim17ROCPRIM_400000_NS6detail17trampoline_kernelINS0_14default_configENS1_27scan_by_key_config_selectorIiiEEZZNS1_16scan_by_key_implILNS1_25lookback_scan_determinismE0ELb0ES3_N6thrust23THRUST_200600_302600_NS18transform_iteratorI9which_rowNS9_17counting_iteratorIiNS9_11use_defaultESD_SD_EESD_SD_EENS9_6detail15normal_iteratorINS9_10device_ptrIiEEEESK_iNS9_4plusIvEENS9_8equal_toIvEEiEE10hipError_tPvRmT2_T3_T4_T5_mT6_T7_P12ihipStream_tbENKUlT_T0_E_clISt17integral_constantIbLb0EES15_EEDaS10_S11_EUlS10_E_NS1_11comp_targetILNS1_3genE5ELNS1_11target_archE942ELNS1_3gpuE9ELNS1_3repE0EEENS1_30default_config_static_selectorELNS0_4arch9wavefront6targetE0EEEvT1_: ; @_ZN7rocprim17ROCPRIM_400000_NS6detail17trampoline_kernelINS0_14default_configENS1_27scan_by_key_config_selectorIiiEEZZNS1_16scan_by_key_implILNS1_25lookback_scan_determinismE0ELb0ES3_N6thrust23THRUST_200600_302600_NS18transform_iteratorI9which_rowNS9_17counting_iteratorIiNS9_11use_defaultESD_SD_EESD_SD_EENS9_6detail15normal_iteratorINS9_10device_ptrIiEEEESK_iNS9_4plusIvEENS9_8equal_toIvEEiEE10hipError_tPvRmT2_T3_T4_T5_mT6_T7_P12ihipStream_tbENKUlT_T0_E_clISt17integral_constantIbLb0EES15_EEDaS10_S11_EUlS10_E_NS1_11comp_targetILNS1_3genE5ELNS1_11target_archE942ELNS1_3gpuE9ELNS1_3repE0EEENS1_30default_config_static_selectorELNS0_4arch9wavefront6targetE0EEEvT1_
; %bb.0:
	.section	.rodata,"a",@progbits
	.p2align	6, 0x0
	.amdhsa_kernel _ZN7rocprim17ROCPRIM_400000_NS6detail17trampoline_kernelINS0_14default_configENS1_27scan_by_key_config_selectorIiiEEZZNS1_16scan_by_key_implILNS1_25lookback_scan_determinismE0ELb0ES3_N6thrust23THRUST_200600_302600_NS18transform_iteratorI9which_rowNS9_17counting_iteratorIiNS9_11use_defaultESD_SD_EESD_SD_EENS9_6detail15normal_iteratorINS9_10device_ptrIiEEEESK_iNS9_4plusIvEENS9_8equal_toIvEEiEE10hipError_tPvRmT2_T3_T4_T5_mT6_T7_P12ihipStream_tbENKUlT_T0_E_clISt17integral_constantIbLb0EES15_EEDaS10_S11_EUlS10_E_NS1_11comp_targetILNS1_3genE5ELNS1_11target_archE942ELNS1_3gpuE9ELNS1_3repE0EEENS1_30default_config_static_selectorELNS0_4arch9wavefront6targetE0EEEvT1_
		.amdhsa_group_segment_fixed_size 0
		.amdhsa_private_segment_fixed_size 0
		.amdhsa_kernarg_size 112
		.amdhsa_user_sgpr_count 2
		.amdhsa_user_sgpr_dispatch_ptr 0
		.amdhsa_user_sgpr_queue_ptr 0
		.amdhsa_user_sgpr_kernarg_segment_ptr 1
		.amdhsa_user_sgpr_dispatch_id 0
		.amdhsa_user_sgpr_kernarg_preload_length 0
		.amdhsa_user_sgpr_kernarg_preload_offset 0
		.amdhsa_user_sgpr_private_segment_size 0
		.amdhsa_wavefront_size32 1
		.amdhsa_uses_dynamic_stack 0
		.amdhsa_enable_private_segment 0
		.amdhsa_system_sgpr_workgroup_id_x 1
		.amdhsa_system_sgpr_workgroup_id_y 0
		.amdhsa_system_sgpr_workgroup_id_z 0
		.amdhsa_system_sgpr_workgroup_info 0
		.amdhsa_system_vgpr_workitem_id 0
		.amdhsa_next_free_vgpr 1
		.amdhsa_next_free_sgpr 1
		.amdhsa_named_barrier_count 0
		.amdhsa_reserve_vcc 0
		.amdhsa_float_round_mode_32 0
		.amdhsa_float_round_mode_16_64 0
		.amdhsa_float_denorm_mode_32 3
		.amdhsa_float_denorm_mode_16_64 3
		.amdhsa_fp16_overflow 0
		.amdhsa_memory_ordered 1
		.amdhsa_forward_progress 1
		.amdhsa_inst_pref_size 0
		.amdhsa_round_robin_scheduling 0
		.amdhsa_exception_fp_ieee_invalid_op 0
		.amdhsa_exception_fp_denorm_src 0
		.amdhsa_exception_fp_ieee_div_zero 0
		.amdhsa_exception_fp_ieee_overflow 0
		.amdhsa_exception_fp_ieee_underflow 0
		.amdhsa_exception_fp_ieee_inexact 0
		.amdhsa_exception_int_div_zero 0
	.end_amdhsa_kernel
	.section	.text._ZN7rocprim17ROCPRIM_400000_NS6detail17trampoline_kernelINS0_14default_configENS1_27scan_by_key_config_selectorIiiEEZZNS1_16scan_by_key_implILNS1_25lookback_scan_determinismE0ELb0ES3_N6thrust23THRUST_200600_302600_NS18transform_iteratorI9which_rowNS9_17counting_iteratorIiNS9_11use_defaultESD_SD_EESD_SD_EENS9_6detail15normal_iteratorINS9_10device_ptrIiEEEESK_iNS9_4plusIvEENS9_8equal_toIvEEiEE10hipError_tPvRmT2_T3_T4_T5_mT6_T7_P12ihipStream_tbENKUlT_T0_E_clISt17integral_constantIbLb0EES15_EEDaS10_S11_EUlS10_E_NS1_11comp_targetILNS1_3genE5ELNS1_11target_archE942ELNS1_3gpuE9ELNS1_3repE0EEENS1_30default_config_static_selectorELNS0_4arch9wavefront6targetE0EEEvT1_,"axG",@progbits,_ZN7rocprim17ROCPRIM_400000_NS6detail17trampoline_kernelINS0_14default_configENS1_27scan_by_key_config_selectorIiiEEZZNS1_16scan_by_key_implILNS1_25lookback_scan_determinismE0ELb0ES3_N6thrust23THRUST_200600_302600_NS18transform_iteratorI9which_rowNS9_17counting_iteratorIiNS9_11use_defaultESD_SD_EESD_SD_EENS9_6detail15normal_iteratorINS9_10device_ptrIiEEEESK_iNS9_4plusIvEENS9_8equal_toIvEEiEE10hipError_tPvRmT2_T3_T4_T5_mT6_T7_P12ihipStream_tbENKUlT_T0_E_clISt17integral_constantIbLb0EES15_EEDaS10_S11_EUlS10_E_NS1_11comp_targetILNS1_3genE5ELNS1_11target_archE942ELNS1_3gpuE9ELNS1_3repE0EEENS1_30default_config_static_selectorELNS0_4arch9wavefront6targetE0EEEvT1_,comdat
.Lfunc_end88:
	.size	_ZN7rocprim17ROCPRIM_400000_NS6detail17trampoline_kernelINS0_14default_configENS1_27scan_by_key_config_selectorIiiEEZZNS1_16scan_by_key_implILNS1_25lookback_scan_determinismE0ELb0ES3_N6thrust23THRUST_200600_302600_NS18transform_iteratorI9which_rowNS9_17counting_iteratorIiNS9_11use_defaultESD_SD_EESD_SD_EENS9_6detail15normal_iteratorINS9_10device_ptrIiEEEESK_iNS9_4plusIvEENS9_8equal_toIvEEiEE10hipError_tPvRmT2_T3_T4_T5_mT6_T7_P12ihipStream_tbENKUlT_T0_E_clISt17integral_constantIbLb0EES15_EEDaS10_S11_EUlS10_E_NS1_11comp_targetILNS1_3genE5ELNS1_11target_archE942ELNS1_3gpuE9ELNS1_3repE0EEENS1_30default_config_static_selectorELNS0_4arch9wavefront6targetE0EEEvT1_, .Lfunc_end88-_ZN7rocprim17ROCPRIM_400000_NS6detail17trampoline_kernelINS0_14default_configENS1_27scan_by_key_config_selectorIiiEEZZNS1_16scan_by_key_implILNS1_25lookback_scan_determinismE0ELb0ES3_N6thrust23THRUST_200600_302600_NS18transform_iteratorI9which_rowNS9_17counting_iteratorIiNS9_11use_defaultESD_SD_EESD_SD_EENS9_6detail15normal_iteratorINS9_10device_ptrIiEEEESK_iNS9_4plusIvEENS9_8equal_toIvEEiEE10hipError_tPvRmT2_T3_T4_T5_mT6_T7_P12ihipStream_tbENKUlT_T0_E_clISt17integral_constantIbLb0EES15_EEDaS10_S11_EUlS10_E_NS1_11comp_targetILNS1_3genE5ELNS1_11target_archE942ELNS1_3gpuE9ELNS1_3repE0EEENS1_30default_config_static_selectorELNS0_4arch9wavefront6targetE0EEEvT1_
                                        ; -- End function
	.set _ZN7rocprim17ROCPRIM_400000_NS6detail17trampoline_kernelINS0_14default_configENS1_27scan_by_key_config_selectorIiiEEZZNS1_16scan_by_key_implILNS1_25lookback_scan_determinismE0ELb0ES3_N6thrust23THRUST_200600_302600_NS18transform_iteratorI9which_rowNS9_17counting_iteratorIiNS9_11use_defaultESD_SD_EESD_SD_EENS9_6detail15normal_iteratorINS9_10device_ptrIiEEEESK_iNS9_4plusIvEENS9_8equal_toIvEEiEE10hipError_tPvRmT2_T3_T4_T5_mT6_T7_P12ihipStream_tbENKUlT_T0_E_clISt17integral_constantIbLb0EES15_EEDaS10_S11_EUlS10_E_NS1_11comp_targetILNS1_3genE5ELNS1_11target_archE942ELNS1_3gpuE9ELNS1_3repE0EEENS1_30default_config_static_selectorELNS0_4arch9wavefront6targetE0EEEvT1_.num_vgpr, 0
	.set _ZN7rocprim17ROCPRIM_400000_NS6detail17trampoline_kernelINS0_14default_configENS1_27scan_by_key_config_selectorIiiEEZZNS1_16scan_by_key_implILNS1_25lookback_scan_determinismE0ELb0ES3_N6thrust23THRUST_200600_302600_NS18transform_iteratorI9which_rowNS9_17counting_iteratorIiNS9_11use_defaultESD_SD_EESD_SD_EENS9_6detail15normal_iteratorINS9_10device_ptrIiEEEESK_iNS9_4plusIvEENS9_8equal_toIvEEiEE10hipError_tPvRmT2_T3_T4_T5_mT6_T7_P12ihipStream_tbENKUlT_T0_E_clISt17integral_constantIbLb0EES15_EEDaS10_S11_EUlS10_E_NS1_11comp_targetILNS1_3genE5ELNS1_11target_archE942ELNS1_3gpuE9ELNS1_3repE0EEENS1_30default_config_static_selectorELNS0_4arch9wavefront6targetE0EEEvT1_.num_agpr, 0
	.set _ZN7rocprim17ROCPRIM_400000_NS6detail17trampoline_kernelINS0_14default_configENS1_27scan_by_key_config_selectorIiiEEZZNS1_16scan_by_key_implILNS1_25lookback_scan_determinismE0ELb0ES3_N6thrust23THRUST_200600_302600_NS18transform_iteratorI9which_rowNS9_17counting_iteratorIiNS9_11use_defaultESD_SD_EESD_SD_EENS9_6detail15normal_iteratorINS9_10device_ptrIiEEEESK_iNS9_4plusIvEENS9_8equal_toIvEEiEE10hipError_tPvRmT2_T3_T4_T5_mT6_T7_P12ihipStream_tbENKUlT_T0_E_clISt17integral_constantIbLb0EES15_EEDaS10_S11_EUlS10_E_NS1_11comp_targetILNS1_3genE5ELNS1_11target_archE942ELNS1_3gpuE9ELNS1_3repE0EEENS1_30default_config_static_selectorELNS0_4arch9wavefront6targetE0EEEvT1_.numbered_sgpr, 0
	.set _ZN7rocprim17ROCPRIM_400000_NS6detail17trampoline_kernelINS0_14default_configENS1_27scan_by_key_config_selectorIiiEEZZNS1_16scan_by_key_implILNS1_25lookback_scan_determinismE0ELb0ES3_N6thrust23THRUST_200600_302600_NS18transform_iteratorI9which_rowNS9_17counting_iteratorIiNS9_11use_defaultESD_SD_EESD_SD_EENS9_6detail15normal_iteratorINS9_10device_ptrIiEEEESK_iNS9_4plusIvEENS9_8equal_toIvEEiEE10hipError_tPvRmT2_T3_T4_T5_mT6_T7_P12ihipStream_tbENKUlT_T0_E_clISt17integral_constantIbLb0EES15_EEDaS10_S11_EUlS10_E_NS1_11comp_targetILNS1_3genE5ELNS1_11target_archE942ELNS1_3gpuE9ELNS1_3repE0EEENS1_30default_config_static_selectorELNS0_4arch9wavefront6targetE0EEEvT1_.num_named_barrier, 0
	.set _ZN7rocprim17ROCPRIM_400000_NS6detail17trampoline_kernelINS0_14default_configENS1_27scan_by_key_config_selectorIiiEEZZNS1_16scan_by_key_implILNS1_25lookback_scan_determinismE0ELb0ES3_N6thrust23THRUST_200600_302600_NS18transform_iteratorI9which_rowNS9_17counting_iteratorIiNS9_11use_defaultESD_SD_EESD_SD_EENS9_6detail15normal_iteratorINS9_10device_ptrIiEEEESK_iNS9_4plusIvEENS9_8equal_toIvEEiEE10hipError_tPvRmT2_T3_T4_T5_mT6_T7_P12ihipStream_tbENKUlT_T0_E_clISt17integral_constantIbLb0EES15_EEDaS10_S11_EUlS10_E_NS1_11comp_targetILNS1_3genE5ELNS1_11target_archE942ELNS1_3gpuE9ELNS1_3repE0EEENS1_30default_config_static_selectorELNS0_4arch9wavefront6targetE0EEEvT1_.private_seg_size, 0
	.set _ZN7rocprim17ROCPRIM_400000_NS6detail17trampoline_kernelINS0_14default_configENS1_27scan_by_key_config_selectorIiiEEZZNS1_16scan_by_key_implILNS1_25lookback_scan_determinismE0ELb0ES3_N6thrust23THRUST_200600_302600_NS18transform_iteratorI9which_rowNS9_17counting_iteratorIiNS9_11use_defaultESD_SD_EESD_SD_EENS9_6detail15normal_iteratorINS9_10device_ptrIiEEEESK_iNS9_4plusIvEENS9_8equal_toIvEEiEE10hipError_tPvRmT2_T3_T4_T5_mT6_T7_P12ihipStream_tbENKUlT_T0_E_clISt17integral_constantIbLb0EES15_EEDaS10_S11_EUlS10_E_NS1_11comp_targetILNS1_3genE5ELNS1_11target_archE942ELNS1_3gpuE9ELNS1_3repE0EEENS1_30default_config_static_selectorELNS0_4arch9wavefront6targetE0EEEvT1_.uses_vcc, 0
	.set _ZN7rocprim17ROCPRIM_400000_NS6detail17trampoline_kernelINS0_14default_configENS1_27scan_by_key_config_selectorIiiEEZZNS1_16scan_by_key_implILNS1_25lookback_scan_determinismE0ELb0ES3_N6thrust23THRUST_200600_302600_NS18transform_iteratorI9which_rowNS9_17counting_iteratorIiNS9_11use_defaultESD_SD_EESD_SD_EENS9_6detail15normal_iteratorINS9_10device_ptrIiEEEESK_iNS9_4plusIvEENS9_8equal_toIvEEiEE10hipError_tPvRmT2_T3_T4_T5_mT6_T7_P12ihipStream_tbENKUlT_T0_E_clISt17integral_constantIbLb0EES15_EEDaS10_S11_EUlS10_E_NS1_11comp_targetILNS1_3genE5ELNS1_11target_archE942ELNS1_3gpuE9ELNS1_3repE0EEENS1_30default_config_static_selectorELNS0_4arch9wavefront6targetE0EEEvT1_.uses_flat_scratch, 0
	.set _ZN7rocprim17ROCPRIM_400000_NS6detail17trampoline_kernelINS0_14default_configENS1_27scan_by_key_config_selectorIiiEEZZNS1_16scan_by_key_implILNS1_25lookback_scan_determinismE0ELb0ES3_N6thrust23THRUST_200600_302600_NS18transform_iteratorI9which_rowNS9_17counting_iteratorIiNS9_11use_defaultESD_SD_EESD_SD_EENS9_6detail15normal_iteratorINS9_10device_ptrIiEEEESK_iNS9_4plusIvEENS9_8equal_toIvEEiEE10hipError_tPvRmT2_T3_T4_T5_mT6_T7_P12ihipStream_tbENKUlT_T0_E_clISt17integral_constantIbLb0EES15_EEDaS10_S11_EUlS10_E_NS1_11comp_targetILNS1_3genE5ELNS1_11target_archE942ELNS1_3gpuE9ELNS1_3repE0EEENS1_30default_config_static_selectorELNS0_4arch9wavefront6targetE0EEEvT1_.has_dyn_sized_stack, 0
	.set _ZN7rocprim17ROCPRIM_400000_NS6detail17trampoline_kernelINS0_14default_configENS1_27scan_by_key_config_selectorIiiEEZZNS1_16scan_by_key_implILNS1_25lookback_scan_determinismE0ELb0ES3_N6thrust23THRUST_200600_302600_NS18transform_iteratorI9which_rowNS9_17counting_iteratorIiNS9_11use_defaultESD_SD_EESD_SD_EENS9_6detail15normal_iteratorINS9_10device_ptrIiEEEESK_iNS9_4plusIvEENS9_8equal_toIvEEiEE10hipError_tPvRmT2_T3_T4_T5_mT6_T7_P12ihipStream_tbENKUlT_T0_E_clISt17integral_constantIbLb0EES15_EEDaS10_S11_EUlS10_E_NS1_11comp_targetILNS1_3genE5ELNS1_11target_archE942ELNS1_3gpuE9ELNS1_3repE0EEENS1_30default_config_static_selectorELNS0_4arch9wavefront6targetE0EEEvT1_.has_recursion, 0
	.set _ZN7rocprim17ROCPRIM_400000_NS6detail17trampoline_kernelINS0_14default_configENS1_27scan_by_key_config_selectorIiiEEZZNS1_16scan_by_key_implILNS1_25lookback_scan_determinismE0ELb0ES3_N6thrust23THRUST_200600_302600_NS18transform_iteratorI9which_rowNS9_17counting_iteratorIiNS9_11use_defaultESD_SD_EESD_SD_EENS9_6detail15normal_iteratorINS9_10device_ptrIiEEEESK_iNS9_4plusIvEENS9_8equal_toIvEEiEE10hipError_tPvRmT2_T3_T4_T5_mT6_T7_P12ihipStream_tbENKUlT_T0_E_clISt17integral_constantIbLb0EES15_EEDaS10_S11_EUlS10_E_NS1_11comp_targetILNS1_3genE5ELNS1_11target_archE942ELNS1_3gpuE9ELNS1_3repE0EEENS1_30default_config_static_selectorELNS0_4arch9wavefront6targetE0EEEvT1_.has_indirect_call, 0
	.section	.AMDGPU.csdata,"",@progbits
; Kernel info:
; codeLenInByte = 0
; TotalNumSgprs: 0
; NumVgprs: 0
; ScratchSize: 0
; MemoryBound: 0
; FloatMode: 240
; IeeeMode: 1
; LDSByteSize: 0 bytes/workgroup (compile time only)
; SGPRBlocks: 0
; VGPRBlocks: 0
; NumSGPRsForWavesPerEU: 1
; NumVGPRsForWavesPerEU: 1
; NamedBarCnt: 0
; Occupancy: 16
; WaveLimiterHint : 0
; COMPUTE_PGM_RSRC2:SCRATCH_EN: 0
; COMPUTE_PGM_RSRC2:USER_SGPR: 2
; COMPUTE_PGM_RSRC2:TRAP_HANDLER: 0
; COMPUTE_PGM_RSRC2:TGID_X_EN: 1
; COMPUTE_PGM_RSRC2:TGID_Y_EN: 0
; COMPUTE_PGM_RSRC2:TGID_Z_EN: 0
; COMPUTE_PGM_RSRC2:TIDIG_COMP_CNT: 0
	.section	.text._ZN7rocprim17ROCPRIM_400000_NS6detail17trampoline_kernelINS0_14default_configENS1_27scan_by_key_config_selectorIiiEEZZNS1_16scan_by_key_implILNS1_25lookback_scan_determinismE0ELb0ES3_N6thrust23THRUST_200600_302600_NS18transform_iteratorI9which_rowNS9_17counting_iteratorIiNS9_11use_defaultESD_SD_EESD_SD_EENS9_6detail15normal_iteratorINS9_10device_ptrIiEEEESK_iNS9_4plusIvEENS9_8equal_toIvEEiEE10hipError_tPvRmT2_T3_T4_T5_mT6_T7_P12ihipStream_tbENKUlT_T0_E_clISt17integral_constantIbLb0EES15_EEDaS10_S11_EUlS10_E_NS1_11comp_targetILNS1_3genE4ELNS1_11target_archE910ELNS1_3gpuE8ELNS1_3repE0EEENS1_30default_config_static_selectorELNS0_4arch9wavefront6targetE0EEEvT1_,"axG",@progbits,_ZN7rocprim17ROCPRIM_400000_NS6detail17trampoline_kernelINS0_14default_configENS1_27scan_by_key_config_selectorIiiEEZZNS1_16scan_by_key_implILNS1_25lookback_scan_determinismE0ELb0ES3_N6thrust23THRUST_200600_302600_NS18transform_iteratorI9which_rowNS9_17counting_iteratorIiNS9_11use_defaultESD_SD_EESD_SD_EENS9_6detail15normal_iteratorINS9_10device_ptrIiEEEESK_iNS9_4plusIvEENS9_8equal_toIvEEiEE10hipError_tPvRmT2_T3_T4_T5_mT6_T7_P12ihipStream_tbENKUlT_T0_E_clISt17integral_constantIbLb0EES15_EEDaS10_S11_EUlS10_E_NS1_11comp_targetILNS1_3genE4ELNS1_11target_archE910ELNS1_3gpuE8ELNS1_3repE0EEENS1_30default_config_static_selectorELNS0_4arch9wavefront6targetE0EEEvT1_,comdat
	.protected	_ZN7rocprim17ROCPRIM_400000_NS6detail17trampoline_kernelINS0_14default_configENS1_27scan_by_key_config_selectorIiiEEZZNS1_16scan_by_key_implILNS1_25lookback_scan_determinismE0ELb0ES3_N6thrust23THRUST_200600_302600_NS18transform_iteratorI9which_rowNS9_17counting_iteratorIiNS9_11use_defaultESD_SD_EESD_SD_EENS9_6detail15normal_iteratorINS9_10device_ptrIiEEEESK_iNS9_4plusIvEENS9_8equal_toIvEEiEE10hipError_tPvRmT2_T3_T4_T5_mT6_T7_P12ihipStream_tbENKUlT_T0_E_clISt17integral_constantIbLb0EES15_EEDaS10_S11_EUlS10_E_NS1_11comp_targetILNS1_3genE4ELNS1_11target_archE910ELNS1_3gpuE8ELNS1_3repE0EEENS1_30default_config_static_selectorELNS0_4arch9wavefront6targetE0EEEvT1_ ; -- Begin function _ZN7rocprim17ROCPRIM_400000_NS6detail17trampoline_kernelINS0_14default_configENS1_27scan_by_key_config_selectorIiiEEZZNS1_16scan_by_key_implILNS1_25lookback_scan_determinismE0ELb0ES3_N6thrust23THRUST_200600_302600_NS18transform_iteratorI9which_rowNS9_17counting_iteratorIiNS9_11use_defaultESD_SD_EESD_SD_EENS9_6detail15normal_iteratorINS9_10device_ptrIiEEEESK_iNS9_4plusIvEENS9_8equal_toIvEEiEE10hipError_tPvRmT2_T3_T4_T5_mT6_T7_P12ihipStream_tbENKUlT_T0_E_clISt17integral_constantIbLb0EES15_EEDaS10_S11_EUlS10_E_NS1_11comp_targetILNS1_3genE4ELNS1_11target_archE910ELNS1_3gpuE8ELNS1_3repE0EEENS1_30default_config_static_selectorELNS0_4arch9wavefront6targetE0EEEvT1_
	.globl	_ZN7rocprim17ROCPRIM_400000_NS6detail17trampoline_kernelINS0_14default_configENS1_27scan_by_key_config_selectorIiiEEZZNS1_16scan_by_key_implILNS1_25lookback_scan_determinismE0ELb0ES3_N6thrust23THRUST_200600_302600_NS18transform_iteratorI9which_rowNS9_17counting_iteratorIiNS9_11use_defaultESD_SD_EESD_SD_EENS9_6detail15normal_iteratorINS9_10device_ptrIiEEEESK_iNS9_4plusIvEENS9_8equal_toIvEEiEE10hipError_tPvRmT2_T3_T4_T5_mT6_T7_P12ihipStream_tbENKUlT_T0_E_clISt17integral_constantIbLb0EES15_EEDaS10_S11_EUlS10_E_NS1_11comp_targetILNS1_3genE4ELNS1_11target_archE910ELNS1_3gpuE8ELNS1_3repE0EEENS1_30default_config_static_selectorELNS0_4arch9wavefront6targetE0EEEvT1_
	.p2align	8
	.type	_ZN7rocprim17ROCPRIM_400000_NS6detail17trampoline_kernelINS0_14default_configENS1_27scan_by_key_config_selectorIiiEEZZNS1_16scan_by_key_implILNS1_25lookback_scan_determinismE0ELb0ES3_N6thrust23THRUST_200600_302600_NS18transform_iteratorI9which_rowNS9_17counting_iteratorIiNS9_11use_defaultESD_SD_EESD_SD_EENS9_6detail15normal_iteratorINS9_10device_ptrIiEEEESK_iNS9_4plusIvEENS9_8equal_toIvEEiEE10hipError_tPvRmT2_T3_T4_T5_mT6_T7_P12ihipStream_tbENKUlT_T0_E_clISt17integral_constantIbLb0EES15_EEDaS10_S11_EUlS10_E_NS1_11comp_targetILNS1_3genE4ELNS1_11target_archE910ELNS1_3gpuE8ELNS1_3repE0EEENS1_30default_config_static_selectorELNS0_4arch9wavefront6targetE0EEEvT1_,@function
_ZN7rocprim17ROCPRIM_400000_NS6detail17trampoline_kernelINS0_14default_configENS1_27scan_by_key_config_selectorIiiEEZZNS1_16scan_by_key_implILNS1_25lookback_scan_determinismE0ELb0ES3_N6thrust23THRUST_200600_302600_NS18transform_iteratorI9which_rowNS9_17counting_iteratorIiNS9_11use_defaultESD_SD_EESD_SD_EENS9_6detail15normal_iteratorINS9_10device_ptrIiEEEESK_iNS9_4plusIvEENS9_8equal_toIvEEiEE10hipError_tPvRmT2_T3_T4_T5_mT6_T7_P12ihipStream_tbENKUlT_T0_E_clISt17integral_constantIbLb0EES15_EEDaS10_S11_EUlS10_E_NS1_11comp_targetILNS1_3genE4ELNS1_11target_archE910ELNS1_3gpuE8ELNS1_3repE0EEENS1_30default_config_static_selectorELNS0_4arch9wavefront6targetE0EEEvT1_: ; @_ZN7rocprim17ROCPRIM_400000_NS6detail17trampoline_kernelINS0_14default_configENS1_27scan_by_key_config_selectorIiiEEZZNS1_16scan_by_key_implILNS1_25lookback_scan_determinismE0ELb0ES3_N6thrust23THRUST_200600_302600_NS18transform_iteratorI9which_rowNS9_17counting_iteratorIiNS9_11use_defaultESD_SD_EESD_SD_EENS9_6detail15normal_iteratorINS9_10device_ptrIiEEEESK_iNS9_4plusIvEENS9_8equal_toIvEEiEE10hipError_tPvRmT2_T3_T4_T5_mT6_T7_P12ihipStream_tbENKUlT_T0_E_clISt17integral_constantIbLb0EES15_EEDaS10_S11_EUlS10_E_NS1_11comp_targetILNS1_3genE4ELNS1_11target_archE910ELNS1_3gpuE8ELNS1_3repE0EEENS1_30default_config_static_selectorELNS0_4arch9wavefront6targetE0EEEvT1_
; %bb.0:
	.section	.rodata,"a",@progbits
	.p2align	6, 0x0
	.amdhsa_kernel _ZN7rocprim17ROCPRIM_400000_NS6detail17trampoline_kernelINS0_14default_configENS1_27scan_by_key_config_selectorIiiEEZZNS1_16scan_by_key_implILNS1_25lookback_scan_determinismE0ELb0ES3_N6thrust23THRUST_200600_302600_NS18transform_iteratorI9which_rowNS9_17counting_iteratorIiNS9_11use_defaultESD_SD_EESD_SD_EENS9_6detail15normal_iteratorINS9_10device_ptrIiEEEESK_iNS9_4plusIvEENS9_8equal_toIvEEiEE10hipError_tPvRmT2_T3_T4_T5_mT6_T7_P12ihipStream_tbENKUlT_T0_E_clISt17integral_constantIbLb0EES15_EEDaS10_S11_EUlS10_E_NS1_11comp_targetILNS1_3genE4ELNS1_11target_archE910ELNS1_3gpuE8ELNS1_3repE0EEENS1_30default_config_static_selectorELNS0_4arch9wavefront6targetE0EEEvT1_
		.amdhsa_group_segment_fixed_size 0
		.amdhsa_private_segment_fixed_size 0
		.amdhsa_kernarg_size 112
		.amdhsa_user_sgpr_count 2
		.amdhsa_user_sgpr_dispatch_ptr 0
		.amdhsa_user_sgpr_queue_ptr 0
		.amdhsa_user_sgpr_kernarg_segment_ptr 1
		.amdhsa_user_sgpr_dispatch_id 0
		.amdhsa_user_sgpr_kernarg_preload_length 0
		.amdhsa_user_sgpr_kernarg_preload_offset 0
		.amdhsa_user_sgpr_private_segment_size 0
		.amdhsa_wavefront_size32 1
		.amdhsa_uses_dynamic_stack 0
		.amdhsa_enable_private_segment 0
		.amdhsa_system_sgpr_workgroup_id_x 1
		.amdhsa_system_sgpr_workgroup_id_y 0
		.amdhsa_system_sgpr_workgroup_id_z 0
		.amdhsa_system_sgpr_workgroup_info 0
		.amdhsa_system_vgpr_workitem_id 0
		.amdhsa_next_free_vgpr 1
		.amdhsa_next_free_sgpr 1
		.amdhsa_named_barrier_count 0
		.amdhsa_reserve_vcc 0
		.amdhsa_float_round_mode_32 0
		.amdhsa_float_round_mode_16_64 0
		.amdhsa_float_denorm_mode_32 3
		.amdhsa_float_denorm_mode_16_64 3
		.amdhsa_fp16_overflow 0
		.amdhsa_memory_ordered 1
		.amdhsa_forward_progress 1
		.amdhsa_inst_pref_size 0
		.amdhsa_round_robin_scheduling 0
		.amdhsa_exception_fp_ieee_invalid_op 0
		.amdhsa_exception_fp_denorm_src 0
		.amdhsa_exception_fp_ieee_div_zero 0
		.amdhsa_exception_fp_ieee_overflow 0
		.amdhsa_exception_fp_ieee_underflow 0
		.amdhsa_exception_fp_ieee_inexact 0
		.amdhsa_exception_int_div_zero 0
	.end_amdhsa_kernel
	.section	.text._ZN7rocprim17ROCPRIM_400000_NS6detail17trampoline_kernelINS0_14default_configENS1_27scan_by_key_config_selectorIiiEEZZNS1_16scan_by_key_implILNS1_25lookback_scan_determinismE0ELb0ES3_N6thrust23THRUST_200600_302600_NS18transform_iteratorI9which_rowNS9_17counting_iteratorIiNS9_11use_defaultESD_SD_EESD_SD_EENS9_6detail15normal_iteratorINS9_10device_ptrIiEEEESK_iNS9_4plusIvEENS9_8equal_toIvEEiEE10hipError_tPvRmT2_T3_T4_T5_mT6_T7_P12ihipStream_tbENKUlT_T0_E_clISt17integral_constantIbLb0EES15_EEDaS10_S11_EUlS10_E_NS1_11comp_targetILNS1_3genE4ELNS1_11target_archE910ELNS1_3gpuE8ELNS1_3repE0EEENS1_30default_config_static_selectorELNS0_4arch9wavefront6targetE0EEEvT1_,"axG",@progbits,_ZN7rocprim17ROCPRIM_400000_NS6detail17trampoline_kernelINS0_14default_configENS1_27scan_by_key_config_selectorIiiEEZZNS1_16scan_by_key_implILNS1_25lookback_scan_determinismE0ELb0ES3_N6thrust23THRUST_200600_302600_NS18transform_iteratorI9which_rowNS9_17counting_iteratorIiNS9_11use_defaultESD_SD_EESD_SD_EENS9_6detail15normal_iteratorINS9_10device_ptrIiEEEESK_iNS9_4plusIvEENS9_8equal_toIvEEiEE10hipError_tPvRmT2_T3_T4_T5_mT6_T7_P12ihipStream_tbENKUlT_T0_E_clISt17integral_constantIbLb0EES15_EEDaS10_S11_EUlS10_E_NS1_11comp_targetILNS1_3genE4ELNS1_11target_archE910ELNS1_3gpuE8ELNS1_3repE0EEENS1_30default_config_static_selectorELNS0_4arch9wavefront6targetE0EEEvT1_,comdat
.Lfunc_end89:
	.size	_ZN7rocprim17ROCPRIM_400000_NS6detail17trampoline_kernelINS0_14default_configENS1_27scan_by_key_config_selectorIiiEEZZNS1_16scan_by_key_implILNS1_25lookback_scan_determinismE0ELb0ES3_N6thrust23THRUST_200600_302600_NS18transform_iteratorI9which_rowNS9_17counting_iteratorIiNS9_11use_defaultESD_SD_EESD_SD_EENS9_6detail15normal_iteratorINS9_10device_ptrIiEEEESK_iNS9_4plusIvEENS9_8equal_toIvEEiEE10hipError_tPvRmT2_T3_T4_T5_mT6_T7_P12ihipStream_tbENKUlT_T0_E_clISt17integral_constantIbLb0EES15_EEDaS10_S11_EUlS10_E_NS1_11comp_targetILNS1_3genE4ELNS1_11target_archE910ELNS1_3gpuE8ELNS1_3repE0EEENS1_30default_config_static_selectorELNS0_4arch9wavefront6targetE0EEEvT1_, .Lfunc_end89-_ZN7rocprim17ROCPRIM_400000_NS6detail17trampoline_kernelINS0_14default_configENS1_27scan_by_key_config_selectorIiiEEZZNS1_16scan_by_key_implILNS1_25lookback_scan_determinismE0ELb0ES3_N6thrust23THRUST_200600_302600_NS18transform_iteratorI9which_rowNS9_17counting_iteratorIiNS9_11use_defaultESD_SD_EESD_SD_EENS9_6detail15normal_iteratorINS9_10device_ptrIiEEEESK_iNS9_4plusIvEENS9_8equal_toIvEEiEE10hipError_tPvRmT2_T3_T4_T5_mT6_T7_P12ihipStream_tbENKUlT_T0_E_clISt17integral_constantIbLb0EES15_EEDaS10_S11_EUlS10_E_NS1_11comp_targetILNS1_3genE4ELNS1_11target_archE910ELNS1_3gpuE8ELNS1_3repE0EEENS1_30default_config_static_selectorELNS0_4arch9wavefront6targetE0EEEvT1_
                                        ; -- End function
	.set _ZN7rocprim17ROCPRIM_400000_NS6detail17trampoline_kernelINS0_14default_configENS1_27scan_by_key_config_selectorIiiEEZZNS1_16scan_by_key_implILNS1_25lookback_scan_determinismE0ELb0ES3_N6thrust23THRUST_200600_302600_NS18transform_iteratorI9which_rowNS9_17counting_iteratorIiNS9_11use_defaultESD_SD_EESD_SD_EENS9_6detail15normal_iteratorINS9_10device_ptrIiEEEESK_iNS9_4plusIvEENS9_8equal_toIvEEiEE10hipError_tPvRmT2_T3_T4_T5_mT6_T7_P12ihipStream_tbENKUlT_T0_E_clISt17integral_constantIbLb0EES15_EEDaS10_S11_EUlS10_E_NS1_11comp_targetILNS1_3genE4ELNS1_11target_archE910ELNS1_3gpuE8ELNS1_3repE0EEENS1_30default_config_static_selectorELNS0_4arch9wavefront6targetE0EEEvT1_.num_vgpr, 0
	.set _ZN7rocprim17ROCPRIM_400000_NS6detail17trampoline_kernelINS0_14default_configENS1_27scan_by_key_config_selectorIiiEEZZNS1_16scan_by_key_implILNS1_25lookback_scan_determinismE0ELb0ES3_N6thrust23THRUST_200600_302600_NS18transform_iteratorI9which_rowNS9_17counting_iteratorIiNS9_11use_defaultESD_SD_EESD_SD_EENS9_6detail15normal_iteratorINS9_10device_ptrIiEEEESK_iNS9_4plusIvEENS9_8equal_toIvEEiEE10hipError_tPvRmT2_T3_T4_T5_mT6_T7_P12ihipStream_tbENKUlT_T0_E_clISt17integral_constantIbLb0EES15_EEDaS10_S11_EUlS10_E_NS1_11comp_targetILNS1_3genE4ELNS1_11target_archE910ELNS1_3gpuE8ELNS1_3repE0EEENS1_30default_config_static_selectorELNS0_4arch9wavefront6targetE0EEEvT1_.num_agpr, 0
	.set _ZN7rocprim17ROCPRIM_400000_NS6detail17trampoline_kernelINS0_14default_configENS1_27scan_by_key_config_selectorIiiEEZZNS1_16scan_by_key_implILNS1_25lookback_scan_determinismE0ELb0ES3_N6thrust23THRUST_200600_302600_NS18transform_iteratorI9which_rowNS9_17counting_iteratorIiNS9_11use_defaultESD_SD_EESD_SD_EENS9_6detail15normal_iteratorINS9_10device_ptrIiEEEESK_iNS9_4plusIvEENS9_8equal_toIvEEiEE10hipError_tPvRmT2_T3_T4_T5_mT6_T7_P12ihipStream_tbENKUlT_T0_E_clISt17integral_constantIbLb0EES15_EEDaS10_S11_EUlS10_E_NS1_11comp_targetILNS1_3genE4ELNS1_11target_archE910ELNS1_3gpuE8ELNS1_3repE0EEENS1_30default_config_static_selectorELNS0_4arch9wavefront6targetE0EEEvT1_.numbered_sgpr, 0
	.set _ZN7rocprim17ROCPRIM_400000_NS6detail17trampoline_kernelINS0_14default_configENS1_27scan_by_key_config_selectorIiiEEZZNS1_16scan_by_key_implILNS1_25lookback_scan_determinismE0ELb0ES3_N6thrust23THRUST_200600_302600_NS18transform_iteratorI9which_rowNS9_17counting_iteratorIiNS9_11use_defaultESD_SD_EESD_SD_EENS9_6detail15normal_iteratorINS9_10device_ptrIiEEEESK_iNS9_4plusIvEENS9_8equal_toIvEEiEE10hipError_tPvRmT2_T3_T4_T5_mT6_T7_P12ihipStream_tbENKUlT_T0_E_clISt17integral_constantIbLb0EES15_EEDaS10_S11_EUlS10_E_NS1_11comp_targetILNS1_3genE4ELNS1_11target_archE910ELNS1_3gpuE8ELNS1_3repE0EEENS1_30default_config_static_selectorELNS0_4arch9wavefront6targetE0EEEvT1_.num_named_barrier, 0
	.set _ZN7rocprim17ROCPRIM_400000_NS6detail17trampoline_kernelINS0_14default_configENS1_27scan_by_key_config_selectorIiiEEZZNS1_16scan_by_key_implILNS1_25lookback_scan_determinismE0ELb0ES3_N6thrust23THRUST_200600_302600_NS18transform_iteratorI9which_rowNS9_17counting_iteratorIiNS9_11use_defaultESD_SD_EESD_SD_EENS9_6detail15normal_iteratorINS9_10device_ptrIiEEEESK_iNS9_4plusIvEENS9_8equal_toIvEEiEE10hipError_tPvRmT2_T3_T4_T5_mT6_T7_P12ihipStream_tbENKUlT_T0_E_clISt17integral_constantIbLb0EES15_EEDaS10_S11_EUlS10_E_NS1_11comp_targetILNS1_3genE4ELNS1_11target_archE910ELNS1_3gpuE8ELNS1_3repE0EEENS1_30default_config_static_selectorELNS0_4arch9wavefront6targetE0EEEvT1_.private_seg_size, 0
	.set _ZN7rocprim17ROCPRIM_400000_NS6detail17trampoline_kernelINS0_14default_configENS1_27scan_by_key_config_selectorIiiEEZZNS1_16scan_by_key_implILNS1_25lookback_scan_determinismE0ELb0ES3_N6thrust23THRUST_200600_302600_NS18transform_iteratorI9which_rowNS9_17counting_iteratorIiNS9_11use_defaultESD_SD_EESD_SD_EENS9_6detail15normal_iteratorINS9_10device_ptrIiEEEESK_iNS9_4plusIvEENS9_8equal_toIvEEiEE10hipError_tPvRmT2_T3_T4_T5_mT6_T7_P12ihipStream_tbENKUlT_T0_E_clISt17integral_constantIbLb0EES15_EEDaS10_S11_EUlS10_E_NS1_11comp_targetILNS1_3genE4ELNS1_11target_archE910ELNS1_3gpuE8ELNS1_3repE0EEENS1_30default_config_static_selectorELNS0_4arch9wavefront6targetE0EEEvT1_.uses_vcc, 0
	.set _ZN7rocprim17ROCPRIM_400000_NS6detail17trampoline_kernelINS0_14default_configENS1_27scan_by_key_config_selectorIiiEEZZNS1_16scan_by_key_implILNS1_25lookback_scan_determinismE0ELb0ES3_N6thrust23THRUST_200600_302600_NS18transform_iteratorI9which_rowNS9_17counting_iteratorIiNS9_11use_defaultESD_SD_EESD_SD_EENS9_6detail15normal_iteratorINS9_10device_ptrIiEEEESK_iNS9_4plusIvEENS9_8equal_toIvEEiEE10hipError_tPvRmT2_T3_T4_T5_mT6_T7_P12ihipStream_tbENKUlT_T0_E_clISt17integral_constantIbLb0EES15_EEDaS10_S11_EUlS10_E_NS1_11comp_targetILNS1_3genE4ELNS1_11target_archE910ELNS1_3gpuE8ELNS1_3repE0EEENS1_30default_config_static_selectorELNS0_4arch9wavefront6targetE0EEEvT1_.uses_flat_scratch, 0
	.set _ZN7rocprim17ROCPRIM_400000_NS6detail17trampoline_kernelINS0_14default_configENS1_27scan_by_key_config_selectorIiiEEZZNS1_16scan_by_key_implILNS1_25lookback_scan_determinismE0ELb0ES3_N6thrust23THRUST_200600_302600_NS18transform_iteratorI9which_rowNS9_17counting_iteratorIiNS9_11use_defaultESD_SD_EESD_SD_EENS9_6detail15normal_iteratorINS9_10device_ptrIiEEEESK_iNS9_4plusIvEENS9_8equal_toIvEEiEE10hipError_tPvRmT2_T3_T4_T5_mT6_T7_P12ihipStream_tbENKUlT_T0_E_clISt17integral_constantIbLb0EES15_EEDaS10_S11_EUlS10_E_NS1_11comp_targetILNS1_3genE4ELNS1_11target_archE910ELNS1_3gpuE8ELNS1_3repE0EEENS1_30default_config_static_selectorELNS0_4arch9wavefront6targetE0EEEvT1_.has_dyn_sized_stack, 0
	.set _ZN7rocprim17ROCPRIM_400000_NS6detail17trampoline_kernelINS0_14default_configENS1_27scan_by_key_config_selectorIiiEEZZNS1_16scan_by_key_implILNS1_25lookback_scan_determinismE0ELb0ES3_N6thrust23THRUST_200600_302600_NS18transform_iteratorI9which_rowNS9_17counting_iteratorIiNS9_11use_defaultESD_SD_EESD_SD_EENS9_6detail15normal_iteratorINS9_10device_ptrIiEEEESK_iNS9_4plusIvEENS9_8equal_toIvEEiEE10hipError_tPvRmT2_T3_T4_T5_mT6_T7_P12ihipStream_tbENKUlT_T0_E_clISt17integral_constantIbLb0EES15_EEDaS10_S11_EUlS10_E_NS1_11comp_targetILNS1_3genE4ELNS1_11target_archE910ELNS1_3gpuE8ELNS1_3repE0EEENS1_30default_config_static_selectorELNS0_4arch9wavefront6targetE0EEEvT1_.has_recursion, 0
	.set _ZN7rocprim17ROCPRIM_400000_NS6detail17trampoline_kernelINS0_14default_configENS1_27scan_by_key_config_selectorIiiEEZZNS1_16scan_by_key_implILNS1_25lookback_scan_determinismE0ELb0ES3_N6thrust23THRUST_200600_302600_NS18transform_iteratorI9which_rowNS9_17counting_iteratorIiNS9_11use_defaultESD_SD_EESD_SD_EENS9_6detail15normal_iteratorINS9_10device_ptrIiEEEESK_iNS9_4plusIvEENS9_8equal_toIvEEiEE10hipError_tPvRmT2_T3_T4_T5_mT6_T7_P12ihipStream_tbENKUlT_T0_E_clISt17integral_constantIbLb0EES15_EEDaS10_S11_EUlS10_E_NS1_11comp_targetILNS1_3genE4ELNS1_11target_archE910ELNS1_3gpuE8ELNS1_3repE0EEENS1_30default_config_static_selectorELNS0_4arch9wavefront6targetE0EEEvT1_.has_indirect_call, 0
	.section	.AMDGPU.csdata,"",@progbits
; Kernel info:
; codeLenInByte = 0
; TotalNumSgprs: 0
; NumVgprs: 0
; ScratchSize: 0
; MemoryBound: 0
; FloatMode: 240
; IeeeMode: 1
; LDSByteSize: 0 bytes/workgroup (compile time only)
; SGPRBlocks: 0
; VGPRBlocks: 0
; NumSGPRsForWavesPerEU: 1
; NumVGPRsForWavesPerEU: 1
; NamedBarCnt: 0
; Occupancy: 16
; WaveLimiterHint : 0
; COMPUTE_PGM_RSRC2:SCRATCH_EN: 0
; COMPUTE_PGM_RSRC2:USER_SGPR: 2
; COMPUTE_PGM_RSRC2:TRAP_HANDLER: 0
; COMPUTE_PGM_RSRC2:TGID_X_EN: 1
; COMPUTE_PGM_RSRC2:TGID_Y_EN: 0
; COMPUTE_PGM_RSRC2:TGID_Z_EN: 0
; COMPUTE_PGM_RSRC2:TIDIG_COMP_CNT: 0
	.section	.text._ZN7rocprim17ROCPRIM_400000_NS6detail17trampoline_kernelINS0_14default_configENS1_27scan_by_key_config_selectorIiiEEZZNS1_16scan_by_key_implILNS1_25lookback_scan_determinismE0ELb0ES3_N6thrust23THRUST_200600_302600_NS18transform_iteratorI9which_rowNS9_17counting_iteratorIiNS9_11use_defaultESD_SD_EESD_SD_EENS9_6detail15normal_iteratorINS9_10device_ptrIiEEEESK_iNS9_4plusIvEENS9_8equal_toIvEEiEE10hipError_tPvRmT2_T3_T4_T5_mT6_T7_P12ihipStream_tbENKUlT_T0_E_clISt17integral_constantIbLb0EES15_EEDaS10_S11_EUlS10_E_NS1_11comp_targetILNS1_3genE3ELNS1_11target_archE908ELNS1_3gpuE7ELNS1_3repE0EEENS1_30default_config_static_selectorELNS0_4arch9wavefront6targetE0EEEvT1_,"axG",@progbits,_ZN7rocprim17ROCPRIM_400000_NS6detail17trampoline_kernelINS0_14default_configENS1_27scan_by_key_config_selectorIiiEEZZNS1_16scan_by_key_implILNS1_25lookback_scan_determinismE0ELb0ES3_N6thrust23THRUST_200600_302600_NS18transform_iteratorI9which_rowNS9_17counting_iteratorIiNS9_11use_defaultESD_SD_EESD_SD_EENS9_6detail15normal_iteratorINS9_10device_ptrIiEEEESK_iNS9_4plusIvEENS9_8equal_toIvEEiEE10hipError_tPvRmT2_T3_T4_T5_mT6_T7_P12ihipStream_tbENKUlT_T0_E_clISt17integral_constantIbLb0EES15_EEDaS10_S11_EUlS10_E_NS1_11comp_targetILNS1_3genE3ELNS1_11target_archE908ELNS1_3gpuE7ELNS1_3repE0EEENS1_30default_config_static_selectorELNS0_4arch9wavefront6targetE0EEEvT1_,comdat
	.protected	_ZN7rocprim17ROCPRIM_400000_NS6detail17trampoline_kernelINS0_14default_configENS1_27scan_by_key_config_selectorIiiEEZZNS1_16scan_by_key_implILNS1_25lookback_scan_determinismE0ELb0ES3_N6thrust23THRUST_200600_302600_NS18transform_iteratorI9which_rowNS9_17counting_iteratorIiNS9_11use_defaultESD_SD_EESD_SD_EENS9_6detail15normal_iteratorINS9_10device_ptrIiEEEESK_iNS9_4plusIvEENS9_8equal_toIvEEiEE10hipError_tPvRmT2_T3_T4_T5_mT6_T7_P12ihipStream_tbENKUlT_T0_E_clISt17integral_constantIbLb0EES15_EEDaS10_S11_EUlS10_E_NS1_11comp_targetILNS1_3genE3ELNS1_11target_archE908ELNS1_3gpuE7ELNS1_3repE0EEENS1_30default_config_static_selectorELNS0_4arch9wavefront6targetE0EEEvT1_ ; -- Begin function _ZN7rocprim17ROCPRIM_400000_NS6detail17trampoline_kernelINS0_14default_configENS1_27scan_by_key_config_selectorIiiEEZZNS1_16scan_by_key_implILNS1_25lookback_scan_determinismE0ELb0ES3_N6thrust23THRUST_200600_302600_NS18transform_iteratorI9which_rowNS9_17counting_iteratorIiNS9_11use_defaultESD_SD_EESD_SD_EENS9_6detail15normal_iteratorINS9_10device_ptrIiEEEESK_iNS9_4plusIvEENS9_8equal_toIvEEiEE10hipError_tPvRmT2_T3_T4_T5_mT6_T7_P12ihipStream_tbENKUlT_T0_E_clISt17integral_constantIbLb0EES15_EEDaS10_S11_EUlS10_E_NS1_11comp_targetILNS1_3genE3ELNS1_11target_archE908ELNS1_3gpuE7ELNS1_3repE0EEENS1_30default_config_static_selectorELNS0_4arch9wavefront6targetE0EEEvT1_
	.globl	_ZN7rocprim17ROCPRIM_400000_NS6detail17trampoline_kernelINS0_14default_configENS1_27scan_by_key_config_selectorIiiEEZZNS1_16scan_by_key_implILNS1_25lookback_scan_determinismE0ELb0ES3_N6thrust23THRUST_200600_302600_NS18transform_iteratorI9which_rowNS9_17counting_iteratorIiNS9_11use_defaultESD_SD_EESD_SD_EENS9_6detail15normal_iteratorINS9_10device_ptrIiEEEESK_iNS9_4plusIvEENS9_8equal_toIvEEiEE10hipError_tPvRmT2_T3_T4_T5_mT6_T7_P12ihipStream_tbENKUlT_T0_E_clISt17integral_constantIbLb0EES15_EEDaS10_S11_EUlS10_E_NS1_11comp_targetILNS1_3genE3ELNS1_11target_archE908ELNS1_3gpuE7ELNS1_3repE0EEENS1_30default_config_static_selectorELNS0_4arch9wavefront6targetE0EEEvT1_
	.p2align	8
	.type	_ZN7rocprim17ROCPRIM_400000_NS6detail17trampoline_kernelINS0_14default_configENS1_27scan_by_key_config_selectorIiiEEZZNS1_16scan_by_key_implILNS1_25lookback_scan_determinismE0ELb0ES3_N6thrust23THRUST_200600_302600_NS18transform_iteratorI9which_rowNS9_17counting_iteratorIiNS9_11use_defaultESD_SD_EESD_SD_EENS9_6detail15normal_iteratorINS9_10device_ptrIiEEEESK_iNS9_4plusIvEENS9_8equal_toIvEEiEE10hipError_tPvRmT2_T3_T4_T5_mT6_T7_P12ihipStream_tbENKUlT_T0_E_clISt17integral_constantIbLb0EES15_EEDaS10_S11_EUlS10_E_NS1_11comp_targetILNS1_3genE3ELNS1_11target_archE908ELNS1_3gpuE7ELNS1_3repE0EEENS1_30default_config_static_selectorELNS0_4arch9wavefront6targetE0EEEvT1_,@function
_ZN7rocprim17ROCPRIM_400000_NS6detail17trampoline_kernelINS0_14default_configENS1_27scan_by_key_config_selectorIiiEEZZNS1_16scan_by_key_implILNS1_25lookback_scan_determinismE0ELb0ES3_N6thrust23THRUST_200600_302600_NS18transform_iteratorI9which_rowNS9_17counting_iteratorIiNS9_11use_defaultESD_SD_EESD_SD_EENS9_6detail15normal_iteratorINS9_10device_ptrIiEEEESK_iNS9_4plusIvEENS9_8equal_toIvEEiEE10hipError_tPvRmT2_T3_T4_T5_mT6_T7_P12ihipStream_tbENKUlT_T0_E_clISt17integral_constantIbLb0EES15_EEDaS10_S11_EUlS10_E_NS1_11comp_targetILNS1_3genE3ELNS1_11target_archE908ELNS1_3gpuE7ELNS1_3repE0EEENS1_30default_config_static_selectorELNS0_4arch9wavefront6targetE0EEEvT1_: ; @_ZN7rocprim17ROCPRIM_400000_NS6detail17trampoline_kernelINS0_14default_configENS1_27scan_by_key_config_selectorIiiEEZZNS1_16scan_by_key_implILNS1_25lookback_scan_determinismE0ELb0ES3_N6thrust23THRUST_200600_302600_NS18transform_iteratorI9which_rowNS9_17counting_iteratorIiNS9_11use_defaultESD_SD_EESD_SD_EENS9_6detail15normal_iteratorINS9_10device_ptrIiEEEESK_iNS9_4plusIvEENS9_8equal_toIvEEiEE10hipError_tPvRmT2_T3_T4_T5_mT6_T7_P12ihipStream_tbENKUlT_T0_E_clISt17integral_constantIbLb0EES15_EEDaS10_S11_EUlS10_E_NS1_11comp_targetILNS1_3genE3ELNS1_11target_archE908ELNS1_3gpuE7ELNS1_3repE0EEENS1_30default_config_static_selectorELNS0_4arch9wavefront6targetE0EEEvT1_
; %bb.0:
	.section	.rodata,"a",@progbits
	.p2align	6, 0x0
	.amdhsa_kernel _ZN7rocprim17ROCPRIM_400000_NS6detail17trampoline_kernelINS0_14default_configENS1_27scan_by_key_config_selectorIiiEEZZNS1_16scan_by_key_implILNS1_25lookback_scan_determinismE0ELb0ES3_N6thrust23THRUST_200600_302600_NS18transform_iteratorI9which_rowNS9_17counting_iteratorIiNS9_11use_defaultESD_SD_EESD_SD_EENS9_6detail15normal_iteratorINS9_10device_ptrIiEEEESK_iNS9_4plusIvEENS9_8equal_toIvEEiEE10hipError_tPvRmT2_T3_T4_T5_mT6_T7_P12ihipStream_tbENKUlT_T0_E_clISt17integral_constantIbLb0EES15_EEDaS10_S11_EUlS10_E_NS1_11comp_targetILNS1_3genE3ELNS1_11target_archE908ELNS1_3gpuE7ELNS1_3repE0EEENS1_30default_config_static_selectorELNS0_4arch9wavefront6targetE0EEEvT1_
		.amdhsa_group_segment_fixed_size 0
		.amdhsa_private_segment_fixed_size 0
		.amdhsa_kernarg_size 112
		.amdhsa_user_sgpr_count 2
		.amdhsa_user_sgpr_dispatch_ptr 0
		.amdhsa_user_sgpr_queue_ptr 0
		.amdhsa_user_sgpr_kernarg_segment_ptr 1
		.amdhsa_user_sgpr_dispatch_id 0
		.amdhsa_user_sgpr_kernarg_preload_length 0
		.amdhsa_user_sgpr_kernarg_preload_offset 0
		.amdhsa_user_sgpr_private_segment_size 0
		.amdhsa_wavefront_size32 1
		.amdhsa_uses_dynamic_stack 0
		.amdhsa_enable_private_segment 0
		.amdhsa_system_sgpr_workgroup_id_x 1
		.amdhsa_system_sgpr_workgroup_id_y 0
		.amdhsa_system_sgpr_workgroup_id_z 0
		.amdhsa_system_sgpr_workgroup_info 0
		.amdhsa_system_vgpr_workitem_id 0
		.amdhsa_next_free_vgpr 1
		.amdhsa_next_free_sgpr 1
		.amdhsa_named_barrier_count 0
		.amdhsa_reserve_vcc 0
		.amdhsa_float_round_mode_32 0
		.amdhsa_float_round_mode_16_64 0
		.amdhsa_float_denorm_mode_32 3
		.amdhsa_float_denorm_mode_16_64 3
		.amdhsa_fp16_overflow 0
		.amdhsa_memory_ordered 1
		.amdhsa_forward_progress 1
		.amdhsa_inst_pref_size 0
		.amdhsa_round_robin_scheduling 0
		.amdhsa_exception_fp_ieee_invalid_op 0
		.amdhsa_exception_fp_denorm_src 0
		.amdhsa_exception_fp_ieee_div_zero 0
		.amdhsa_exception_fp_ieee_overflow 0
		.amdhsa_exception_fp_ieee_underflow 0
		.amdhsa_exception_fp_ieee_inexact 0
		.amdhsa_exception_int_div_zero 0
	.end_amdhsa_kernel
	.section	.text._ZN7rocprim17ROCPRIM_400000_NS6detail17trampoline_kernelINS0_14default_configENS1_27scan_by_key_config_selectorIiiEEZZNS1_16scan_by_key_implILNS1_25lookback_scan_determinismE0ELb0ES3_N6thrust23THRUST_200600_302600_NS18transform_iteratorI9which_rowNS9_17counting_iteratorIiNS9_11use_defaultESD_SD_EESD_SD_EENS9_6detail15normal_iteratorINS9_10device_ptrIiEEEESK_iNS9_4plusIvEENS9_8equal_toIvEEiEE10hipError_tPvRmT2_T3_T4_T5_mT6_T7_P12ihipStream_tbENKUlT_T0_E_clISt17integral_constantIbLb0EES15_EEDaS10_S11_EUlS10_E_NS1_11comp_targetILNS1_3genE3ELNS1_11target_archE908ELNS1_3gpuE7ELNS1_3repE0EEENS1_30default_config_static_selectorELNS0_4arch9wavefront6targetE0EEEvT1_,"axG",@progbits,_ZN7rocprim17ROCPRIM_400000_NS6detail17trampoline_kernelINS0_14default_configENS1_27scan_by_key_config_selectorIiiEEZZNS1_16scan_by_key_implILNS1_25lookback_scan_determinismE0ELb0ES3_N6thrust23THRUST_200600_302600_NS18transform_iteratorI9which_rowNS9_17counting_iteratorIiNS9_11use_defaultESD_SD_EESD_SD_EENS9_6detail15normal_iteratorINS9_10device_ptrIiEEEESK_iNS9_4plusIvEENS9_8equal_toIvEEiEE10hipError_tPvRmT2_T3_T4_T5_mT6_T7_P12ihipStream_tbENKUlT_T0_E_clISt17integral_constantIbLb0EES15_EEDaS10_S11_EUlS10_E_NS1_11comp_targetILNS1_3genE3ELNS1_11target_archE908ELNS1_3gpuE7ELNS1_3repE0EEENS1_30default_config_static_selectorELNS0_4arch9wavefront6targetE0EEEvT1_,comdat
.Lfunc_end90:
	.size	_ZN7rocprim17ROCPRIM_400000_NS6detail17trampoline_kernelINS0_14default_configENS1_27scan_by_key_config_selectorIiiEEZZNS1_16scan_by_key_implILNS1_25lookback_scan_determinismE0ELb0ES3_N6thrust23THRUST_200600_302600_NS18transform_iteratorI9which_rowNS9_17counting_iteratorIiNS9_11use_defaultESD_SD_EESD_SD_EENS9_6detail15normal_iteratorINS9_10device_ptrIiEEEESK_iNS9_4plusIvEENS9_8equal_toIvEEiEE10hipError_tPvRmT2_T3_T4_T5_mT6_T7_P12ihipStream_tbENKUlT_T0_E_clISt17integral_constantIbLb0EES15_EEDaS10_S11_EUlS10_E_NS1_11comp_targetILNS1_3genE3ELNS1_11target_archE908ELNS1_3gpuE7ELNS1_3repE0EEENS1_30default_config_static_selectorELNS0_4arch9wavefront6targetE0EEEvT1_, .Lfunc_end90-_ZN7rocprim17ROCPRIM_400000_NS6detail17trampoline_kernelINS0_14default_configENS1_27scan_by_key_config_selectorIiiEEZZNS1_16scan_by_key_implILNS1_25lookback_scan_determinismE0ELb0ES3_N6thrust23THRUST_200600_302600_NS18transform_iteratorI9which_rowNS9_17counting_iteratorIiNS9_11use_defaultESD_SD_EESD_SD_EENS9_6detail15normal_iteratorINS9_10device_ptrIiEEEESK_iNS9_4plusIvEENS9_8equal_toIvEEiEE10hipError_tPvRmT2_T3_T4_T5_mT6_T7_P12ihipStream_tbENKUlT_T0_E_clISt17integral_constantIbLb0EES15_EEDaS10_S11_EUlS10_E_NS1_11comp_targetILNS1_3genE3ELNS1_11target_archE908ELNS1_3gpuE7ELNS1_3repE0EEENS1_30default_config_static_selectorELNS0_4arch9wavefront6targetE0EEEvT1_
                                        ; -- End function
	.set _ZN7rocprim17ROCPRIM_400000_NS6detail17trampoline_kernelINS0_14default_configENS1_27scan_by_key_config_selectorIiiEEZZNS1_16scan_by_key_implILNS1_25lookback_scan_determinismE0ELb0ES3_N6thrust23THRUST_200600_302600_NS18transform_iteratorI9which_rowNS9_17counting_iteratorIiNS9_11use_defaultESD_SD_EESD_SD_EENS9_6detail15normal_iteratorINS9_10device_ptrIiEEEESK_iNS9_4plusIvEENS9_8equal_toIvEEiEE10hipError_tPvRmT2_T3_T4_T5_mT6_T7_P12ihipStream_tbENKUlT_T0_E_clISt17integral_constantIbLb0EES15_EEDaS10_S11_EUlS10_E_NS1_11comp_targetILNS1_3genE3ELNS1_11target_archE908ELNS1_3gpuE7ELNS1_3repE0EEENS1_30default_config_static_selectorELNS0_4arch9wavefront6targetE0EEEvT1_.num_vgpr, 0
	.set _ZN7rocprim17ROCPRIM_400000_NS6detail17trampoline_kernelINS0_14default_configENS1_27scan_by_key_config_selectorIiiEEZZNS1_16scan_by_key_implILNS1_25lookback_scan_determinismE0ELb0ES3_N6thrust23THRUST_200600_302600_NS18transform_iteratorI9which_rowNS9_17counting_iteratorIiNS9_11use_defaultESD_SD_EESD_SD_EENS9_6detail15normal_iteratorINS9_10device_ptrIiEEEESK_iNS9_4plusIvEENS9_8equal_toIvEEiEE10hipError_tPvRmT2_T3_T4_T5_mT6_T7_P12ihipStream_tbENKUlT_T0_E_clISt17integral_constantIbLb0EES15_EEDaS10_S11_EUlS10_E_NS1_11comp_targetILNS1_3genE3ELNS1_11target_archE908ELNS1_3gpuE7ELNS1_3repE0EEENS1_30default_config_static_selectorELNS0_4arch9wavefront6targetE0EEEvT1_.num_agpr, 0
	.set _ZN7rocprim17ROCPRIM_400000_NS6detail17trampoline_kernelINS0_14default_configENS1_27scan_by_key_config_selectorIiiEEZZNS1_16scan_by_key_implILNS1_25lookback_scan_determinismE0ELb0ES3_N6thrust23THRUST_200600_302600_NS18transform_iteratorI9which_rowNS9_17counting_iteratorIiNS9_11use_defaultESD_SD_EESD_SD_EENS9_6detail15normal_iteratorINS9_10device_ptrIiEEEESK_iNS9_4plusIvEENS9_8equal_toIvEEiEE10hipError_tPvRmT2_T3_T4_T5_mT6_T7_P12ihipStream_tbENKUlT_T0_E_clISt17integral_constantIbLb0EES15_EEDaS10_S11_EUlS10_E_NS1_11comp_targetILNS1_3genE3ELNS1_11target_archE908ELNS1_3gpuE7ELNS1_3repE0EEENS1_30default_config_static_selectorELNS0_4arch9wavefront6targetE0EEEvT1_.numbered_sgpr, 0
	.set _ZN7rocprim17ROCPRIM_400000_NS6detail17trampoline_kernelINS0_14default_configENS1_27scan_by_key_config_selectorIiiEEZZNS1_16scan_by_key_implILNS1_25lookback_scan_determinismE0ELb0ES3_N6thrust23THRUST_200600_302600_NS18transform_iteratorI9which_rowNS9_17counting_iteratorIiNS9_11use_defaultESD_SD_EESD_SD_EENS9_6detail15normal_iteratorINS9_10device_ptrIiEEEESK_iNS9_4plusIvEENS9_8equal_toIvEEiEE10hipError_tPvRmT2_T3_T4_T5_mT6_T7_P12ihipStream_tbENKUlT_T0_E_clISt17integral_constantIbLb0EES15_EEDaS10_S11_EUlS10_E_NS1_11comp_targetILNS1_3genE3ELNS1_11target_archE908ELNS1_3gpuE7ELNS1_3repE0EEENS1_30default_config_static_selectorELNS0_4arch9wavefront6targetE0EEEvT1_.num_named_barrier, 0
	.set _ZN7rocprim17ROCPRIM_400000_NS6detail17trampoline_kernelINS0_14default_configENS1_27scan_by_key_config_selectorIiiEEZZNS1_16scan_by_key_implILNS1_25lookback_scan_determinismE0ELb0ES3_N6thrust23THRUST_200600_302600_NS18transform_iteratorI9which_rowNS9_17counting_iteratorIiNS9_11use_defaultESD_SD_EESD_SD_EENS9_6detail15normal_iteratorINS9_10device_ptrIiEEEESK_iNS9_4plusIvEENS9_8equal_toIvEEiEE10hipError_tPvRmT2_T3_T4_T5_mT6_T7_P12ihipStream_tbENKUlT_T0_E_clISt17integral_constantIbLb0EES15_EEDaS10_S11_EUlS10_E_NS1_11comp_targetILNS1_3genE3ELNS1_11target_archE908ELNS1_3gpuE7ELNS1_3repE0EEENS1_30default_config_static_selectorELNS0_4arch9wavefront6targetE0EEEvT1_.private_seg_size, 0
	.set _ZN7rocprim17ROCPRIM_400000_NS6detail17trampoline_kernelINS0_14default_configENS1_27scan_by_key_config_selectorIiiEEZZNS1_16scan_by_key_implILNS1_25lookback_scan_determinismE0ELb0ES3_N6thrust23THRUST_200600_302600_NS18transform_iteratorI9which_rowNS9_17counting_iteratorIiNS9_11use_defaultESD_SD_EESD_SD_EENS9_6detail15normal_iteratorINS9_10device_ptrIiEEEESK_iNS9_4plusIvEENS9_8equal_toIvEEiEE10hipError_tPvRmT2_T3_T4_T5_mT6_T7_P12ihipStream_tbENKUlT_T0_E_clISt17integral_constantIbLb0EES15_EEDaS10_S11_EUlS10_E_NS1_11comp_targetILNS1_3genE3ELNS1_11target_archE908ELNS1_3gpuE7ELNS1_3repE0EEENS1_30default_config_static_selectorELNS0_4arch9wavefront6targetE0EEEvT1_.uses_vcc, 0
	.set _ZN7rocprim17ROCPRIM_400000_NS6detail17trampoline_kernelINS0_14default_configENS1_27scan_by_key_config_selectorIiiEEZZNS1_16scan_by_key_implILNS1_25lookback_scan_determinismE0ELb0ES3_N6thrust23THRUST_200600_302600_NS18transform_iteratorI9which_rowNS9_17counting_iteratorIiNS9_11use_defaultESD_SD_EESD_SD_EENS9_6detail15normal_iteratorINS9_10device_ptrIiEEEESK_iNS9_4plusIvEENS9_8equal_toIvEEiEE10hipError_tPvRmT2_T3_T4_T5_mT6_T7_P12ihipStream_tbENKUlT_T0_E_clISt17integral_constantIbLb0EES15_EEDaS10_S11_EUlS10_E_NS1_11comp_targetILNS1_3genE3ELNS1_11target_archE908ELNS1_3gpuE7ELNS1_3repE0EEENS1_30default_config_static_selectorELNS0_4arch9wavefront6targetE0EEEvT1_.uses_flat_scratch, 0
	.set _ZN7rocprim17ROCPRIM_400000_NS6detail17trampoline_kernelINS0_14default_configENS1_27scan_by_key_config_selectorIiiEEZZNS1_16scan_by_key_implILNS1_25lookback_scan_determinismE0ELb0ES3_N6thrust23THRUST_200600_302600_NS18transform_iteratorI9which_rowNS9_17counting_iteratorIiNS9_11use_defaultESD_SD_EESD_SD_EENS9_6detail15normal_iteratorINS9_10device_ptrIiEEEESK_iNS9_4plusIvEENS9_8equal_toIvEEiEE10hipError_tPvRmT2_T3_T4_T5_mT6_T7_P12ihipStream_tbENKUlT_T0_E_clISt17integral_constantIbLb0EES15_EEDaS10_S11_EUlS10_E_NS1_11comp_targetILNS1_3genE3ELNS1_11target_archE908ELNS1_3gpuE7ELNS1_3repE0EEENS1_30default_config_static_selectorELNS0_4arch9wavefront6targetE0EEEvT1_.has_dyn_sized_stack, 0
	.set _ZN7rocprim17ROCPRIM_400000_NS6detail17trampoline_kernelINS0_14default_configENS1_27scan_by_key_config_selectorIiiEEZZNS1_16scan_by_key_implILNS1_25lookback_scan_determinismE0ELb0ES3_N6thrust23THRUST_200600_302600_NS18transform_iteratorI9which_rowNS9_17counting_iteratorIiNS9_11use_defaultESD_SD_EESD_SD_EENS9_6detail15normal_iteratorINS9_10device_ptrIiEEEESK_iNS9_4plusIvEENS9_8equal_toIvEEiEE10hipError_tPvRmT2_T3_T4_T5_mT6_T7_P12ihipStream_tbENKUlT_T0_E_clISt17integral_constantIbLb0EES15_EEDaS10_S11_EUlS10_E_NS1_11comp_targetILNS1_3genE3ELNS1_11target_archE908ELNS1_3gpuE7ELNS1_3repE0EEENS1_30default_config_static_selectorELNS0_4arch9wavefront6targetE0EEEvT1_.has_recursion, 0
	.set _ZN7rocprim17ROCPRIM_400000_NS6detail17trampoline_kernelINS0_14default_configENS1_27scan_by_key_config_selectorIiiEEZZNS1_16scan_by_key_implILNS1_25lookback_scan_determinismE0ELb0ES3_N6thrust23THRUST_200600_302600_NS18transform_iteratorI9which_rowNS9_17counting_iteratorIiNS9_11use_defaultESD_SD_EESD_SD_EENS9_6detail15normal_iteratorINS9_10device_ptrIiEEEESK_iNS9_4plusIvEENS9_8equal_toIvEEiEE10hipError_tPvRmT2_T3_T4_T5_mT6_T7_P12ihipStream_tbENKUlT_T0_E_clISt17integral_constantIbLb0EES15_EEDaS10_S11_EUlS10_E_NS1_11comp_targetILNS1_3genE3ELNS1_11target_archE908ELNS1_3gpuE7ELNS1_3repE0EEENS1_30default_config_static_selectorELNS0_4arch9wavefront6targetE0EEEvT1_.has_indirect_call, 0
	.section	.AMDGPU.csdata,"",@progbits
; Kernel info:
; codeLenInByte = 0
; TotalNumSgprs: 0
; NumVgprs: 0
; ScratchSize: 0
; MemoryBound: 0
; FloatMode: 240
; IeeeMode: 1
; LDSByteSize: 0 bytes/workgroup (compile time only)
; SGPRBlocks: 0
; VGPRBlocks: 0
; NumSGPRsForWavesPerEU: 1
; NumVGPRsForWavesPerEU: 1
; NamedBarCnt: 0
; Occupancy: 16
; WaveLimiterHint : 0
; COMPUTE_PGM_RSRC2:SCRATCH_EN: 0
; COMPUTE_PGM_RSRC2:USER_SGPR: 2
; COMPUTE_PGM_RSRC2:TRAP_HANDLER: 0
; COMPUTE_PGM_RSRC2:TGID_X_EN: 1
; COMPUTE_PGM_RSRC2:TGID_Y_EN: 0
; COMPUTE_PGM_RSRC2:TGID_Z_EN: 0
; COMPUTE_PGM_RSRC2:TIDIG_COMP_CNT: 0
	.section	.text._ZN7rocprim17ROCPRIM_400000_NS6detail17trampoline_kernelINS0_14default_configENS1_27scan_by_key_config_selectorIiiEEZZNS1_16scan_by_key_implILNS1_25lookback_scan_determinismE0ELb0ES3_N6thrust23THRUST_200600_302600_NS18transform_iteratorI9which_rowNS9_17counting_iteratorIiNS9_11use_defaultESD_SD_EESD_SD_EENS9_6detail15normal_iteratorINS9_10device_ptrIiEEEESK_iNS9_4plusIvEENS9_8equal_toIvEEiEE10hipError_tPvRmT2_T3_T4_T5_mT6_T7_P12ihipStream_tbENKUlT_T0_E_clISt17integral_constantIbLb0EES15_EEDaS10_S11_EUlS10_E_NS1_11comp_targetILNS1_3genE2ELNS1_11target_archE906ELNS1_3gpuE6ELNS1_3repE0EEENS1_30default_config_static_selectorELNS0_4arch9wavefront6targetE0EEEvT1_,"axG",@progbits,_ZN7rocprim17ROCPRIM_400000_NS6detail17trampoline_kernelINS0_14default_configENS1_27scan_by_key_config_selectorIiiEEZZNS1_16scan_by_key_implILNS1_25lookback_scan_determinismE0ELb0ES3_N6thrust23THRUST_200600_302600_NS18transform_iteratorI9which_rowNS9_17counting_iteratorIiNS9_11use_defaultESD_SD_EESD_SD_EENS9_6detail15normal_iteratorINS9_10device_ptrIiEEEESK_iNS9_4plusIvEENS9_8equal_toIvEEiEE10hipError_tPvRmT2_T3_T4_T5_mT6_T7_P12ihipStream_tbENKUlT_T0_E_clISt17integral_constantIbLb0EES15_EEDaS10_S11_EUlS10_E_NS1_11comp_targetILNS1_3genE2ELNS1_11target_archE906ELNS1_3gpuE6ELNS1_3repE0EEENS1_30default_config_static_selectorELNS0_4arch9wavefront6targetE0EEEvT1_,comdat
	.protected	_ZN7rocprim17ROCPRIM_400000_NS6detail17trampoline_kernelINS0_14default_configENS1_27scan_by_key_config_selectorIiiEEZZNS1_16scan_by_key_implILNS1_25lookback_scan_determinismE0ELb0ES3_N6thrust23THRUST_200600_302600_NS18transform_iteratorI9which_rowNS9_17counting_iteratorIiNS9_11use_defaultESD_SD_EESD_SD_EENS9_6detail15normal_iteratorINS9_10device_ptrIiEEEESK_iNS9_4plusIvEENS9_8equal_toIvEEiEE10hipError_tPvRmT2_T3_T4_T5_mT6_T7_P12ihipStream_tbENKUlT_T0_E_clISt17integral_constantIbLb0EES15_EEDaS10_S11_EUlS10_E_NS1_11comp_targetILNS1_3genE2ELNS1_11target_archE906ELNS1_3gpuE6ELNS1_3repE0EEENS1_30default_config_static_selectorELNS0_4arch9wavefront6targetE0EEEvT1_ ; -- Begin function _ZN7rocprim17ROCPRIM_400000_NS6detail17trampoline_kernelINS0_14default_configENS1_27scan_by_key_config_selectorIiiEEZZNS1_16scan_by_key_implILNS1_25lookback_scan_determinismE0ELb0ES3_N6thrust23THRUST_200600_302600_NS18transform_iteratorI9which_rowNS9_17counting_iteratorIiNS9_11use_defaultESD_SD_EESD_SD_EENS9_6detail15normal_iteratorINS9_10device_ptrIiEEEESK_iNS9_4plusIvEENS9_8equal_toIvEEiEE10hipError_tPvRmT2_T3_T4_T5_mT6_T7_P12ihipStream_tbENKUlT_T0_E_clISt17integral_constantIbLb0EES15_EEDaS10_S11_EUlS10_E_NS1_11comp_targetILNS1_3genE2ELNS1_11target_archE906ELNS1_3gpuE6ELNS1_3repE0EEENS1_30default_config_static_selectorELNS0_4arch9wavefront6targetE0EEEvT1_
	.globl	_ZN7rocprim17ROCPRIM_400000_NS6detail17trampoline_kernelINS0_14default_configENS1_27scan_by_key_config_selectorIiiEEZZNS1_16scan_by_key_implILNS1_25lookback_scan_determinismE0ELb0ES3_N6thrust23THRUST_200600_302600_NS18transform_iteratorI9which_rowNS9_17counting_iteratorIiNS9_11use_defaultESD_SD_EESD_SD_EENS9_6detail15normal_iteratorINS9_10device_ptrIiEEEESK_iNS9_4plusIvEENS9_8equal_toIvEEiEE10hipError_tPvRmT2_T3_T4_T5_mT6_T7_P12ihipStream_tbENKUlT_T0_E_clISt17integral_constantIbLb0EES15_EEDaS10_S11_EUlS10_E_NS1_11comp_targetILNS1_3genE2ELNS1_11target_archE906ELNS1_3gpuE6ELNS1_3repE0EEENS1_30default_config_static_selectorELNS0_4arch9wavefront6targetE0EEEvT1_
	.p2align	8
	.type	_ZN7rocprim17ROCPRIM_400000_NS6detail17trampoline_kernelINS0_14default_configENS1_27scan_by_key_config_selectorIiiEEZZNS1_16scan_by_key_implILNS1_25lookback_scan_determinismE0ELb0ES3_N6thrust23THRUST_200600_302600_NS18transform_iteratorI9which_rowNS9_17counting_iteratorIiNS9_11use_defaultESD_SD_EESD_SD_EENS9_6detail15normal_iteratorINS9_10device_ptrIiEEEESK_iNS9_4plusIvEENS9_8equal_toIvEEiEE10hipError_tPvRmT2_T3_T4_T5_mT6_T7_P12ihipStream_tbENKUlT_T0_E_clISt17integral_constantIbLb0EES15_EEDaS10_S11_EUlS10_E_NS1_11comp_targetILNS1_3genE2ELNS1_11target_archE906ELNS1_3gpuE6ELNS1_3repE0EEENS1_30default_config_static_selectorELNS0_4arch9wavefront6targetE0EEEvT1_,@function
_ZN7rocprim17ROCPRIM_400000_NS6detail17trampoline_kernelINS0_14default_configENS1_27scan_by_key_config_selectorIiiEEZZNS1_16scan_by_key_implILNS1_25lookback_scan_determinismE0ELb0ES3_N6thrust23THRUST_200600_302600_NS18transform_iteratorI9which_rowNS9_17counting_iteratorIiNS9_11use_defaultESD_SD_EESD_SD_EENS9_6detail15normal_iteratorINS9_10device_ptrIiEEEESK_iNS9_4plusIvEENS9_8equal_toIvEEiEE10hipError_tPvRmT2_T3_T4_T5_mT6_T7_P12ihipStream_tbENKUlT_T0_E_clISt17integral_constantIbLb0EES15_EEDaS10_S11_EUlS10_E_NS1_11comp_targetILNS1_3genE2ELNS1_11target_archE906ELNS1_3gpuE6ELNS1_3repE0EEENS1_30default_config_static_selectorELNS0_4arch9wavefront6targetE0EEEvT1_: ; @_ZN7rocprim17ROCPRIM_400000_NS6detail17trampoline_kernelINS0_14default_configENS1_27scan_by_key_config_selectorIiiEEZZNS1_16scan_by_key_implILNS1_25lookback_scan_determinismE0ELb0ES3_N6thrust23THRUST_200600_302600_NS18transform_iteratorI9which_rowNS9_17counting_iteratorIiNS9_11use_defaultESD_SD_EESD_SD_EENS9_6detail15normal_iteratorINS9_10device_ptrIiEEEESK_iNS9_4plusIvEENS9_8equal_toIvEEiEE10hipError_tPvRmT2_T3_T4_T5_mT6_T7_P12ihipStream_tbENKUlT_T0_E_clISt17integral_constantIbLb0EES15_EEDaS10_S11_EUlS10_E_NS1_11comp_targetILNS1_3genE2ELNS1_11target_archE906ELNS1_3gpuE6ELNS1_3repE0EEENS1_30default_config_static_selectorELNS0_4arch9wavefront6targetE0EEEvT1_
; %bb.0:
	.section	.rodata,"a",@progbits
	.p2align	6, 0x0
	.amdhsa_kernel _ZN7rocprim17ROCPRIM_400000_NS6detail17trampoline_kernelINS0_14default_configENS1_27scan_by_key_config_selectorIiiEEZZNS1_16scan_by_key_implILNS1_25lookback_scan_determinismE0ELb0ES3_N6thrust23THRUST_200600_302600_NS18transform_iteratorI9which_rowNS9_17counting_iteratorIiNS9_11use_defaultESD_SD_EESD_SD_EENS9_6detail15normal_iteratorINS9_10device_ptrIiEEEESK_iNS9_4plusIvEENS9_8equal_toIvEEiEE10hipError_tPvRmT2_T3_T4_T5_mT6_T7_P12ihipStream_tbENKUlT_T0_E_clISt17integral_constantIbLb0EES15_EEDaS10_S11_EUlS10_E_NS1_11comp_targetILNS1_3genE2ELNS1_11target_archE906ELNS1_3gpuE6ELNS1_3repE0EEENS1_30default_config_static_selectorELNS0_4arch9wavefront6targetE0EEEvT1_
		.amdhsa_group_segment_fixed_size 0
		.amdhsa_private_segment_fixed_size 0
		.amdhsa_kernarg_size 112
		.amdhsa_user_sgpr_count 2
		.amdhsa_user_sgpr_dispatch_ptr 0
		.amdhsa_user_sgpr_queue_ptr 0
		.amdhsa_user_sgpr_kernarg_segment_ptr 1
		.amdhsa_user_sgpr_dispatch_id 0
		.amdhsa_user_sgpr_kernarg_preload_length 0
		.amdhsa_user_sgpr_kernarg_preload_offset 0
		.amdhsa_user_sgpr_private_segment_size 0
		.amdhsa_wavefront_size32 1
		.amdhsa_uses_dynamic_stack 0
		.amdhsa_enable_private_segment 0
		.amdhsa_system_sgpr_workgroup_id_x 1
		.amdhsa_system_sgpr_workgroup_id_y 0
		.amdhsa_system_sgpr_workgroup_id_z 0
		.amdhsa_system_sgpr_workgroup_info 0
		.amdhsa_system_vgpr_workitem_id 0
		.amdhsa_next_free_vgpr 1
		.amdhsa_next_free_sgpr 1
		.amdhsa_named_barrier_count 0
		.amdhsa_reserve_vcc 0
		.amdhsa_float_round_mode_32 0
		.amdhsa_float_round_mode_16_64 0
		.amdhsa_float_denorm_mode_32 3
		.amdhsa_float_denorm_mode_16_64 3
		.amdhsa_fp16_overflow 0
		.amdhsa_memory_ordered 1
		.amdhsa_forward_progress 1
		.amdhsa_inst_pref_size 0
		.amdhsa_round_robin_scheduling 0
		.amdhsa_exception_fp_ieee_invalid_op 0
		.amdhsa_exception_fp_denorm_src 0
		.amdhsa_exception_fp_ieee_div_zero 0
		.amdhsa_exception_fp_ieee_overflow 0
		.amdhsa_exception_fp_ieee_underflow 0
		.amdhsa_exception_fp_ieee_inexact 0
		.amdhsa_exception_int_div_zero 0
	.end_amdhsa_kernel
	.section	.text._ZN7rocprim17ROCPRIM_400000_NS6detail17trampoline_kernelINS0_14default_configENS1_27scan_by_key_config_selectorIiiEEZZNS1_16scan_by_key_implILNS1_25lookback_scan_determinismE0ELb0ES3_N6thrust23THRUST_200600_302600_NS18transform_iteratorI9which_rowNS9_17counting_iteratorIiNS9_11use_defaultESD_SD_EESD_SD_EENS9_6detail15normal_iteratorINS9_10device_ptrIiEEEESK_iNS9_4plusIvEENS9_8equal_toIvEEiEE10hipError_tPvRmT2_T3_T4_T5_mT6_T7_P12ihipStream_tbENKUlT_T0_E_clISt17integral_constantIbLb0EES15_EEDaS10_S11_EUlS10_E_NS1_11comp_targetILNS1_3genE2ELNS1_11target_archE906ELNS1_3gpuE6ELNS1_3repE0EEENS1_30default_config_static_selectorELNS0_4arch9wavefront6targetE0EEEvT1_,"axG",@progbits,_ZN7rocprim17ROCPRIM_400000_NS6detail17trampoline_kernelINS0_14default_configENS1_27scan_by_key_config_selectorIiiEEZZNS1_16scan_by_key_implILNS1_25lookback_scan_determinismE0ELb0ES3_N6thrust23THRUST_200600_302600_NS18transform_iteratorI9which_rowNS9_17counting_iteratorIiNS9_11use_defaultESD_SD_EESD_SD_EENS9_6detail15normal_iteratorINS9_10device_ptrIiEEEESK_iNS9_4plusIvEENS9_8equal_toIvEEiEE10hipError_tPvRmT2_T3_T4_T5_mT6_T7_P12ihipStream_tbENKUlT_T0_E_clISt17integral_constantIbLb0EES15_EEDaS10_S11_EUlS10_E_NS1_11comp_targetILNS1_3genE2ELNS1_11target_archE906ELNS1_3gpuE6ELNS1_3repE0EEENS1_30default_config_static_selectorELNS0_4arch9wavefront6targetE0EEEvT1_,comdat
.Lfunc_end91:
	.size	_ZN7rocprim17ROCPRIM_400000_NS6detail17trampoline_kernelINS0_14default_configENS1_27scan_by_key_config_selectorIiiEEZZNS1_16scan_by_key_implILNS1_25lookback_scan_determinismE0ELb0ES3_N6thrust23THRUST_200600_302600_NS18transform_iteratorI9which_rowNS9_17counting_iteratorIiNS9_11use_defaultESD_SD_EESD_SD_EENS9_6detail15normal_iteratorINS9_10device_ptrIiEEEESK_iNS9_4plusIvEENS9_8equal_toIvEEiEE10hipError_tPvRmT2_T3_T4_T5_mT6_T7_P12ihipStream_tbENKUlT_T0_E_clISt17integral_constantIbLb0EES15_EEDaS10_S11_EUlS10_E_NS1_11comp_targetILNS1_3genE2ELNS1_11target_archE906ELNS1_3gpuE6ELNS1_3repE0EEENS1_30default_config_static_selectorELNS0_4arch9wavefront6targetE0EEEvT1_, .Lfunc_end91-_ZN7rocprim17ROCPRIM_400000_NS6detail17trampoline_kernelINS0_14default_configENS1_27scan_by_key_config_selectorIiiEEZZNS1_16scan_by_key_implILNS1_25lookback_scan_determinismE0ELb0ES3_N6thrust23THRUST_200600_302600_NS18transform_iteratorI9which_rowNS9_17counting_iteratorIiNS9_11use_defaultESD_SD_EESD_SD_EENS9_6detail15normal_iteratorINS9_10device_ptrIiEEEESK_iNS9_4plusIvEENS9_8equal_toIvEEiEE10hipError_tPvRmT2_T3_T4_T5_mT6_T7_P12ihipStream_tbENKUlT_T0_E_clISt17integral_constantIbLb0EES15_EEDaS10_S11_EUlS10_E_NS1_11comp_targetILNS1_3genE2ELNS1_11target_archE906ELNS1_3gpuE6ELNS1_3repE0EEENS1_30default_config_static_selectorELNS0_4arch9wavefront6targetE0EEEvT1_
                                        ; -- End function
	.set _ZN7rocprim17ROCPRIM_400000_NS6detail17trampoline_kernelINS0_14default_configENS1_27scan_by_key_config_selectorIiiEEZZNS1_16scan_by_key_implILNS1_25lookback_scan_determinismE0ELb0ES3_N6thrust23THRUST_200600_302600_NS18transform_iteratorI9which_rowNS9_17counting_iteratorIiNS9_11use_defaultESD_SD_EESD_SD_EENS9_6detail15normal_iteratorINS9_10device_ptrIiEEEESK_iNS9_4plusIvEENS9_8equal_toIvEEiEE10hipError_tPvRmT2_T3_T4_T5_mT6_T7_P12ihipStream_tbENKUlT_T0_E_clISt17integral_constantIbLb0EES15_EEDaS10_S11_EUlS10_E_NS1_11comp_targetILNS1_3genE2ELNS1_11target_archE906ELNS1_3gpuE6ELNS1_3repE0EEENS1_30default_config_static_selectorELNS0_4arch9wavefront6targetE0EEEvT1_.num_vgpr, 0
	.set _ZN7rocprim17ROCPRIM_400000_NS6detail17trampoline_kernelINS0_14default_configENS1_27scan_by_key_config_selectorIiiEEZZNS1_16scan_by_key_implILNS1_25lookback_scan_determinismE0ELb0ES3_N6thrust23THRUST_200600_302600_NS18transform_iteratorI9which_rowNS9_17counting_iteratorIiNS9_11use_defaultESD_SD_EESD_SD_EENS9_6detail15normal_iteratorINS9_10device_ptrIiEEEESK_iNS9_4plusIvEENS9_8equal_toIvEEiEE10hipError_tPvRmT2_T3_T4_T5_mT6_T7_P12ihipStream_tbENKUlT_T0_E_clISt17integral_constantIbLb0EES15_EEDaS10_S11_EUlS10_E_NS1_11comp_targetILNS1_3genE2ELNS1_11target_archE906ELNS1_3gpuE6ELNS1_3repE0EEENS1_30default_config_static_selectorELNS0_4arch9wavefront6targetE0EEEvT1_.num_agpr, 0
	.set _ZN7rocprim17ROCPRIM_400000_NS6detail17trampoline_kernelINS0_14default_configENS1_27scan_by_key_config_selectorIiiEEZZNS1_16scan_by_key_implILNS1_25lookback_scan_determinismE0ELb0ES3_N6thrust23THRUST_200600_302600_NS18transform_iteratorI9which_rowNS9_17counting_iteratorIiNS9_11use_defaultESD_SD_EESD_SD_EENS9_6detail15normal_iteratorINS9_10device_ptrIiEEEESK_iNS9_4plusIvEENS9_8equal_toIvEEiEE10hipError_tPvRmT2_T3_T4_T5_mT6_T7_P12ihipStream_tbENKUlT_T0_E_clISt17integral_constantIbLb0EES15_EEDaS10_S11_EUlS10_E_NS1_11comp_targetILNS1_3genE2ELNS1_11target_archE906ELNS1_3gpuE6ELNS1_3repE0EEENS1_30default_config_static_selectorELNS0_4arch9wavefront6targetE0EEEvT1_.numbered_sgpr, 0
	.set _ZN7rocprim17ROCPRIM_400000_NS6detail17trampoline_kernelINS0_14default_configENS1_27scan_by_key_config_selectorIiiEEZZNS1_16scan_by_key_implILNS1_25lookback_scan_determinismE0ELb0ES3_N6thrust23THRUST_200600_302600_NS18transform_iteratorI9which_rowNS9_17counting_iteratorIiNS9_11use_defaultESD_SD_EESD_SD_EENS9_6detail15normal_iteratorINS9_10device_ptrIiEEEESK_iNS9_4plusIvEENS9_8equal_toIvEEiEE10hipError_tPvRmT2_T3_T4_T5_mT6_T7_P12ihipStream_tbENKUlT_T0_E_clISt17integral_constantIbLb0EES15_EEDaS10_S11_EUlS10_E_NS1_11comp_targetILNS1_3genE2ELNS1_11target_archE906ELNS1_3gpuE6ELNS1_3repE0EEENS1_30default_config_static_selectorELNS0_4arch9wavefront6targetE0EEEvT1_.num_named_barrier, 0
	.set _ZN7rocprim17ROCPRIM_400000_NS6detail17trampoline_kernelINS0_14default_configENS1_27scan_by_key_config_selectorIiiEEZZNS1_16scan_by_key_implILNS1_25lookback_scan_determinismE0ELb0ES3_N6thrust23THRUST_200600_302600_NS18transform_iteratorI9which_rowNS9_17counting_iteratorIiNS9_11use_defaultESD_SD_EESD_SD_EENS9_6detail15normal_iteratorINS9_10device_ptrIiEEEESK_iNS9_4plusIvEENS9_8equal_toIvEEiEE10hipError_tPvRmT2_T3_T4_T5_mT6_T7_P12ihipStream_tbENKUlT_T0_E_clISt17integral_constantIbLb0EES15_EEDaS10_S11_EUlS10_E_NS1_11comp_targetILNS1_3genE2ELNS1_11target_archE906ELNS1_3gpuE6ELNS1_3repE0EEENS1_30default_config_static_selectorELNS0_4arch9wavefront6targetE0EEEvT1_.private_seg_size, 0
	.set _ZN7rocprim17ROCPRIM_400000_NS6detail17trampoline_kernelINS0_14default_configENS1_27scan_by_key_config_selectorIiiEEZZNS1_16scan_by_key_implILNS1_25lookback_scan_determinismE0ELb0ES3_N6thrust23THRUST_200600_302600_NS18transform_iteratorI9which_rowNS9_17counting_iteratorIiNS9_11use_defaultESD_SD_EESD_SD_EENS9_6detail15normal_iteratorINS9_10device_ptrIiEEEESK_iNS9_4plusIvEENS9_8equal_toIvEEiEE10hipError_tPvRmT2_T3_T4_T5_mT6_T7_P12ihipStream_tbENKUlT_T0_E_clISt17integral_constantIbLb0EES15_EEDaS10_S11_EUlS10_E_NS1_11comp_targetILNS1_3genE2ELNS1_11target_archE906ELNS1_3gpuE6ELNS1_3repE0EEENS1_30default_config_static_selectorELNS0_4arch9wavefront6targetE0EEEvT1_.uses_vcc, 0
	.set _ZN7rocprim17ROCPRIM_400000_NS6detail17trampoline_kernelINS0_14default_configENS1_27scan_by_key_config_selectorIiiEEZZNS1_16scan_by_key_implILNS1_25lookback_scan_determinismE0ELb0ES3_N6thrust23THRUST_200600_302600_NS18transform_iteratorI9which_rowNS9_17counting_iteratorIiNS9_11use_defaultESD_SD_EESD_SD_EENS9_6detail15normal_iteratorINS9_10device_ptrIiEEEESK_iNS9_4plusIvEENS9_8equal_toIvEEiEE10hipError_tPvRmT2_T3_T4_T5_mT6_T7_P12ihipStream_tbENKUlT_T0_E_clISt17integral_constantIbLb0EES15_EEDaS10_S11_EUlS10_E_NS1_11comp_targetILNS1_3genE2ELNS1_11target_archE906ELNS1_3gpuE6ELNS1_3repE0EEENS1_30default_config_static_selectorELNS0_4arch9wavefront6targetE0EEEvT1_.uses_flat_scratch, 0
	.set _ZN7rocprim17ROCPRIM_400000_NS6detail17trampoline_kernelINS0_14default_configENS1_27scan_by_key_config_selectorIiiEEZZNS1_16scan_by_key_implILNS1_25lookback_scan_determinismE0ELb0ES3_N6thrust23THRUST_200600_302600_NS18transform_iteratorI9which_rowNS9_17counting_iteratorIiNS9_11use_defaultESD_SD_EESD_SD_EENS9_6detail15normal_iteratorINS9_10device_ptrIiEEEESK_iNS9_4plusIvEENS9_8equal_toIvEEiEE10hipError_tPvRmT2_T3_T4_T5_mT6_T7_P12ihipStream_tbENKUlT_T0_E_clISt17integral_constantIbLb0EES15_EEDaS10_S11_EUlS10_E_NS1_11comp_targetILNS1_3genE2ELNS1_11target_archE906ELNS1_3gpuE6ELNS1_3repE0EEENS1_30default_config_static_selectorELNS0_4arch9wavefront6targetE0EEEvT1_.has_dyn_sized_stack, 0
	.set _ZN7rocprim17ROCPRIM_400000_NS6detail17trampoline_kernelINS0_14default_configENS1_27scan_by_key_config_selectorIiiEEZZNS1_16scan_by_key_implILNS1_25lookback_scan_determinismE0ELb0ES3_N6thrust23THRUST_200600_302600_NS18transform_iteratorI9which_rowNS9_17counting_iteratorIiNS9_11use_defaultESD_SD_EESD_SD_EENS9_6detail15normal_iteratorINS9_10device_ptrIiEEEESK_iNS9_4plusIvEENS9_8equal_toIvEEiEE10hipError_tPvRmT2_T3_T4_T5_mT6_T7_P12ihipStream_tbENKUlT_T0_E_clISt17integral_constantIbLb0EES15_EEDaS10_S11_EUlS10_E_NS1_11comp_targetILNS1_3genE2ELNS1_11target_archE906ELNS1_3gpuE6ELNS1_3repE0EEENS1_30default_config_static_selectorELNS0_4arch9wavefront6targetE0EEEvT1_.has_recursion, 0
	.set _ZN7rocprim17ROCPRIM_400000_NS6detail17trampoline_kernelINS0_14default_configENS1_27scan_by_key_config_selectorIiiEEZZNS1_16scan_by_key_implILNS1_25lookback_scan_determinismE0ELb0ES3_N6thrust23THRUST_200600_302600_NS18transform_iteratorI9which_rowNS9_17counting_iteratorIiNS9_11use_defaultESD_SD_EESD_SD_EENS9_6detail15normal_iteratorINS9_10device_ptrIiEEEESK_iNS9_4plusIvEENS9_8equal_toIvEEiEE10hipError_tPvRmT2_T3_T4_T5_mT6_T7_P12ihipStream_tbENKUlT_T0_E_clISt17integral_constantIbLb0EES15_EEDaS10_S11_EUlS10_E_NS1_11comp_targetILNS1_3genE2ELNS1_11target_archE906ELNS1_3gpuE6ELNS1_3repE0EEENS1_30default_config_static_selectorELNS0_4arch9wavefront6targetE0EEEvT1_.has_indirect_call, 0
	.section	.AMDGPU.csdata,"",@progbits
; Kernel info:
; codeLenInByte = 0
; TotalNumSgprs: 0
; NumVgprs: 0
; ScratchSize: 0
; MemoryBound: 0
; FloatMode: 240
; IeeeMode: 1
; LDSByteSize: 0 bytes/workgroup (compile time only)
; SGPRBlocks: 0
; VGPRBlocks: 0
; NumSGPRsForWavesPerEU: 1
; NumVGPRsForWavesPerEU: 1
; NamedBarCnt: 0
; Occupancy: 16
; WaveLimiterHint : 0
; COMPUTE_PGM_RSRC2:SCRATCH_EN: 0
; COMPUTE_PGM_RSRC2:USER_SGPR: 2
; COMPUTE_PGM_RSRC2:TRAP_HANDLER: 0
; COMPUTE_PGM_RSRC2:TGID_X_EN: 1
; COMPUTE_PGM_RSRC2:TGID_Y_EN: 0
; COMPUTE_PGM_RSRC2:TGID_Z_EN: 0
; COMPUTE_PGM_RSRC2:TIDIG_COMP_CNT: 0
	.section	.text._ZN7rocprim17ROCPRIM_400000_NS6detail17trampoline_kernelINS0_14default_configENS1_27scan_by_key_config_selectorIiiEEZZNS1_16scan_by_key_implILNS1_25lookback_scan_determinismE0ELb0ES3_N6thrust23THRUST_200600_302600_NS18transform_iteratorI9which_rowNS9_17counting_iteratorIiNS9_11use_defaultESD_SD_EESD_SD_EENS9_6detail15normal_iteratorINS9_10device_ptrIiEEEESK_iNS9_4plusIvEENS9_8equal_toIvEEiEE10hipError_tPvRmT2_T3_T4_T5_mT6_T7_P12ihipStream_tbENKUlT_T0_E_clISt17integral_constantIbLb0EES15_EEDaS10_S11_EUlS10_E_NS1_11comp_targetILNS1_3genE10ELNS1_11target_archE1200ELNS1_3gpuE4ELNS1_3repE0EEENS1_30default_config_static_selectorELNS0_4arch9wavefront6targetE0EEEvT1_,"axG",@progbits,_ZN7rocprim17ROCPRIM_400000_NS6detail17trampoline_kernelINS0_14default_configENS1_27scan_by_key_config_selectorIiiEEZZNS1_16scan_by_key_implILNS1_25lookback_scan_determinismE0ELb0ES3_N6thrust23THRUST_200600_302600_NS18transform_iteratorI9which_rowNS9_17counting_iteratorIiNS9_11use_defaultESD_SD_EESD_SD_EENS9_6detail15normal_iteratorINS9_10device_ptrIiEEEESK_iNS9_4plusIvEENS9_8equal_toIvEEiEE10hipError_tPvRmT2_T3_T4_T5_mT6_T7_P12ihipStream_tbENKUlT_T0_E_clISt17integral_constantIbLb0EES15_EEDaS10_S11_EUlS10_E_NS1_11comp_targetILNS1_3genE10ELNS1_11target_archE1200ELNS1_3gpuE4ELNS1_3repE0EEENS1_30default_config_static_selectorELNS0_4arch9wavefront6targetE0EEEvT1_,comdat
	.protected	_ZN7rocprim17ROCPRIM_400000_NS6detail17trampoline_kernelINS0_14default_configENS1_27scan_by_key_config_selectorIiiEEZZNS1_16scan_by_key_implILNS1_25lookback_scan_determinismE0ELb0ES3_N6thrust23THRUST_200600_302600_NS18transform_iteratorI9which_rowNS9_17counting_iteratorIiNS9_11use_defaultESD_SD_EESD_SD_EENS9_6detail15normal_iteratorINS9_10device_ptrIiEEEESK_iNS9_4plusIvEENS9_8equal_toIvEEiEE10hipError_tPvRmT2_T3_T4_T5_mT6_T7_P12ihipStream_tbENKUlT_T0_E_clISt17integral_constantIbLb0EES15_EEDaS10_S11_EUlS10_E_NS1_11comp_targetILNS1_3genE10ELNS1_11target_archE1200ELNS1_3gpuE4ELNS1_3repE0EEENS1_30default_config_static_selectorELNS0_4arch9wavefront6targetE0EEEvT1_ ; -- Begin function _ZN7rocprim17ROCPRIM_400000_NS6detail17trampoline_kernelINS0_14default_configENS1_27scan_by_key_config_selectorIiiEEZZNS1_16scan_by_key_implILNS1_25lookback_scan_determinismE0ELb0ES3_N6thrust23THRUST_200600_302600_NS18transform_iteratorI9which_rowNS9_17counting_iteratorIiNS9_11use_defaultESD_SD_EESD_SD_EENS9_6detail15normal_iteratorINS9_10device_ptrIiEEEESK_iNS9_4plusIvEENS9_8equal_toIvEEiEE10hipError_tPvRmT2_T3_T4_T5_mT6_T7_P12ihipStream_tbENKUlT_T0_E_clISt17integral_constantIbLb0EES15_EEDaS10_S11_EUlS10_E_NS1_11comp_targetILNS1_3genE10ELNS1_11target_archE1200ELNS1_3gpuE4ELNS1_3repE0EEENS1_30default_config_static_selectorELNS0_4arch9wavefront6targetE0EEEvT1_
	.globl	_ZN7rocprim17ROCPRIM_400000_NS6detail17trampoline_kernelINS0_14default_configENS1_27scan_by_key_config_selectorIiiEEZZNS1_16scan_by_key_implILNS1_25lookback_scan_determinismE0ELb0ES3_N6thrust23THRUST_200600_302600_NS18transform_iteratorI9which_rowNS9_17counting_iteratorIiNS9_11use_defaultESD_SD_EESD_SD_EENS9_6detail15normal_iteratorINS9_10device_ptrIiEEEESK_iNS9_4plusIvEENS9_8equal_toIvEEiEE10hipError_tPvRmT2_T3_T4_T5_mT6_T7_P12ihipStream_tbENKUlT_T0_E_clISt17integral_constantIbLb0EES15_EEDaS10_S11_EUlS10_E_NS1_11comp_targetILNS1_3genE10ELNS1_11target_archE1200ELNS1_3gpuE4ELNS1_3repE0EEENS1_30default_config_static_selectorELNS0_4arch9wavefront6targetE0EEEvT1_
	.p2align	8
	.type	_ZN7rocprim17ROCPRIM_400000_NS6detail17trampoline_kernelINS0_14default_configENS1_27scan_by_key_config_selectorIiiEEZZNS1_16scan_by_key_implILNS1_25lookback_scan_determinismE0ELb0ES3_N6thrust23THRUST_200600_302600_NS18transform_iteratorI9which_rowNS9_17counting_iteratorIiNS9_11use_defaultESD_SD_EESD_SD_EENS9_6detail15normal_iteratorINS9_10device_ptrIiEEEESK_iNS9_4plusIvEENS9_8equal_toIvEEiEE10hipError_tPvRmT2_T3_T4_T5_mT6_T7_P12ihipStream_tbENKUlT_T0_E_clISt17integral_constantIbLb0EES15_EEDaS10_S11_EUlS10_E_NS1_11comp_targetILNS1_3genE10ELNS1_11target_archE1200ELNS1_3gpuE4ELNS1_3repE0EEENS1_30default_config_static_selectorELNS0_4arch9wavefront6targetE0EEEvT1_,@function
_ZN7rocprim17ROCPRIM_400000_NS6detail17trampoline_kernelINS0_14default_configENS1_27scan_by_key_config_selectorIiiEEZZNS1_16scan_by_key_implILNS1_25lookback_scan_determinismE0ELb0ES3_N6thrust23THRUST_200600_302600_NS18transform_iteratorI9which_rowNS9_17counting_iteratorIiNS9_11use_defaultESD_SD_EESD_SD_EENS9_6detail15normal_iteratorINS9_10device_ptrIiEEEESK_iNS9_4plusIvEENS9_8equal_toIvEEiEE10hipError_tPvRmT2_T3_T4_T5_mT6_T7_P12ihipStream_tbENKUlT_T0_E_clISt17integral_constantIbLb0EES15_EEDaS10_S11_EUlS10_E_NS1_11comp_targetILNS1_3genE10ELNS1_11target_archE1200ELNS1_3gpuE4ELNS1_3repE0EEENS1_30default_config_static_selectorELNS0_4arch9wavefront6targetE0EEEvT1_: ; @_ZN7rocprim17ROCPRIM_400000_NS6detail17trampoline_kernelINS0_14default_configENS1_27scan_by_key_config_selectorIiiEEZZNS1_16scan_by_key_implILNS1_25lookback_scan_determinismE0ELb0ES3_N6thrust23THRUST_200600_302600_NS18transform_iteratorI9which_rowNS9_17counting_iteratorIiNS9_11use_defaultESD_SD_EESD_SD_EENS9_6detail15normal_iteratorINS9_10device_ptrIiEEEESK_iNS9_4plusIvEENS9_8equal_toIvEEiEE10hipError_tPvRmT2_T3_T4_T5_mT6_T7_P12ihipStream_tbENKUlT_T0_E_clISt17integral_constantIbLb0EES15_EEDaS10_S11_EUlS10_E_NS1_11comp_targetILNS1_3genE10ELNS1_11target_archE1200ELNS1_3gpuE4ELNS1_3repE0EEENS1_30default_config_static_selectorELNS0_4arch9wavefront6targetE0EEEvT1_
; %bb.0:
	.section	.rodata,"a",@progbits
	.p2align	6, 0x0
	.amdhsa_kernel _ZN7rocprim17ROCPRIM_400000_NS6detail17trampoline_kernelINS0_14default_configENS1_27scan_by_key_config_selectorIiiEEZZNS1_16scan_by_key_implILNS1_25lookback_scan_determinismE0ELb0ES3_N6thrust23THRUST_200600_302600_NS18transform_iteratorI9which_rowNS9_17counting_iteratorIiNS9_11use_defaultESD_SD_EESD_SD_EENS9_6detail15normal_iteratorINS9_10device_ptrIiEEEESK_iNS9_4plusIvEENS9_8equal_toIvEEiEE10hipError_tPvRmT2_T3_T4_T5_mT6_T7_P12ihipStream_tbENKUlT_T0_E_clISt17integral_constantIbLb0EES15_EEDaS10_S11_EUlS10_E_NS1_11comp_targetILNS1_3genE10ELNS1_11target_archE1200ELNS1_3gpuE4ELNS1_3repE0EEENS1_30default_config_static_selectorELNS0_4arch9wavefront6targetE0EEEvT1_
		.amdhsa_group_segment_fixed_size 0
		.amdhsa_private_segment_fixed_size 0
		.amdhsa_kernarg_size 112
		.amdhsa_user_sgpr_count 2
		.amdhsa_user_sgpr_dispatch_ptr 0
		.amdhsa_user_sgpr_queue_ptr 0
		.amdhsa_user_sgpr_kernarg_segment_ptr 1
		.amdhsa_user_sgpr_dispatch_id 0
		.amdhsa_user_sgpr_kernarg_preload_length 0
		.amdhsa_user_sgpr_kernarg_preload_offset 0
		.amdhsa_user_sgpr_private_segment_size 0
		.amdhsa_wavefront_size32 1
		.amdhsa_uses_dynamic_stack 0
		.amdhsa_enable_private_segment 0
		.amdhsa_system_sgpr_workgroup_id_x 1
		.amdhsa_system_sgpr_workgroup_id_y 0
		.amdhsa_system_sgpr_workgroup_id_z 0
		.amdhsa_system_sgpr_workgroup_info 0
		.amdhsa_system_vgpr_workitem_id 0
		.amdhsa_next_free_vgpr 1
		.amdhsa_next_free_sgpr 1
		.amdhsa_named_barrier_count 0
		.amdhsa_reserve_vcc 0
		.amdhsa_float_round_mode_32 0
		.amdhsa_float_round_mode_16_64 0
		.amdhsa_float_denorm_mode_32 3
		.amdhsa_float_denorm_mode_16_64 3
		.amdhsa_fp16_overflow 0
		.amdhsa_memory_ordered 1
		.amdhsa_forward_progress 1
		.amdhsa_inst_pref_size 0
		.amdhsa_round_robin_scheduling 0
		.amdhsa_exception_fp_ieee_invalid_op 0
		.amdhsa_exception_fp_denorm_src 0
		.amdhsa_exception_fp_ieee_div_zero 0
		.amdhsa_exception_fp_ieee_overflow 0
		.amdhsa_exception_fp_ieee_underflow 0
		.amdhsa_exception_fp_ieee_inexact 0
		.amdhsa_exception_int_div_zero 0
	.end_amdhsa_kernel
	.section	.text._ZN7rocprim17ROCPRIM_400000_NS6detail17trampoline_kernelINS0_14default_configENS1_27scan_by_key_config_selectorIiiEEZZNS1_16scan_by_key_implILNS1_25lookback_scan_determinismE0ELb0ES3_N6thrust23THRUST_200600_302600_NS18transform_iteratorI9which_rowNS9_17counting_iteratorIiNS9_11use_defaultESD_SD_EESD_SD_EENS9_6detail15normal_iteratorINS9_10device_ptrIiEEEESK_iNS9_4plusIvEENS9_8equal_toIvEEiEE10hipError_tPvRmT2_T3_T4_T5_mT6_T7_P12ihipStream_tbENKUlT_T0_E_clISt17integral_constantIbLb0EES15_EEDaS10_S11_EUlS10_E_NS1_11comp_targetILNS1_3genE10ELNS1_11target_archE1200ELNS1_3gpuE4ELNS1_3repE0EEENS1_30default_config_static_selectorELNS0_4arch9wavefront6targetE0EEEvT1_,"axG",@progbits,_ZN7rocprim17ROCPRIM_400000_NS6detail17trampoline_kernelINS0_14default_configENS1_27scan_by_key_config_selectorIiiEEZZNS1_16scan_by_key_implILNS1_25lookback_scan_determinismE0ELb0ES3_N6thrust23THRUST_200600_302600_NS18transform_iteratorI9which_rowNS9_17counting_iteratorIiNS9_11use_defaultESD_SD_EESD_SD_EENS9_6detail15normal_iteratorINS9_10device_ptrIiEEEESK_iNS9_4plusIvEENS9_8equal_toIvEEiEE10hipError_tPvRmT2_T3_T4_T5_mT6_T7_P12ihipStream_tbENKUlT_T0_E_clISt17integral_constantIbLb0EES15_EEDaS10_S11_EUlS10_E_NS1_11comp_targetILNS1_3genE10ELNS1_11target_archE1200ELNS1_3gpuE4ELNS1_3repE0EEENS1_30default_config_static_selectorELNS0_4arch9wavefront6targetE0EEEvT1_,comdat
.Lfunc_end92:
	.size	_ZN7rocprim17ROCPRIM_400000_NS6detail17trampoline_kernelINS0_14default_configENS1_27scan_by_key_config_selectorIiiEEZZNS1_16scan_by_key_implILNS1_25lookback_scan_determinismE0ELb0ES3_N6thrust23THRUST_200600_302600_NS18transform_iteratorI9which_rowNS9_17counting_iteratorIiNS9_11use_defaultESD_SD_EESD_SD_EENS9_6detail15normal_iteratorINS9_10device_ptrIiEEEESK_iNS9_4plusIvEENS9_8equal_toIvEEiEE10hipError_tPvRmT2_T3_T4_T5_mT6_T7_P12ihipStream_tbENKUlT_T0_E_clISt17integral_constantIbLb0EES15_EEDaS10_S11_EUlS10_E_NS1_11comp_targetILNS1_3genE10ELNS1_11target_archE1200ELNS1_3gpuE4ELNS1_3repE0EEENS1_30default_config_static_selectorELNS0_4arch9wavefront6targetE0EEEvT1_, .Lfunc_end92-_ZN7rocprim17ROCPRIM_400000_NS6detail17trampoline_kernelINS0_14default_configENS1_27scan_by_key_config_selectorIiiEEZZNS1_16scan_by_key_implILNS1_25lookback_scan_determinismE0ELb0ES3_N6thrust23THRUST_200600_302600_NS18transform_iteratorI9which_rowNS9_17counting_iteratorIiNS9_11use_defaultESD_SD_EESD_SD_EENS9_6detail15normal_iteratorINS9_10device_ptrIiEEEESK_iNS9_4plusIvEENS9_8equal_toIvEEiEE10hipError_tPvRmT2_T3_T4_T5_mT6_T7_P12ihipStream_tbENKUlT_T0_E_clISt17integral_constantIbLb0EES15_EEDaS10_S11_EUlS10_E_NS1_11comp_targetILNS1_3genE10ELNS1_11target_archE1200ELNS1_3gpuE4ELNS1_3repE0EEENS1_30default_config_static_selectorELNS0_4arch9wavefront6targetE0EEEvT1_
                                        ; -- End function
	.set _ZN7rocprim17ROCPRIM_400000_NS6detail17trampoline_kernelINS0_14default_configENS1_27scan_by_key_config_selectorIiiEEZZNS1_16scan_by_key_implILNS1_25lookback_scan_determinismE0ELb0ES3_N6thrust23THRUST_200600_302600_NS18transform_iteratorI9which_rowNS9_17counting_iteratorIiNS9_11use_defaultESD_SD_EESD_SD_EENS9_6detail15normal_iteratorINS9_10device_ptrIiEEEESK_iNS9_4plusIvEENS9_8equal_toIvEEiEE10hipError_tPvRmT2_T3_T4_T5_mT6_T7_P12ihipStream_tbENKUlT_T0_E_clISt17integral_constantIbLb0EES15_EEDaS10_S11_EUlS10_E_NS1_11comp_targetILNS1_3genE10ELNS1_11target_archE1200ELNS1_3gpuE4ELNS1_3repE0EEENS1_30default_config_static_selectorELNS0_4arch9wavefront6targetE0EEEvT1_.num_vgpr, 0
	.set _ZN7rocprim17ROCPRIM_400000_NS6detail17trampoline_kernelINS0_14default_configENS1_27scan_by_key_config_selectorIiiEEZZNS1_16scan_by_key_implILNS1_25lookback_scan_determinismE0ELb0ES3_N6thrust23THRUST_200600_302600_NS18transform_iteratorI9which_rowNS9_17counting_iteratorIiNS9_11use_defaultESD_SD_EESD_SD_EENS9_6detail15normal_iteratorINS9_10device_ptrIiEEEESK_iNS9_4plusIvEENS9_8equal_toIvEEiEE10hipError_tPvRmT2_T3_T4_T5_mT6_T7_P12ihipStream_tbENKUlT_T0_E_clISt17integral_constantIbLb0EES15_EEDaS10_S11_EUlS10_E_NS1_11comp_targetILNS1_3genE10ELNS1_11target_archE1200ELNS1_3gpuE4ELNS1_3repE0EEENS1_30default_config_static_selectorELNS0_4arch9wavefront6targetE0EEEvT1_.num_agpr, 0
	.set _ZN7rocprim17ROCPRIM_400000_NS6detail17trampoline_kernelINS0_14default_configENS1_27scan_by_key_config_selectorIiiEEZZNS1_16scan_by_key_implILNS1_25lookback_scan_determinismE0ELb0ES3_N6thrust23THRUST_200600_302600_NS18transform_iteratorI9which_rowNS9_17counting_iteratorIiNS9_11use_defaultESD_SD_EESD_SD_EENS9_6detail15normal_iteratorINS9_10device_ptrIiEEEESK_iNS9_4plusIvEENS9_8equal_toIvEEiEE10hipError_tPvRmT2_T3_T4_T5_mT6_T7_P12ihipStream_tbENKUlT_T0_E_clISt17integral_constantIbLb0EES15_EEDaS10_S11_EUlS10_E_NS1_11comp_targetILNS1_3genE10ELNS1_11target_archE1200ELNS1_3gpuE4ELNS1_3repE0EEENS1_30default_config_static_selectorELNS0_4arch9wavefront6targetE0EEEvT1_.numbered_sgpr, 0
	.set _ZN7rocprim17ROCPRIM_400000_NS6detail17trampoline_kernelINS0_14default_configENS1_27scan_by_key_config_selectorIiiEEZZNS1_16scan_by_key_implILNS1_25lookback_scan_determinismE0ELb0ES3_N6thrust23THRUST_200600_302600_NS18transform_iteratorI9which_rowNS9_17counting_iteratorIiNS9_11use_defaultESD_SD_EESD_SD_EENS9_6detail15normal_iteratorINS9_10device_ptrIiEEEESK_iNS9_4plusIvEENS9_8equal_toIvEEiEE10hipError_tPvRmT2_T3_T4_T5_mT6_T7_P12ihipStream_tbENKUlT_T0_E_clISt17integral_constantIbLb0EES15_EEDaS10_S11_EUlS10_E_NS1_11comp_targetILNS1_3genE10ELNS1_11target_archE1200ELNS1_3gpuE4ELNS1_3repE0EEENS1_30default_config_static_selectorELNS0_4arch9wavefront6targetE0EEEvT1_.num_named_barrier, 0
	.set _ZN7rocprim17ROCPRIM_400000_NS6detail17trampoline_kernelINS0_14default_configENS1_27scan_by_key_config_selectorIiiEEZZNS1_16scan_by_key_implILNS1_25lookback_scan_determinismE0ELb0ES3_N6thrust23THRUST_200600_302600_NS18transform_iteratorI9which_rowNS9_17counting_iteratorIiNS9_11use_defaultESD_SD_EESD_SD_EENS9_6detail15normal_iteratorINS9_10device_ptrIiEEEESK_iNS9_4plusIvEENS9_8equal_toIvEEiEE10hipError_tPvRmT2_T3_T4_T5_mT6_T7_P12ihipStream_tbENKUlT_T0_E_clISt17integral_constantIbLb0EES15_EEDaS10_S11_EUlS10_E_NS1_11comp_targetILNS1_3genE10ELNS1_11target_archE1200ELNS1_3gpuE4ELNS1_3repE0EEENS1_30default_config_static_selectorELNS0_4arch9wavefront6targetE0EEEvT1_.private_seg_size, 0
	.set _ZN7rocprim17ROCPRIM_400000_NS6detail17trampoline_kernelINS0_14default_configENS1_27scan_by_key_config_selectorIiiEEZZNS1_16scan_by_key_implILNS1_25lookback_scan_determinismE0ELb0ES3_N6thrust23THRUST_200600_302600_NS18transform_iteratorI9which_rowNS9_17counting_iteratorIiNS9_11use_defaultESD_SD_EESD_SD_EENS9_6detail15normal_iteratorINS9_10device_ptrIiEEEESK_iNS9_4plusIvEENS9_8equal_toIvEEiEE10hipError_tPvRmT2_T3_T4_T5_mT6_T7_P12ihipStream_tbENKUlT_T0_E_clISt17integral_constantIbLb0EES15_EEDaS10_S11_EUlS10_E_NS1_11comp_targetILNS1_3genE10ELNS1_11target_archE1200ELNS1_3gpuE4ELNS1_3repE0EEENS1_30default_config_static_selectorELNS0_4arch9wavefront6targetE0EEEvT1_.uses_vcc, 0
	.set _ZN7rocprim17ROCPRIM_400000_NS6detail17trampoline_kernelINS0_14default_configENS1_27scan_by_key_config_selectorIiiEEZZNS1_16scan_by_key_implILNS1_25lookback_scan_determinismE0ELb0ES3_N6thrust23THRUST_200600_302600_NS18transform_iteratorI9which_rowNS9_17counting_iteratorIiNS9_11use_defaultESD_SD_EESD_SD_EENS9_6detail15normal_iteratorINS9_10device_ptrIiEEEESK_iNS9_4plusIvEENS9_8equal_toIvEEiEE10hipError_tPvRmT2_T3_T4_T5_mT6_T7_P12ihipStream_tbENKUlT_T0_E_clISt17integral_constantIbLb0EES15_EEDaS10_S11_EUlS10_E_NS1_11comp_targetILNS1_3genE10ELNS1_11target_archE1200ELNS1_3gpuE4ELNS1_3repE0EEENS1_30default_config_static_selectorELNS0_4arch9wavefront6targetE0EEEvT1_.uses_flat_scratch, 0
	.set _ZN7rocprim17ROCPRIM_400000_NS6detail17trampoline_kernelINS0_14default_configENS1_27scan_by_key_config_selectorIiiEEZZNS1_16scan_by_key_implILNS1_25lookback_scan_determinismE0ELb0ES3_N6thrust23THRUST_200600_302600_NS18transform_iteratorI9which_rowNS9_17counting_iteratorIiNS9_11use_defaultESD_SD_EESD_SD_EENS9_6detail15normal_iteratorINS9_10device_ptrIiEEEESK_iNS9_4plusIvEENS9_8equal_toIvEEiEE10hipError_tPvRmT2_T3_T4_T5_mT6_T7_P12ihipStream_tbENKUlT_T0_E_clISt17integral_constantIbLb0EES15_EEDaS10_S11_EUlS10_E_NS1_11comp_targetILNS1_3genE10ELNS1_11target_archE1200ELNS1_3gpuE4ELNS1_3repE0EEENS1_30default_config_static_selectorELNS0_4arch9wavefront6targetE0EEEvT1_.has_dyn_sized_stack, 0
	.set _ZN7rocprim17ROCPRIM_400000_NS6detail17trampoline_kernelINS0_14default_configENS1_27scan_by_key_config_selectorIiiEEZZNS1_16scan_by_key_implILNS1_25lookback_scan_determinismE0ELb0ES3_N6thrust23THRUST_200600_302600_NS18transform_iteratorI9which_rowNS9_17counting_iteratorIiNS9_11use_defaultESD_SD_EESD_SD_EENS9_6detail15normal_iteratorINS9_10device_ptrIiEEEESK_iNS9_4plusIvEENS9_8equal_toIvEEiEE10hipError_tPvRmT2_T3_T4_T5_mT6_T7_P12ihipStream_tbENKUlT_T0_E_clISt17integral_constantIbLb0EES15_EEDaS10_S11_EUlS10_E_NS1_11comp_targetILNS1_3genE10ELNS1_11target_archE1200ELNS1_3gpuE4ELNS1_3repE0EEENS1_30default_config_static_selectorELNS0_4arch9wavefront6targetE0EEEvT1_.has_recursion, 0
	.set _ZN7rocprim17ROCPRIM_400000_NS6detail17trampoline_kernelINS0_14default_configENS1_27scan_by_key_config_selectorIiiEEZZNS1_16scan_by_key_implILNS1_25lookback_scan_determinismE0ELb0ES3_N6thrust23THRUST_200600_302600_NS18transform_iteratorI9which_rowNS9_17counting_iteratorIiNS9_11use_defaultESD_SD_EESD_SD_EENS9_6detail15normal_iteratorINS9_10device_ptrIiEEEESK_iNS9_4plusIvEENS9_8equal_toIvEEiEE10hipError_tPvRmT2_T3_T4_T5_mT6_T7_P12ihipStream_tbENKUlT_T0_E_clISt17integral_constantIbLb0EES15_EEDaS10_S11_EUlS10_E_NS1_11comp_targetILNS1_3genE10ELNS1_11target_archE1200ELNS1_3gpuE4ELNS1_3repE0EEENS1_30default_config_static_selectorELNS0_4arch9wavefront6targetE0EEEvT1_.has_indirect_call, 0
	.section	.AMDGPU.csdata,"",@progbits
; Kernel info:
; codeLenInByte = 0
; TotalNumSgprs: 0
; NumVgprs: 0
; ScratchSize: 0
; MemoryBound: 0
; FloatMode: 240
; IeeeMode: 1
; LDSByteSize: 0 bytes/workgroup (compile time only)
; SGPRBlocks: 0
; VGPRBlocks: 0
; NumSGPRsForWavesPerEU: 1
; NumVGPRsForWavesPerEU: 1
; NamedBarCnt: 0
; Occupancy: 16
; WaveLimiterHint : 0
; COMPUTE_PGM_RSRC2:SCRATCH_EN: 0
; COMPUTE_PGM_RSRC2:USER_SGPR: 2
; COMPUTE_PGM_RSRC2:TRAP_HANDLER: 0
; COMPUTE_PGM_RSRC2:TGID_X_EN: 1
; COMPUTE_PGM_RSRC2:TGID_Y_EN: 0
; COMPUTE_PGM_RSRC2:TGID_Z_EN: 0
; COMPUTE_PGM_RSRC2:TIDIG_COMP_CNT: 0
	.section	.text._ZN7rocprim17ROCPRIM_400000_NS6detail17trampoline_kernelINS0_14default_configENS1_27scan_by_key_config_selectorIiiEEZZNS1_16scan_by_key_implILNS1_25lookback_scan_determinismE0ELb0ES3_N6thrust23THRUST_200600_302600_NS18transform_iteratorI9which_rowNS9_17counting_iteratorIiNS9_11use_defaultESD_SD_EESD_SD_EENS9_6detail15normal_iteratorINS9_10device_ptrIiEEEESK_iNS9_4plusIvEENS9_8equal_toIvEEiEE10hipError_tPvRmT2_T3_T4_T5_mT6_T7_P12ihipStream_tbENKUlT_T0_E_clISt17integral_constantIbLb0EES15_EEDaS10_S11_EUlS10_E_NS1_11comp_targetILNS1_3genE9ELNS1_11target_archE1100ELNS1_3gpuE3ELNS1_3repE0EEENS1_30default_config_static_selectorELNS0_4arch9wavefront6targetE0EEEvT1_,"axG",@progbits,_ZN7rocprim17ROCPRIM_400000_NS6detail17trampoline_kernelINS0_14default_configENS1_27scan_by_key_config_selectorIiiEEZZNS1_16scan_by_key_implILNS1_25lookback_scan_determinismE0ELb0ES3_N6thrust23THRUST_200600_302600_NS18transform_iteratorI9which_rowNS9_17counting_iteratorIiNS9_11use_defaultESD_SD_EESD_SD_EENS9_6detail15normal_iteratorINS9_10device_ptrIiEEEESK_iNS9_4plusIvEENS9_8equal_toIvEEiEE10hipError_tPvRmT2_T3_T4_T5_mT6_T7_P12ihipStream_tbENKUlT_T0_E_clISt17integral_constantIbLb0EES15_EEDaS10_S11_EUlS10_E_NS1_11comp_targetILNS1_3genE9ELNS1_11target_archE1100ELNS1_3gpuE3ELNS1_3repE0EEENS1_30default_config_static_selectorELNS0_4arch9wavefront6targetE0EEEvT1_,comdat
	.protected	_ZN7rocprim17ROCPRIM_400000_NS6detail17trampoline_kernelINS0_14default_configENS1_27scan_by_key_config_selectorIiiEEZZNS1_16scan_by_key_implILNS1_25lookback_scan_determinismE0ELb0ES3_N6thrust23THRUST_200600_302600_NS18transform_iteratorI9which_rowNS9_17counting_iteratorIiNS9_11use_defaultESD_SD_EESD_SD_EENS9_6detail15normal_iteratorINS9_10device_ptrIiEEEESK_iNS9_4plusIvEENS9_8equal_toIvEEiEE10hipError_tPvRmT2_T3_T4_T5_mT6_T7_P12ihipStream_tbENKUlT_T0_E_clISt17integral_constantIbLb0EES15_EEDaS10_S11_EUlS10_E_NS1_11comp_targetILNS1_3genE9ELNS1_11target_archE1100ELNS1_3gpuE3ELNS1_3repE0EEENS1_30default_config_static_selectorELNS0_4arch9wavefront6targetE0EEEvT1_ ; -- Begin function _ZN7rocprim17ROCPRIM_400000_NS6detail17trampoline_kernelINS0_14default_configENS1_27scan_by_key_config_selectorIiiEEZZNS1_16scan_by_key_implILNS1_25lookback_scan_determinismE0ELb0ES3_N6thrust23THRUST_200600_302600_NS18transform_iteratorI9which_rowNS9_17counting_iteratorIiNS9_11use_defaultESD_SD_EESD_SD_EENS9_6detail15normal_iteratorINS9_10device_ptrIiEEEESK_iNS9_4plusIvEENS9_8equal_toIvEEiEE10hipError_tPvRmT2_T3_T4_T5_mT6_T7_P12ihipStream_tbENKUlT_T0_E_clISt17integral_constantIbLb0EES15_EEDaS10_S11_EUlS10_E_NS1_11comp_targetILNS1_3genE9ELNS1_11target_archE1100ELNS1_3gpuE3ELNS1_3repE0EEENS1_30default_config_static_selectorELNS0_4arch9wavefront6targetE0EEEvT1_
	.globl	_ZN7rocprim17ROCPRIM_400000_NS6detail17trampoline_kernelINS0_14default_configENS1_27scan_by_key_config_selectorIiiEEZZNS1_16scan_by_key_implILNS1_25lookback_scan_determinismE0ELb0ES3_N6thrust23THRUST_200600_302600_NS18transform_iteratorI9which_rowNS9_17counting_iteratorIiNS9_11use_defaultESD_SD_EESD_SD_EENS9_6detail15normal_iteratorINS9_10device_ptrIiEEEESK_iNS9_4plusIvEENS9_8equal_toIvEEiEE10hipError_tPvRmT2_T3_T4_T5_mT6_T7_P12ihipStream_tbENKUlT_T0_E_clISt17integral_constantIbLb0EES15_EEDaS10_S11_EUlS10_E_NS1_11comp_targetILNS1_3genE9ELNS1_11target_archE1100ELNS1_3gpuE3ELNS1_3repE0EEENS1_30default_config_static_selectorELNS0_4arch9wavefront6targetE0EEEvT1_
	.p2align	8
	.type	_ZN7rocprim17ROCPRIM_400000_NS6detail17trampoline_kernelINS0_14default_configENS1_27scan_by_key_config_selectorIiiEEZZNS1_16scan_by_key_implILNS1_25lookback_scan_determinismE0ELb0ES3_N6thrust23THRUST_200600_302600_NS18transform_iteratorI9which_rowNS9_17counting_iteratorIiNS9_11use_defaultESD_SD_EESD_SD_EENS9_6detail15normal_iteratorINS9_10device_ptrIiEEEESK_iNS9_4plusIvEENS9_8equal_toIvEEiEE10hipError_tPvRmT2_T3_T4_T5_mT6_T7_P12ihipStream_tbENKUlT_T0_E_clISt17integral_constantIbLb0EES15_EEDaS10_S11_EUlS10_E_NS1_11comp_targetILNS1_3genE9ELNS1_11target_archE1100ELNS1_3gpuE3ELNS1_3repE0EEENS1_30default_config_static_selectorELNS0_4arch9wavefront6targetE0EEEvT1_,@function
_ZN7rocprim17ROCPRIM_400000_NS6detail17trampoline_kernelINS0_14default_configENS1_27scan_by_key_config_selectorIiiEEZZNS1_16scan_by_key_implILNS1_25lookback_scan_determinismE0ELb0ES3_N6thrust23THRUST_200600_302600_NS18transform_iteratorI9which_rowNS9_17counting_iteratorIiNS9_11use_defaultESD_SD_EESD_SD_EENS9_6detail15normal_iteratorINS9_10device_ptrIiEEEESK_iNS9_4plusIvEENS9_8equal_toIvEEiEE10hipError_tPvRmT2_T3_T4_T5_mT6_T7_P12ihipStream_tbENKUlT_T0_E_clISt17integral_constantIbLb0EES15_EEDaS10_S11_EUlS10_E_NS1_11comp_targetILNS1_3genE9ELNS1_11target_archE1100ELNS1_3gpuE3ELNS1_3repE0EEENS1_30default_config_static_selectorELNS0_4arch9wavefront6targetE0EEEvT1_: ; @_ZN7rocprim17ROCPRIM_400000_NS6detail17trampoline_kernelINS0_14default_configENS1_27scan_by_key_config_selectorIiiEEZZNS1_16scan_by_key_implILNS1_25lookback_scan_determinismE0ELb0ES3_N6thrust23THRUST_200600_302600_NS18transform_iteratorI9which_rowNS9_17counting_iteratorIiNS9_11use_defaultESD_SD_EESD_SD_EENS9_6detail15normal_iteratorINS9_10device_ptrIiEEEESK_iNS9_4plusIvEENS9_8equal_toIvEEiEE10hipError_tPvRmT2_T3_T4_T5_mT6_T7_P12ihipStream_tbENKUlT_T0_E_clISt17integral_constantIbLb0EES15_EEDaS10_S11_EUlS10_E_NS1_11comp_targetILNS1_3genE9ELNS1_11target_archE1100ELNS1_3gpuE3ELNS1_3repE0EEENS1_30default_config_static_selectorELNS0_4arch9wavefront6targetE0EEEvT1_
; %bb.0:
	.section	.rodata,"a",@progbits
	.p2align	6, 0x0
	.amdhsa_kernel _ZN7rocprim17ROCPRIM_400000_NS6detail17trampoline_kernelINS0_14default_configENS1_27scan_by_key_config_selectorIiiEEZZNS1_16scan_by_key_implILNS1_25lookback_scan_determinismE0ELb0ES3_N6thrust23THRUST_200600_302600_NS18transform_iteratorI9which_rowNS9_17counting_iteratorIiNS9_11use_defaultESD_SD_EESD_SD_EENS9_6detail15normal_iteratorINS9_10device_ptrIiEEEESK_iNS9_4plusIvEENS9_8equal_toIvEEiEE10hipError_tPvRmT2_T3_T4_T5_mT6_T7_P12ihipStream_tbENKUlT_T0_E_clISt17integral_constantIbLb0EES15_EEDaS10_S11_EUlS10_E_NS1_11comp_targetILNS1_3genE9ELNS1_11target_archE1100ELNS1_3gpuE3ELNS1_3repE0EEENS1_30default_config_static_selectorELNS0_4arch9wavefront6targetE0EEEvT1_
		.amdhsa_group_segment_fixed_size 0
		.amdhsa_private_segment_fixed_size 0
		.amdhsa_kernarg_size 112
		.amdhsa_user_sgpr_count 2
		.amdhsa_user_sgpr_dispatch_ptr 0
		.amdhsa_user_sgpr_queue_ptr 0
		.amdhsa_user_sgpr_kernarg_segment_ptr 1
		.amdhsa_user_sgpr_dispatch_id 0
		.amdhsa_user_sgpr_kernarg_preload_length 0
		.amdhsa_user_sgpr_kernarg_preload_offset 0
		.amdhsa_user_sgpr_private_segment_size 0
		.amdhsa_wavefront_size32 1
		.amdhsa_uses_dynamic_stack 0
		.amdhsa_enable_private_segment 0
		.amdhsa_system_sgpr_workgroup_id_x 1
		.amdhsa_system_sgpr_workgroup_id_y 0
		.amdhsa_system_sgpr_workgroup_id_z 0
		.amdhsa_system_sgpr_workgroup_info 0
		.amdhsa_system_vgpr_workitem_id 0
		.amdhsa_next_free_vgpr 1
		.amdhsa_next_free_sgpr 1
		.amdhsa_named_barrier_count 0
		.amdhsa_reserve_vcc 0
		.amdhsa_float_round_mode_32 0
		.amdhsa_float_round_mode_16_64 0
		.amdhsa_float_denorm_mode_32 3
		.amdhsa_float_denorm_mode_16_64 3
		.amdhsa_fp16_overflow 0
		.amdhsa_memory_ordered 1
		.amdhsa_forward_progress 1
		.amdhsa_inst_pref_size 0
		.amdhsa_round_robin_scheduling 0
		.amdhsa_exception_fp_ieee_invalid_op 0
		.amdhsa_exception_fp_denorm_src 0
		.amdhsa_exception_fp_ieee_div_zero 0
		.amdhsa_exception_fp_ieee_overflow 0
		.amdhsa_exception_fp_ieee_underflow 0
		.amdhsa_exception_fp_ieee_inexact 0
		.amdhsa_exception_int_div_zero 0
	.end_amdhsa_kernel
	.section	.text._ZN7rocprim17ROCPRIM_400000_NS6detail17trampoline_kernelINS0_14default_configENS1_27scan_by_key_config_selectorIiiEEZZNS1_16scan_by_key_implILNS1_25lookback_scan_determinismE0ELb0ES3_N6thrust23THRUST_200600_302600_NS18transform_iteratorI9which_rowNS9_17counting_iteratorIiNS9_11use_defaultESD_SD_EESD_SD_EENS9_6detail15normal_iteratorINS9_10device_ptrIiEEEESK_iNS9_4plusIvEENS9_8equal_toIvEEiEE10hipError_tPvRmT2_T3_T4_T5_mT6_T7_P12ihipStream_tbENKUlT_T0_E_clISt17integral_constantIbLb0EES15_EEDaS10_S11_EUlS10_E_NS1_11comp_targetILNS1_3genE9ELNS1_11target_archE1100ELNS1_3gpuE3ELNS1_3repE0EEENS1_30default_config_static_selectorELNS0_4arch9wavefront6targetE0EEEvT1_,"axG",@progbits,_ZN7rocprim17ROCPRIM_400000_NS6detail17trampoline_kernelINS0_14default_configENS1_27scan_by_key_config_selectorIiiEEZZNS1_16scan_by_key_implILNS1_25lookback_scan_determinismE0ELb0ES3_N6thrust23THRUST_200600_302600_NS18transform_iteratorI9which_rowNS9_17counting_iteratorIiNS9_11use_defaultESD_SD_EESD_SD_EENS9_6detail15normal_iteratorINS9_10device_ptrIiEEEESK_iNS9_4plusIvEENS9_8equal_toIvEEiEE10hipError_tPvRmT2_T3_T4_T5_mT6_T7_P12ihipStream_tbENKUlT_T0_E_clISt17integral_constantIbLb0EES15_EEDaS10_S11_EUlS10_E_NS1_11comp_targetILNS1_3genE9ELNS1_11target_archE1100ELNS1_3gpuE3ELNS1_3repE0EEENS1_30default_config_static_selectorELNS0_4arch9wavefront6targetE0EEEvT1_,comdat
.Lfunc_end93:
	.size	_ZN7rocprim17ROCPRIM_400000_NS6detail17trampoline_kernelINS0_14default_configENS1_27scan_by_key_config_selectorIiiEEZZNS1_16scan_by_key_implILNS1_25lookback_scan_determinismE0ELb0ES3_N6thrust23THRUST_200600_302600_NS18transform_iteratorI9which_rowNS9_17counting_iteratorIiNS9_11use_defaultESD_SD_EESD_SD_EENS9_6detail15normal_iteratorINS9_10device_ptrIiEEEESK_iNS9_4plusIvEENS9_8equal_toIvEEiEE10hipError_tPvRmT2_T3_T4_T5_mT6_T7_P12ihipStream_tbENKUlT_T0_E_clISt17integral_constantIbLb0EES15_EEDaS10_S11_EUlS10_E_NS1_11comp_targetILNS1_3genE9ELNS1_11target_archE1100ELNS1_3gpuE3ELNS1_3repE0EEENS1_30default_config_static_selectorELNS0_4arch9wavefront6targetE0EEEvT1_, .Lfunc_end93-_ZN7rocprim17ROCPRIM_400000_NS6detail17trampoline_kernelINS0_14default_configENS1_27scan_by_key_config_selectorIiiEEZZNS1_16scan_by_key_implILNS1_25lookback_scan_determinismE0ELb0ES3_N6thrust23THRUST_200600_302600_NS18transform_iteratorI9which_rowNS9_17counting_iteratorIiNS9_11use_defaultESD_SD_EESD_SD_EENS9_6detail15normal_iteratorINS9_10device_ptrIiEEEESK_iNS9_4plusIvEENS9_8equal_toIvEEiEE10hipError_tPvRmT2_T3_T4_T5_mT6_T7_P12ihipStream_tbENKUlT_T0_E_clISt17integral_constantIbLb0EES15_EEDaS10_S11_EUlS10_E_NS1_11comp_targetILNS1_3genE9ELNS1_11target_archE1100ELNS1_3gpuE3ELNS1_3repE0EEENS1_30default_config_static_selectorELNS0_4arch9wavefront6targetE0EEEvT1_
                                        ; -- End function
	.set _ZN7rocprim17ROCPRIM_400000_NS6detail17trampoline_kernelINS0_14default_configENS1_27scan_by_key_config_selectorIiiEEZZNS1_16scan_by_key_implILNS1_25lookback_scan_determinismE0ELb0ES3_N6thrust23THRUST_200600_302600_NS18transform_iteratorI9which_rowNS9_17counting_iteratorIiNS9_11use_defaultESD_SD_EESD_SD_EENS9_6detail15normal_iteratorINS9_10device_ptrIiEEEESK_iNS9_4plusIvEENS9_8equal_toIvEEiEE10hipError_tPvRmT2_T3_T4_T5_mT6_T7_P12ihipStream_tbENKUlT_T0_E_clISt17integral_constantIbLb0EES15_EEDaS10_S11_EUlS10_E_NS1_11comp_targetILNS1_3genE9ELNS1_11target_archE1100ELNS1_3gpuE3ELNS1_3repE0EEENS1_30default_config_static_selectorELNS0_4arch9wavefront6targetE0EEEvT1_.num_vgpr, 0
	.set _ZN7rocprim17ROCPRIM_400000_NS6detail17trampoline_kernelINS0_14default_configENS1_27scan_by_key_config_selectorIiiEEZZNS1_16scan_by_key_implILNS1_25lookback_scan_determinismE0ELb0ES3_N6thrust23THRUST_200600_302600_NS18transform_iteratorI9which_rowNS9_17counting_iteratorIiNS9_11use_defaultESD_SD_EESD_SD_EENS9_6detail15normal_iteratorINS9_10device_ptrIiEEEESK_iNS9_4plusIvEENS9_8equal_toIvEEiEE10hipError_tPvRmT2_T3_T4_T5_mT6_T7_P12ihipStream_tbENKUlT_T0_E_clISt17integral_constantIbLb0EES15_EEDaS10_S11_EUlS10_E_NS1_11comp_targetILNS1_3genE9ELNS1_11target_archE1100ELNS1_3gpuE3ELNS1_3repE0EEENS1_30default_config_static_selectorELNS0_4arch9wavefront6targetE0EEEvT1_.num_agpr, 0
	.set _ZN7rocprim17ROCPRIM_400000_NS6detail17trampoline_kernelINS0_14default_configENS1_27scan_by_key_config_selectorIiiEEZZNS1_16scan_by_key_implILNS1_25lookback_scan_determinismE0ELb0ES3_N6thrust23THRUST_200600_302600_NS18transform_iteratorI9which_rowNS9_17counting_iteratorIiNS9_11use_defaultESD_SD_EESD_SD_EENS9_6detail15normal_iteratorINS9_10device_ptrIiEEEESK_iNS9_4plusIvEENS9_8equal_toIvEEiEE10hipError_tPvRmT2_T3_T4_T5_mT6_T7_P12ihipStream_tbENKUlT_T0_E_clISt17integral_constantIbLb0EES15_EEDaS10_S11_EUlS10_E_NS1_11comp_targetILNS1_3genE9ELNS1_11target_archE1100ELNS1_3gpuE3ELNS1_3repE0EEENS1_30default_config_static_selectorELNS0_4arch9wavefront6targetE0EEEvT1_.numbered_sgpr, 0
	.set _ZN7rocprim17ROCPRIM_400000_NS6detail17trampoline_kernelINS0_14default_configENS1_27scan_by_key_config_selectorIiiEEZZNS1_16scan_by_key_implILNS1_25lookback_scan_determinismE0ELb0ES3_N6thrust23THRUST_200600_302600_NS18transform_iteratorI9which_rowNS9_17counting_iteratorIiNS9_11use_defaultESD_SD_EESD_SD_EENS9_6detail15normal_iteratorINS9_10device_ptrIiEEEESK_iNS9_4plusIvEENS9_8equal_toIvEEiEE10hipError_tPvRmT2_T3_T4_T5_mT6_T7_P12ihipStream_tbENKUlT_T0_E_clISt17integral_constantIbLb0EES15_EEDaS10_S11_EUlS10_E_NS1_11comp_targetILNS1_3genE9ELNS1_11target_archE1100ELNS1_3gpuE3ELNS1_3repE0EEENS1_30default_config_static_selectorELNS0_4arch9wavefront6targetE0EEEvT1_.num_named_barrier, 0
	.set _ZN7rocprim17ROCPRIM_400000_NS6detail17trampoline_kernelINS0_14default_configENS1_27scan_by_key_config_selectorIiiEEZZNS1_16scan_by_key_implILNS1_25lookback_scan_determinismE0ELb0ES3_N6thrust23THRUST_200600_302600_NS18transform_iteratorI9which_rowNS9_17counting_iteratorIiNS9_11use_defaultESD_SD_EESD_SD_EENS9_6detail15normal_iteratorINS9_10device_ptrIiEEEESK_iNS9_4plusIvEENS9_8equal_toIvEEiEE10hipError_tPvRmT2_T3_T4_T5_mT6_T7_P12ihipStream_tbENKUlT_T0_E_clISt17integral_constantIbLb0EES15_EEDaS10_S11_EUlS10_E_NS1_11comp_targetILNS1_3genE9ELNS1_11target_archE1100ELNS1_3gpuE3ELNS1_3repE0EEENS1_30default_config_static_selectorELNS0_4arch9wavefront6targetE0EEEvT1_.private_seg_size, 0
	.set _ZN7rocprim17ROCPRIM_400000_NS6detail17trampoline_kernelINS0_14default_configENS1_27scan_by_key_config_selectorIiiEEZZNS1_16scan_by_key_implILNS1_25lookback_scan_determinismE0ELb0ES3_N6thrust23THRUST_200600_302600_NS18transform_iteratorI9which_rowNS9_17counting_iteratorIiNS9_11use_defaultESD_SD_EESD_SD_EENS9_6detail15normal_iteratorINS9_10device_ptrIiEEEESK_iNS9_4plusIvEENS9_8equal_toIvEEiEE10hipError_tPvRmT2_T3_T4_T5_mT6_T7_P12ihipStream_tbENKUlT_T0_E_clISt17integral_constantIbLb0EES15_EEDaS10_S11_EUlS10_E_NS1_11comp_targetILNS1_3genE9ELNS1_11target_archE1100ELNS1_3gpuE3ELNS1_3repE0EEENS1_30default_config_static_selectorELNS0_4arch9wavefront6targetE0EEEvT1_.uses_vcc, 0
	.set _ZN7rocprim17ROCPRIM_400000_NS6detail17trampoline_kernelINS0_14default_configENS1_27scan_by_key_config_selectorIiiEEZZNS1_16scan_by_key_implILNS1_25lookback_scan_determinismE0ELb0ES3_N6thrust23THRUST_200600_302600_NS18transform_iteratorI9which_rowNS9_17counting_iteratorIiNS9_11use_defaultESD_SD_EESD_SD_EENS9_6detail15normal_iteratorINS9_10device_ptrIiEEEESK_iNS9_4plusIvEENS9_8equal_toIvEEiEE10hipError_tPvRmT2_T3_T4_T5_mT6_T7_P12ihipStream_tbENKUlT_T0_E_clISt17integral_constantIbLb0EES15_EEDaS10_S11_EUlS10_E_NS1_11comp_targetILNS1_3genE9ELNS1_11target_archE1100ELNS1_3gpuE3ELNS1_3repE0EEENS1_30default_config_static_selectorELNS0_4arch9wavefront6targetE0EEEvT1_.uses_flat_scratch, 0
	.set _ZN7rocprim17ROCPRIM_400000_NS6detail17trampoline_kernelINS0_14default_configENS1_27scan_by_key_config_selectorIiiEEZZNS1_16scan_by_key_implILNS1_25lookback_scan_determinismE0ELb0ES3_N6thrust23THRUST_200600_302600_NS18transform_iteratorI9which_rowNS9_17counting_iteratorIiNS9_11use_defaultESD_SD_EESD_SD_EENS9_6detail15normal_iteratorINS9_10device_ptrIiEEEESK_iNS9_4plusIvEENS9_8equal_toIvEEiEE10hipError_tPvRmT2_T3_T4_T5_mT6_T7_P12ihipStream_tbENKUlT_T0_E_clISt17integral_constantIbLb0EES15_EEDaS10_S11_EUlS10_E_NS1_11comp_targetILNS1_3genE9ELNS1_11target_archE1100ELNS1_3gpuE3ELNS1_3repE0EEENS1_30default_config_static_selectorELNS0_4arch9wavefront6targetE0EEEvT1_.has_dyn_sized_stack, 0
	.set _ZN7rocprim17ROCPRIM_400000_NS6detail17trampoline_kernelINS0_14default_configENS1_27scan_by_key_config_selectorIiiEEZZNS1_16scan_by_key_implILNS1_25lookback_scan_determinismE0ELb0ES3_N6thrust23THRUST_200600_302600_NS18transform_iteratorI9which_rowNS9_17counting_iteratorIiNS9_11use_defaultESD_SD_EESD_SD_EENS9_6detail15normal_iteratorINS9_10device_ptrIiEEEESK_iNS9_4plusIvEENS9_8equal_toIvEEiEE10hipError_tPvRmT2_T3_T4_T5_mT6_T7_P12ihipStream_tbENKUlT_T0_E_clISt17integral_constantIbLb0EES15_EEDaS10_S11_EUlS10_E_NS1_11comp_targetILNS1_3genE9ELNS1_11target_archE1100ELNS1_3gpuE3ELNS1_3repE0EEENS1_30default_config_static_selectorELNS0_4arch9wavefront6targetE0EEEvT1_.has_recursion, 0
	.set _ZN7rocprim17ROCPRIM_400000_NS6detail17trampoline_kernelINS0_14default_configENS1_27scan_by_key_config_selectorIiiEEZZNS1_16scan_by_key_implILNS1_25lookback_scan_determinismE0ELb0ES3_N6thrust23THRUST_200600_302600_NS18transform_iteratorI9which_rowNS9_17counting_iteratorIiNS9_11use_defaultESD_SD_EESD_SD_EENS9_6detail15normal_iteratorINS9_10device_ptrIiEEEESK_iNS9_4plusIvEENS9_8equal_toIvEEiEE10hipError_tPvRmT2_T3_T4_T5_mT6_T7_P12ihipStream_tbENKUlT_T0_E_clISt17integral_constantIbLb0EES15_EEDaS10_S11_EUlS10_E_NS1_11comp_targetILNS1_3genE9ELNS1_11target_archE1100ELNS1_3gpuE3ELNS1_3repE0EEENS1_30default_config_static_selectorELNS0_4arch9wavefront6targetE0EEEvT1_.has_indirect_call, 0
	.section	.AMDGPU.csdata,"",@progbits
; Kernel info:
; codeLenInByte = 0
; TotalNumSgprs: 0
; NumVgprs: 0
; ScratchSize: 0
; MemoryBound: 0
; FloatMode: 240
; IeeeMode: 1
; LDSByteSize: 0 bytes/workgroup (compile time only)
; SGPRBlocks: 0
; VGPRBlocks: 0
; NumSGPRsForWavesPerEU: 1
; NumVGPRsForWavesPerEU: 1
; NamedBarCnt: 0
; Occupancy: 16
; WaveLimiterHint : 0
; COMPUTE_PGM_RSRC2:SCRATCH_EN: 0
; COMPUTE_PGM_RSRC2:USER_SGPR: 2
; COMPUTE_PGM_RSRC2:TRAP_HANDLER: 0
; COMPUTE_PGM_RSRC2:TGID_X_EN: 1
; COMPUTE_PGM_RSRC2:TGID_Y_EN: 0
; COMPUTE_PGM_RSRC2:TGID_Z_EN: 0
; COMPUTE_PGM_RSRC2:TIDIG_COMP_CNT: 0
	.section	.text._ZN7rocprim17ROCPRIM_400000_NS6detail17trampoline_kernelINS0_14default_configENS1_27scan_by_key_config_selectorIiiEEZZNS1_16scan_by_key_implILNS1_25lookback_scan_determinismE0ELb0ES3_N6thrust23THRUST_200600_302600_NS18transform_iteratorI9which_rowNS9_17counting_iteratorIiNS9_11use_defaultESD_SD_EESD_SD_EENS9_6detail15normal_iteratorINS9_10device_ptrIiEEEESK_iNS9_4plusIvEENS9_8equal_toIvEEiEE10hipError_tPvRmT2_T3_T4_T5_mT6_T7_P12ihipStream_tbENKUlT_T0_E_clISt17integral_constantIbLb0EES15_EEDaS10_S11_EUlS10_E_NS1_11comp_targetILNS1_3genE8ELNS1_11target_archE1030ELNS1_3gpuE2ELNS1_3repE0EEENS1_30default_config_static_selectorELNS0_4arch9wavefront6targetE0EEEvT1_,"axG",@progbits,_ZN7rocprim17ROCPRIM_400000_NS6detail17trampoline_kernelINS0_14default_configENS1_27scan_by_key_config_selectorIiiEEZZNS1_16scan_by_key_implILNS1_25lookback_scan_determinismE0ELb0ES3_N6thrust23THRUST_200600_302600_NS18transform_iteratorI9which_rowNS9_17counting_iteratorIiNS9_11use_defaultESD_SD_EESD_SD_EENS9_6detail15normal_iteratorINS9_10device_ptrIiEEEESK_iNS9_4plusIvEENS9_8equal_toIvEEiEE10hipError_tPvRmT2_T3_T4_T5_mT6_T7_P12ihipStream_tbENKUlT_T0_E_clISt17integral_constantIbLb0EES15_EEDaS10_S11_EUlS10_E_NS1_11comp_targetILNS1_3genE8ELNS1_11target_archE1030ELNS1_3gpuE2ELNS1_3repE0EEENS1_30default_config_static_selectorELNS0_4arch9wavefront6targetE0EEEvT1_,comdat
	.protected	_ZN7rocprim17ROCPRIM_400000_NS6detail17trampoline_kernelINS0_14default_configENS1_27scan_by_key_config_selectorIiiEEZZNS1_16scan_by_key_implILNS1_25lookback_scan_determinismE0ELb0ES3_N6thrust23THRUST_200600_302600_NS18transform_iteratorI9which_rowNS9_17counting_iteratorIiNS9_11use_defaultESD_SD_EESD_SD_EENS9_6detail15normal_iteratorINS9_10device_ptrIiEEEESK_iNS9_4plusIvEENS9_8equal_toIvEEiEE10hipError_tPvRmT2_T3_T4_T5_mT6_T7_P12ihipStream_tbENKUlT_T0_E_clISt17integral_constantIbLb0EES15_EEDaS10_S11_EUlS10_E_NS1_11comp_targetILNS1_3genE8ELNS1_11target_archE1030ELNS1_3gpuE2ELNS1_3repE0EEENS1_30default_config_static_selectorELNS0_4arch9wavefront6targetE0EEEvT1_ ; -- Begin function _ZN7rocprim17ROCPRIM_400000_NS6detail17trampoline_kernelINS0_14default_configENS1_27scan_by_key_config_selectorIiiEEZZNS1_16scan_by_key_implILNS1_25lookback_scan_determinismE0ELb0ES3_N6thrust23THRUST_200600_302600_NS18transform_iteratorI9which_rowNS9_17counting_iteratorIiNS9_11use_defaultESD_SD_EESD_SD_EENS9_6detail15normal_iteratorINS9_10device_ptrIiEEEESK_iNS9_4plusIvEENS9_8equal_toIvEEiEE10hipError_tPvRmT2_T3_T4_T5_mT6_T7_P12ihipStream_tbENKUlT_T0_E_clISt17integral_constantIbLb0EES15_EEDaS10_S11_EUlS10_E_NS1_11comp_targetILNS1_3genE8ELNS1_11target_archE1030ELNS1_3gpuE2ELNS1_3repE0EEENS1_30default_config_static_selectorELNS0_4arch9wavefront6targetE0EEEvT1_
	.globl	_ZN7rocprim17ROCPRIM_400000_NS6detail17trampoline_kernelINS0_14default_configENS1_27scan_by_key_config_selectorIiiEEZZNS1_16scan_by_key_implILNS1_25lookback_scan_determinismE0ELb0ES3_N6thrust23THRUST_200600_302600_NS18transform_iteratorI9which_rowNS9_17counting_iteratorIiNS9_11use_defaultESD_SD_EESD_SD_EENS9_6detail15normal_iteratorINS9_10device_ptrIiEEEESK_iNS9_4plusIvEENS9_8equal_toIvEEiEE10hipError_tPvRmT2_T3_T4_T5_mT6_T7_P12ihipStream_tbENKUlT_T0_E_clISt17integral_constantIbLb0EES15_EEDaS10_S11_EUlS10_E_NS1_11comp_targetILNS1_3genE8ELNS1_11target_archE1030ELNS1_3gpuE2ELNS1_3repE0EEENS1_30default_config_static_selectorELNS0_4arch9wavefront6targetE0EEEvT1_
	.p2align	8
	.type	_ZN7rocprim17ROCPRIM_400000_NS6detail17trampoline_kernelINS0_14default_configENS1_27scan_by_key_config_selectorIiiEEZZNS1_16scan_by_key_implILNS1_25lookback_scan_determinismE0ELb0ES3_N6thrust23THRUST_200600_302600_NS18transform_iteratorI9which_rowNS9_17counting_iteratorIiNS9_11use_defaultESD_SD_EESD_SD_EENS9_6detail15normal_iteratorINS9_10device_ptrIiEEEESK_iNS9_4plusIvEENS9_8equal_toIvEEiEE10hipError_tPvRmT2_T3_T4_T5_mT6_T7_P12ihipStream_tbENKUlT_T0_E_clISt17integral_constantIbLb0EES15_EEDaS10_S11_EUlS10_E_NS1_11comp_targetILNS1_3genE8ELNS1_11target_archE1030ELNS1_3gpuE2ELNS1_3repE0EEENS1_30default_config_static_selectorELNS0_4arch9wavefront6targetE0EEEvT1_,@function
_ZN7rocprim17ROCPRIM_400000_NS6detail17trampoline_kernelINS0_14default_configENS1_27scan_by_key_config_selectorIiiEEZZNS1_16scan_by_key_implILNS1_25lookback_scan_determinismE0ELb0ES3_N6thrust23THRUST_200600_302600_NS18transform_iteratorI9which_rowNS9_17counting_iteratorIiNS9_11use_defaultESD_SD_EESD_SD_EENS9_6detail15normal_iteratorINS9_10device_ptrIiEEEESK_iNS9_4plusIvEENS9_8equal_toIvEEiEE10hipError_tPvRmT2_T3_T4_T5_mT6_T7_P12ihipStream_tbENKUlT_T0_E_clISt17integral_constantIbLb0EES15_EEDaS10_S11_EUlS10_E_NS1_11comp_targetILNS1_3genE8ELNS1_11target_archE1030ELNS1_3gpuE2ELNS1_3repE0EEENS1_30default_config_static_selectorELNS0_4arch9wavefront6targetE0EEEvT1_: ; @_ZN7rocprim17ROCPRIM_400000_NS6detail17trampoline_kernelINS0_14default_configENS1_27scan_by_key_config_selectorIiiEEZZNS1_16scan_by_key_implILNS1_25lookback_scan_determinismE0ELb0ES3_N6thrust23THRUST_200600_302600_NS18transform_iteratorI9which_rowNS9_17counting_iteratorIiNS9_11use_defaultESD_SD_EESD_SD_EENS9_6detail15normal_iteratorINS9_10device_ptrIiEEEESK_iNS9_4plusIvEENS9_8equal_toIvEEiEE10hipError_tPvRmT2_T3_T4_T5_mT6_T7_P12ihipStream_tbENKUlT_T0_E_clISt17integral_constantIbLb0EES15_EEDaS10_S11_EUlS10_E_NS1_11comp_targetILNS1_3genE8ELNS1_11target_archE1030ELNS1_3gpuE2ELNS1_3repE0EEENS1_30default_config_static_selectorELNS0_4arch9wavefront6targetE0EEEvT1_
; %bb.0:
	.section	.rodata,"a",@progbits
	.p2align	6, 0x0
	.amdhsa_kernel _ZN7rocprim17ROCPRIM_400000_NS6detail17trampoline_kernelINS0_14default_configENS1_27scan_by_key_config_selectorIiiEEZZNS1_16scan_by_key_implILNS1_25lookback_scan_determinismE0ELb0ES3_N6thrust23THRUST_200600_302600_NS18transform_iteratorI9which_rowNS9_17counting_iteratorIiNS9_11use_defaultESD_SD_EESD_SD_EENS9_6detail15normal_iteratorINS9_10device_ptrIiEEEESK_iNS9_4plusIvEENS9_8equal_toIvEEiEE10hipError_tPvRmT2_T3_T4_T5_mT6_T7_P12ihipStream_tbENKUlT_T0_E_clISt17integral_constantIbLb0EES15_EEDaS10_S11_EUlS10_E_NS1_11comp_targetILNS1_3genE8ELNS1_11target_archE1030ELNS1_3gpuE2ELNS1_3repE0EEENS1_30default_config_static_selectorELNS0_4arch9wavefront6targetE0EEEvT1_
		.amdhsa_group_segment_fixed_size 0
		.amdhsa_private_segment_fixed_size 0
		.amdhsa_kernarg_size 112
		.amdhsa_user_sgpr_count 2
		.amdhsa_user_sgpr_dispatch_ptr 0
		.amdhsa_user_sgpr_queue_ptr 0
		.amdhsa_user_sgpr_kernarg_segment_ptr 1
		.amdhsa_user_sgpr_dispatch_id 0
		.amdhsa_user_sgpr_kernarg_preload_length 0
		.amdhsa_user_sgpr_kernarg_preload_offset 0
		.amdhsa_user_sgpr_private_segment_size 0
		.amdhsa_wavefront_size32 1
		.amdhsa_uses_dynamic_stack 0
		.amdhsa_enable_private_segment 0
		.amdhsa_system_sgpr_workgroup_id_x 1
		.amdhsa_system_sgpr_workgroup_id_y 0
		.amdhsa_system_sgpr_workgroup_id_z 0
		.amdhsa_system_sgpr_workgroup_info 0
		.amdhsa_system_vgpr_workitem_id 0
		.amdhsa_next_free_vgpr 1
		.amdhsa_next_free_sgpr 1
		.amdhsa_named_barrier_count 0
		.amdhsa_reserve_vcc 0
		.amdhsa_float_round_mode_32 0
		.amdhsa_float_round_mode_16_64 0
		.amdhsa_float_denorm_mode_32 3
		.amdhsa_float_denorm_mode_16_64 3
		.amdhsa_fp16_overflow 0
		.amdhsa_memory_ordered 1
		.amdhsa_forward_progress 1
		.amdhsa_inst_pref_size 0
		.amdhsa_round_robin_scheduling 0
		.amdhsa_exception_fp_ieee_invalid_op 0
		.amdhsa_exception_fp_denorm_src 0
		.amdhsa_exception_fp_ieee_div_zero 0
		.amdhsa_exception_fp_ieee_overflow 0
		.amdhsa_exception_fp_ieee_underflow 0
		.amdhsa_exception_fp_ieee_inexact 0
		.amdhsa_exception_int_div_zero 0
	.end_amdhsa_kernel
	.section	.text._ZN7rocprim17ROCPRIM_400000_NS6detail17trampoline_kernelINS0_14default_configENS1_27scan_by_key_config_selectorIiiEEZZNS1_16scan_by_key_implILNS1_25lookback_scan_determinismE0ELb0ES3_N6thrust23THRUST_200600_302600_NS18transform_iteratorI9which_rowNS9_17counting_iteratorIiNS9_11use_defaultESD_SD_EESD_SD_EENS9_6detail15normal_iteratorINS9_10device_ptrIiEEEESK_iNS9_4plusIvEENS9_8equal_toIvEEiEE10hipError_tPvRmT2_T3_T4_T5_mT6_T7_P12ihipStream_tbENKUlT_T0_E_clISt17integral_constantIbLb0EES15_EEDaS10_S11_EUlS10_E_NS1_11comp_targetILNS1_3genE8ELNS1_11target_archE1030ELNS1_3gpuE2ELNS1_3repE0EEENS1_30default_config_static_selectorELNS0_4arch9wavefront6targetE0EEEvT1_,"axG",@progbits,_ZN7rocprim17ROCPRIM_400000_NS6detail17trampoline_kernelINS0_14default_configENS1_27scan_by_key_config_selectorIiiEEZZNS1_16scan_by_key_implILNS1_25lookback_scan_determinismE0ELb0ES3_N6thrust23THRUST_200600_302600_NS18transform_iteratorI9which_rowNS9_17counting_iteratorIiNS9_11use_defaultESD_SD_EESD_SD_EENS9_6detail15normal_iteratorINS9_10device_ptrIiEEEESK_iNS9_4plusIvEENS9_8equal_toIvEEiEE10hipError_tPvRmT2_T3_T4_T5_mT6_T7_P12ihipStream_tbENKUlT_T0_E_clISt17integral_constantIbLb0EES15_EEDaS10_S11_EUlS10_E_NS1_11comp_targetILNS1_3genE8ELNS1_11target_archE1030ELNS1_3gpuE2ELNS1_3repE0EEENS1_30default_config_static_selectorELNS0_4arch9wavefront6targetE0EEEvT1_,comdat
.Lfunc_end94:
	.size	_ZN7rocprim17ROCPRIM_400000_NS6detail17trampoline_kernelINS0_14default_configENS1_27scan_by_key_config_selectorIiiEEZZNS1_16scan_by_key_implILNS1_25lookback_scan_determinismE0ELb0ES3_N6thrust23THRUST_200600_302600_NS18transform_iteratorI9which_rowNS9_17counting_iteratorIiNS9_11use_defaultESD_SD_EESD_SD_EENS9_6detail15normal_iteratorINS9_10device_ptrIiEEEESK_iNS9_4plusIvEENS9_8equal_toIvEEiEE10hipError_tPvRmT2_T3_T4_T5_mT6_T7_P12ihipStream_tbENKUlT_T0_E_clISt17integral_constantIbLb0EES15_EEDaS10_S11_EUlS10_E_NS1_11comp_targetILNS1_3genE8ELNS1_11target_archE1030ELNS1_3gpuE2ELNS1_3repE0EEENS1_30default_config_static_selectorELNS0_4arch9wavefront6targetE0EEEvT1_, .Lfunc_end94-_ZN7rocprim17ROCPRIM_400000_NS6detail17trampoline_kernelINS0_14default_configENS1_27scan_by_key_config_selectorIiiEEZZNS1_16scan_by_key_implILNS1_25lookback_scan_determinismE0ELb0ES3_N6thrust23THRUST_200600_302600_NS18transform_iteratorI9which_rowNS9_17counting_iteratorIiNS9_11use_defaultESD_SD_EESD_SD_EENS9_6detail15normal_iteratorINS9_10device_ptrIiEEEESK_iNS9_4plusIvEENS9_8equal_toIvEEiEE10hipError_tPvRmT2_T3_T4_T5_mT6_T7_P12ihipStream_tbENKUlT_T0_E_clISt17integral_constantIbLb0EES15_EEDaS10_S11_EUlS10_E_NS1_11comp_targetILNS1_3genE8ELNS1_11target_archE1030ELNS1_3gpuE2ELNS1_3repE0EEENS1_30default_config_static_selectorELNS0_4arch9wavefront6targetE0EEEvT1_
                                        ; -- End function
	.set _ZN7rocprim17ROCPRIM_400000_NS6detail17trampoline_kernelINS0_14default_configENS1_27scan_by_key_config_selectorIiiEEZZNS1_16scan_by_key_implILNS1_25lookback_scan_determinismE0ELb0ES3_N6thrust23THRUST_200600_302600_NS18transform_iteratorI9which_rowNS9_17counting_iteratorIiNS9_11use_defaultESD_SD_EESD_SD_EENS9_6detail15normal_iteratorINS9_10device_ptrIiEEEESK_iNS9_4plusIvEENS9_8equal_toIvEEiEE10hipError_tPvRmT2_T3_T4_T5_mT6_T7_P12ihipStream_tbENKUlT_T0_E_clISt17integral_constantIbLb0EES15_EEDaS10_S11_EUlS10_E_NS1_11comp_targetILNS1_3genE8ELNS1_11target_archE1030ELNS1_3gpuE2ELNS1_3repE0EEENS1_30default_config_static_selectorELNS0_4arch9wavefront6targetE0EEEvT1_.num_vgpr, 0
	.set _ZN7rocprim17ROCPRIM_400000_NS6detail17trampoline_kernelINS0_14default_configENS1_27scan_by_key_config_selectorIiiEEZZNS1_16scan_by_key_implILNS1_25lookback_scan_determinismE0ELb0ES3_N6thrust23THRUST_200600_302600_NS18transform_iteratorI9which_rowNS9_17counting_iteratorIiNS9_11use_defaultESD_SD_EESD_SD_EENS9_6detail15normal_iteratorINS9_10device_ptrIiEEEESK_iNS9_4plusIvEENS9_8equal_toIvEEiEE10hipError_tPvRmT2_T3_T4_T5_mT6_T7_P12ihipStream_tbENKUlT_T0_E_clISt17integral_constantIbLb0EES15_EEDaS10_S11_EUlS10_E_NS1_11comp_targetILNS1_3genE8ELNS1_11target_archE1030ELNS1_3gpuE2ELNS1_3repE0EEENS1_30default_config_static_selectorELNS0_4arch9wavefront6targetE0EEEvT1_.num_agpr, 0
	.set _ZN7rocprim17ROCPRIM_400000_NS6detail17trampoline_kernelINS0_14default_configENS1_27scan_by_key_config_selectorIiiEEZZNS1_16scan_by_key_implILNS1_25lookback_scan_determinismE0ELb0ES3_N6thrust23THRUST_200600_302600_NS18transform_iteratorI9which_rowNS9_17counting_iteratorIiNS9_11use_defaultESD_SD_EESD_SD_EENS9_6detail15normal_iteratorINS9_10device_ptrIiEEEESK_iNS9_4plusIvEENS9_8equal_toIvEEiEE10hipError_tPvRmT2_T3_T4_T5_mT6_T7_P12ihipStream_tbENKUlT_T0_E_clISt17integral_constantIbLb0EES15_EEDaS10_S11_EUlS10_E_NS1_11comp_targetILNS1_3genE8ELNS1_11target_archE1030ELNS1_3gpuE2ELNS1_3repE0EEENS1_30default_config_static_selectorELNS0_4arch9wavefront6targetE0EEEvT1_.numbered_sgpr, 0
	.set _ZN7rocprim17ROCPRIM_400000_NS6detail17trampoline_kernelINS0_14default_configENS1_27scan_by_key_config_selectorIiiEEZZNS1_16scan_by_key_implILNS1_25lookback_scan_determinismE0ELb0ES3_N6thrust23THRUST_200600_302600_NS18transform_iteratorI9which_rowNS9_17counting_iteratorIiNS9_11use_defaultESD_SD_EESD_SD_EENS9_6detail15normal_iteratorINS9_10device_ptrIiEEEESK_iNS9_4plusIvEENS9_8equal_toIvEEiEE10hipError_tPvRmT2_T3_T4_T5_mT6_T7_P12ihipStream_tbENKUlT_T0_E_clISt17integral_constantIbLb0EES15_EEDaS10_S11_EUlS10_E_NS1_11comp_targetILNS1_3genE8ELNS1_11target_archE1030ELNS1_3gpuE2ELNS1_3repE0EEENS1_30default_config_static_selectorELNS0_4arch9wavefront6targetE0EEEvT1_.num_named_barrier, 0
	.set _ZN7rocprim17ROCPRIM_400000_NS6detail17trampoline_kernelINS0_14default_configENS1_27scan_by_key_config_selectorIiiEEZZNS1_16scan_by_key_implILNS1_25lookback_scan_determinismE0ELb0ES3_N6thrust23THRUST_200600_302600_NS18transform_iteratorI9which_rowNS9_17counting_iteratorIiNS9_11use_defaultESD_SD_EESD_SD_EENS9_6detail15normal_iteratorINS9_10device_ptrIiEEEESK_iNS9_4plusIvEENS9_8equal_toIvEEiEE10hipError_tPvRmT2_T3_T4_T5_mT6_T7_P12ihipStream_tbENKUlT_T0_E_clISt17integral_constantIbLb0EES15_EEDaS10_S11_EUlS10_E_NS1_11comp_targetILNS1_3genE8ELNS1_11target_archE1030ELNS1_3gpuE2ELNS1_3repE0EEENS1_30default_config_static_selectorELNS0_4arch9wavefront6targetE0EEEvT1_.private_seg_size, 0
	.set _ZN7rocprim17ROCPRIM_400000_NS6detail17trampoline_kernelINS0_14default_configENS1_27scan_by_key_config_selectorIiiEEZZNS1_16scan_by_key_implILNS1_25lookback_scan_determinismE0ELb0ES3_N6thrust23THRUST_200600_302600_NS18transform_iteratorI9which_rowNS9_17counting_iteratorIiNS9_11use_defaultESD_SD_EESD_SD_EENS9_6detail15normal_iteratorINS9_10device_ptrIiEEEESK_iNS9_4plusIvEENS9_8equal_toIvEEiEE10hipError_tPvRmT2_T3_T4_T5_mT6_T7_P12ihipStream_tbENKUlT_T0_E_clISt17integral_constantIbLb0EES15_EEDaS10_S11_EUlS10_E_NS1_11comp_targetILNS1_3genE8ELNS1_11target_archE1030ELNS1_3gpuE2ELNS1_3repE0EEENS1_30default_config_static_selectorELNS0_4arch9wavefront6targetE0EEEvT1_.uses_vcc, 0
	.set _ZN7rocprim17ROCPRIM_400000_NS6detail17trampoline_kernelINS0_14default_configENS1_27scan_by_key_config_selectorIiiEEZZNS1_16scan_by_key_implILNS1_25lookback_scan_determinismE0ELb0ES3_N6thrust23THRUST_200600_302600_NS18transform_iteratorI9which_rowNS9_17counting_iteratorIiNS9_11use_defaultESD_SD_EESD_SD_EENS9_6detail15normal_iteratorINS9_10device_ptrIiEEEESK_iNS9_4plusIvEENS9_8equal_toIvEEiEE10hipError_tPvRmT2_T3_T4_T5_mT6_T7_P12ihipStream_tbENKUlT_T0_E_clISt17integral_constantIbLb0EES15_EEDaS10_S11_EUlS10_E_NS1_11comp_targetILNS1_3genE8ELNS1_11target_archE1030ELNS1_3gpuE2ELNS1_3repE0EEENS1_30default_config_static_selectorELNS0_4arch9wavefront6targetE0EEEvT1_.uses_flat_scratch, 0
	.set _ZN7rocprim17ROCPRIM_400000_NS6detail17trampoline_kernelINS0_14default_configENS1_27scan_by_key_config_selectorIiiEEZZNS1_16scan_by_key_implILNS1_25lookback_scan_determinismE0ELb0ES3_N6thrust23THRUST_200600_302600_NS18transform_iteratorI9which_rowNS9_17counting_iteratorIiNS9_11use_defaultESD_SD_EESD_SD_EENS9_6detail15normal_iteratorINS9_10device_ptrIiEEEESK_iNS9_4plusIvEENS9_8equal_toIvEEiEE10hipError_tPvRmT2_T3_T4_T5_mT6_T7_P12ihipStream_tbENKUlT_T0_E_clISt17integral_constantIbLb0EES15_EEDaS10_S11_EUlS10_E_NS1_11comp_targetILNS1_3genE8ELNS1_11target_archE1030ELNS1_3gpuE2ELNS1_3repE0EEENS1_30default_config_static_selectorELNS0_4arch9wavefront6targetE0EEEvT1_.has_dyn_sized_stack, 0
	.set _ZN7rocprim17ROCPRIM_400000_NS6detail17trampoline_kernelINS0_14default_configENS1_27scan_by_key_config_selectorIiiEEZZNS1_16scan_by_key_implILNS1_25lookback_scan_determinismE0ELb0ES3_N6thrust23THRUST_200600_302600_NS18transform_iteratorI9which_rowNS9_17counting_iteratorIiNS9_11use_defaultESD_SD_EESD_SD_EENS9_6detail15normal_iteratorINS9_10device_ptrIiEEEESK_iNS9_4plusIvEENS9_8equal_toIvEEiEE10hipError_tPvRmT2_T3_T4_T5_mT6_T7_P12ihipStream_tbENKUlT_T0_E_clISt17integral_constantIbLb0EES15_EEDaS10_S11_EUlS10_E_NS1_11comp_targetILNS1_3genE8ELNS1_11target_archE1030ELNS1_3gpuE2ELNS1_3repE0EEENS1_30default_config_static_selectorELNS0_4arch9wavefront6targetE0EEEvT1_.has_recursion, 0
	.set _ZN7rocprim17ROCPRIM_400000_NS6detail17trampoline_kernelINS0_14default_configENS1_27scan_by_key_config_selectorIiiEEZZNS1_16scan_by_key_implILNS1_25lookback_scan_determinismE0ELb0ES3_N6thrust23THRUST_200600_302600_NS18transform_iteratorI9which_rowNS9_17counting_iteratorIiNS9_11use_defaultESD_SD_EESD_SD_EENS9_6detail15normal_iteratorINS9_10device_ptrIiEEEESK_iNS9_4plusIvEENS9_8equal_toIvEEiEE10hipError_tPvRmT2_T3_T4_T5_mT6_T7_P12ihipStream_tbENKUlT_T0_E_clISt17integral_constantIbLb0EES15_EEDaS10_S11_EUlS10_E_NS1_11comp_targetILNS1_3genE8ELNS1_11target_archE1030ELNS1_3gpuE2ELNS1_3repE0EEENS1_30default_config_static_selectorELNS0_4arch9wavefront6targetE0EEEvT1_.has_indirect_call, 0
	.section	.AMDGPU.csdata,"",@progbits
; Kernel info:
; codeLenInByte = 0
; TotalNumSgprs: 0
; NumVgprs: 0
; ScratchSize: 0
; MemoryBound: 0
; FloatMode: 240
; IeeeMode: 1
; LDSByteSize: 0 bytes/workgroup (compile time only)
; SGPRBlocks: 0
; VGPRBlocks: 0
; NumSGPRsForWavesPerEU: 1
; NumVGPRsForWavesPerEU: 1
; NamedBarCnt: 0
; Occupancy: 16
; WaveLimiterHint : 0
; COMPUTE_PGM_RSRC2:SCRATCH_EN: 0
; COMPUTE_PGM_RSRC2:USER_SGPR: 2
; COMPUTE_PGM_RSRC2:TRAP_HANDLER: 0
; COMPUTE_PGM_RSRC2:TGID_X_EN: 1
; COMPUTE_PGM_RSRC2:TGID_Y_EN: 0
; COMPUTE_PGM_RSRC2:TGID_Z_EN: 0
; COMPUTE_PGM_RSRC2:TIDIG_COMP_CNT: 0
	.section	.text._ZN7rocprim17ROCPRIM_400000_NS6detail30init_device_scan_by_key_kernelINS1_19lookback_scan_stateINS0_5tupleIJibEEELb1ELb1EEEN6thrust23THRUST_200600_302600_NS18transform_iteratorI9which_rowNS8_17counting_iteratorIiNS8_11use_defaultESC_SC_EESC_SC_EEjNS1_16block_id_wrapperIjLb1EEEEEvT_jjPNSH_10value_typeET0_PNSt15iterator_traitsISK_E10value_typeEmT1_T2_,"axG",@progbits,_ZN7rocprim17ROCPRIM_400000_NS6detail30init_device_scan_by_key_kernelINS1_19lookback_scan_stateINS0_5tupleIJibEEELb1ELb1EEEN6thrust23THRUST_200600_302600_NS18transform_iteratorI9which_rowNS8_17counting_iteratorIiNS8_11use_defaultESC_SC_EESC_SC_EEjNS1_16block_id_wrapperIjLb1EEEEEvT_jjPNSH_10value_typeET0_PNSt15iterator_traitsISK_E10value_typeEmT1_T2_,comdat
	.protected	_ZN7rocprim17ROCPRIM_400000_NS6detail30init_device_scan_by_key_kernelINS1_19lookback_scan_stateINS0_5tupleIJibEEELb1ELb1EEEN6thrust23THRUST_200600_302600_NS18transform_iteratorI9which_rowNS8_17counting_iteratorIiNS8_11use_defaultESC_SC_EESC_SC_EEjNS1_16block_id_wrapperIjLb1EEEEEvT_jjPNSH_10value_typeET0_PNSt15iterator_traitsISK_E10value_typeEmT1_T2_ ; -- Begin function _ZN7rocprim17ROCPRIM_400000_NS6detail30init_device_scan_by_key_kernelINS1_19lookback_scan_stateINS0_5tupleIJibEEELb1ELb1EEEN6thrust23THRUST_200600_302600_NS18transform_iteratorI9which_rowNS8_17counting_iteratorIiNS8_11use_defaultESC_SC_EESC_SC_EEjNS1_16block_id_wrapperIjLb1EEEEEvT_jjPNSH_10value_typeET0_PNSt15iterator_traitsISK_E10value_typeEmT1_T2_
	.globl	_ZN7rocprim17ROCPRIM_400000_NS6detail30init_device_scan_by_key_kernelINS1_19lookback_scan_stateINS0_5tupleIJibEEELb1ELb1EEEN6thrust23THRUST_200600_302600_NS18transform_iteratorI9which_rowNS8_17counting_iteratorIiNS8_11use_defaultESC_SC_EESC_SC_EEjNS1_16block_id_wrapperIjLb1EEEEEvT_jjPNSH_10value_typeET0_PNSt15iterator_traitsISK_E10value_typeEmT1_T2_
	.p2align	8
	.type	_ZN7rocprim17ROCPRIM_400000_NS6detail30init_device_scan_by_key_kernelINS1_19lookback_scan_stateINS0_5tupleIJibEEELb1ELb1EEEN6thrust23THRUST_200600_302600_NS18transform_iteratorI9which_rowNS8_17counting_iteratorIiNS8_11use_defaultESC_SC_EESC_SC_EEjNS1_16block_id_wrapperIjLb1EEEEEvT_jjPNSH_10value_typeET0_PNSt15iterator_traitsISK_E10value_typeEmT1_T2_,@function
_ZN7rocprim17ROCPRIM_400000_NS6detail30init_device_scan_by_key_kernelINS1_19lookback_scan_stateINS0_5tupleIJibEEELb1ELb1EEEN6thrust23THRUST_200600_302600_NS18transform_iteratorI9which_rowNS8_17counting_iteratorIiNS8_11use_defaultESC_SC_EESC_SC_EEjNS1_16block_id_wrapperIjLb1EEEEEvT_jjPNSH_10value_typeET0_PNSt15iterator_traitsISK_E10value_typeEmT1_T2_: ; @_ZN7rocprim17ROCPRIM_400000_NS6detail30init_device_scan_by_key_kernelINS1_19lookback_scan_stateINS0_5tupleIJibEEELb1ELb1EEEN6thrust23THRUST_200600_302600_NS18transform_iteratorI9which_rowNS8_17counting_iteratorIiNS8_11use_defaultESC_SC_EESC_SC_EEjNS1_16block_id_wrapperIjLb1EEEEEvT_jjPNSH_10value_typeET0_PNSt15iterator_traitsISK_E10value_typeEmT1_T2_
; %bb.0:
	s_clause 0x2
	s_load_b32 s2, s[0:1], 0x4c
	s_load_b32 s14, s[0:1], 0x40
	s_load_b256 s[4:11], s[0:1], 0x0
	s_bfe_u32 s3, ttmp6, 0x4000c
	s_and_b32 s12, ttmp6, 15
	s_add_co_i32 s3, s3, 1
	s_getreg_b32 s13, hwreg(HW_REG_IB_STS2, 6, 4)
	s_mul_i32 s3, ttmp9, s3
	s_delay_alu instid0(SALU_CYCLE_1)
	s_add_co_i32 s12, s12, s3
	s_wait_kmcnt 0x0
	s_and_b32 s15, s2, 0xffff
	s_cmp_eq_u32 s13, 0
	s_cselect_b32 s2, ttmp9, s12
	s_cmp_eq_u64 s[8:9], 0
	v_mad_u32 v4, s2, s15, v0
	s_cbranch_scc1 .LBB95_10
; %bb.1:
	s_cmp_lt_u32 s7, s6
	s_mov_b32 s16, exec_lo
	s_cselect_b32 s2, s7, 0
	s_delay_alu instid0(VALU_DEP_1) | instid1(SALU_CYCLE_1)
	v_cmpx_eq_u32_e64 s2, v4
	s_cbranch_execz .LBB95_9
; %bb.2:
	s_add_co_i32 s2, s7, 32
	s_mov_b32 s3, 0
	v_mov_b32_e32 v7, 0
	s_lshl_b64 s[12:13], s[2:3], 4
	s_mov_b32 s2, exec_lo
	s_add_nc_u64 s[12:13], s[4:5], s[12:13]
	s_delay_alu instid0(SALU_CYCLE_1) | instskip(SKIP_2) | instid1(VALU_DEP_1)
	v_mov_b64_e32 v[0:1], s[12:13]
	;;#ASMSTART
	global_load_b128 v[0:3], v[0:1] off scope:SCOPE_DEV	
s_wait_loadcnt 0x0
	;;#ASMEND
	v_and_b32_e32 v6, 0xff, v2
	v_cmpx_eq_u64_e32 0, v[6:7]
	s_cbranch_execz .LBB95_8
; %bb.3:
	v_mov_b64_e32 v[8:9], s[12:13]
	s_mov_b32 s7, 1
.LBB95_4:                               ; =>This Loop Header: Depth=1
                                        ;     Child Loop BB95_5 Depth 2
	s_delay_alu instid0(SALU_CYCLE_1)
	s_mov_b32 s12, s7
.LBB95_5:                               ;   Parent Loop BB95_4 Depth=1
                                        ; =>  This Inner Loop Header: Depth=2
	s_delay_alu instid0(SALU_CYCLE_1)
	s_add_co_i32 s12, s12, -1
	s_sleep 1
	s_cmp_eq_u32 s12, 0
	s_cbranch_scc0 .LBB95_5
; %bb.6:                                ;   in Loop: Header=BB95_4 Depth=1
	;;#ASMSTART
	global_load_b128 v[0:3], v[8:9] off scope:SCOPE_DEV	
s_wait_loadcnt 0x0
	;;#ASMEND
	v_and_b32_e32 v6, 0xff, v2
	s_cmp_lt_u32 s7, 32
	s_cselect_b32 s12, -1, 0
	s_delay_alu instid0(VALU_DEP_1) | instskip(SKIP_3) | instid1(SALU_CYCLE_1)
	v_cmp_ne_u64_e32 vcc_lo, 0, v[6:7]
	s_cmp_lg_u32 s12, 0
	s_add_co_ci_u32 s7, s7, 0
	s_or_b32 s3, vcc_lo, s3
	s_and_not1_b32 exec_lo, exec_lo, s3
	s_cbranch_execnz .LBB95_4
; %bb.7:
	s_or_b32 exec_lo, exec_lo, s3
.LBB95_8:
	s_delay_alu instid0(SALU_CYCLE_1)
	s_or_b32 exec_lo, exec_lo, s2
	v_mov_b32_e32 v2, 0
	s_clause 0x1
	global_store_b32 v2, v0, s[8:9]
	global_store_b8 v2, v1, s[8:9] offset:4
.LBB95_9:
	s_wait_xcnt 0x0
	s_or_b32 exec_lo, exec_lo, s16
.LBB95_10:
	s_delay_alu instid0(SALU_CYCLE_1) | instskip(NEXT) | instid1(VALU_DEP_1)
	s_mov_b32 s2, exec_lo
	v_cmpx_eq_u32_e32 0, v4
	s_cbranch_execz .LBB95_12
; %bb.11:
	s_load_b64 s[8:9], s[0:1], 0x38
	v_mov_b32_e32 v0, 0
	s_wait_kmcnt 0x0
	global_store_b32 v0, v0, s[8:9]
.LBB95_12:
	s_wait_xcnt 0x0
	s_or_b32 exec_lo, exec_lo, s2
	s_delay_alu instid0(SALU_CYCLE_1)
	s_mov_b32 s2, exec_lo
	v_cmpx_gt_u32_e64 s6, v4
	s_cbranch_execz .LBB95_14
; %bb.13:
	v_dual_mov_b32 v0, 0 :: v_dual_add_nc_u32 v5, 32, v4
	s_delay_alu instid0(VALU_DEP_1)
	v_dual_mov_b32 v1, v0 :: v_dual_mov_b32 v2, v0
	v_mov_b32_e32 v3, v0
	global_store_b128 v5, v[0:3], s[4:5] scale_offset
.LBB95_14:
	s_wait_xcnt 0x0
	s_or_b32 exec_lo, exec_lo, s2
	v_mov_b32_e32 v5, 0
	s_mov_b32 s2, exec_lo
	v_cmpx_gt_u32_e32 32, v4
	s_cbranch_execz .LBB95_16
; %bb.15:
	s_delay_alu instid0(VALU_DEP_2)
	v_lshl_add_u64 v[6:7], v[4:5], 4, s[4:5]
	v_dual_mov_b32 v2, 0xff :: v_dual_mov_b32 v1, v5
	v_dual_mov_b32 v0, v5 :: v_dual_mov_b32 v3, v5
	global_store_b128 v[6:7], v[0:3], off
.LBB95_16:
	s_wait_xcnt 0x0
	s_or_b32 exec_lo, exec_lo, s2
	s_load_b64 s[2:3], s[0:1], 0x28
	s_mov_b32 s4, exec_lo
	s_wait_kmcnt 0x0
	v_cmpx_gt_u64_e64 s[2:3], v[4:5]
	s_cbranch_execz .LBB95_19
; %bb.17:
	s_clause 0x1
	s_load_b32 s12, s[0:1], 0x30
	s_load_b64 s[6:7], s[0:1], 0x20
	s_abs_i32 s8, s11
	s_ashr_i32 s9, s11, 31
	s_cvt_f32_u32 s4, s8
	s_sub_co_i32 s11, 0, s8
	v_mov_b32_e32 v3, 0
	s_wait_xcnt 0x0
	s_mov_b32 s1, 0
	v_rcp_iflag_f32_e32 v0, s4
	s_mov_b32 s5, s1
	v_nop
	s_delay_alu instid0(TRANS32_DEP_1)
	v_readfirstlane_b32 s0, v0
	s_mul_f32 s4, s0, 0x4f7ffffe
	s_wait_kmcnt 0x0
	v_mul_lo_u32 v2, s12, v4
	v_lshl_add_u64 v[0:1], v[4:5], 2, s[6:7]
	s_add_co_i32 s7, s10, s12
	s_cvt_u32_f32 s4, s4
	s_mul_i32 s0, s14, s15
	s_delay_alu instid0(SALU_CYCLE_1) | instskip(NEXT) | instid1(SALU_CYCLE_1)
	s_mul_i32 s10, s0, s12
	s_mul_i32 s11, s11, s4
	s_delay_alu instid0(SALU_CYCLE_1) | instskip(SKIP_1) | instid1(VALU_DEP_2)
	s_mul_hi_u32 s6, s4, s11
	s_mov_b32 s11, s1
	v_add3_u32 v6, s7, v2, -1
	s_add_co_i32 s4, s4, s6
	s_lshl_b64 s[6:7], s[0:1], 2
.LBB95_18:                              ; =>This Inner Loop Header: Depth=1
	s_delay_alu instid0(VALU_DEP_1) | instskip(SKIP_1) | instid1(VALU_DEP_2)
	v_sub_nc_u32_e32 v2, 0, v6
	v_add_nc_u64_e32 v[4:5], s[0:1], v[4:5]
	v_max_i32_e32 v2, v6, v2
	s_delay_alu instid0(VALU_DEP_1) | instskip(NEXT) | instid1(VALU_DEP_1)
	v_mul_u64_e32 v[8:9], s[4:5], v[2:3]
	v_mul_lo_u32 v7, v9, s8
	s_delay_alu instid0(VALU_DEP_1) | instskip(NEXT) | instid1(VALU_DEP_1)
	v_dual_add_nc_u32 v8, 1, v9 :: v_dual_sub_nc_u32 v2, v2, v7
	v_cmp_le_u32_e32 vcc_lo, s8, v2
	s_delay_alu instid0(VALU_DEP_2) | instskip(SKIP_1) | instid1(VALU_DEP_1)
	v_dual_cndmask_b32 v8, v9, v8 :: v_dual_ashrrev_i32 v9, 31, v6
	v_subrev_nc_u32_e32 v7, s8, v2
	v_dual_add_nc_u32 v6, s10, v6 :: v_dual_cndmask_b32 v2, v2, v7, vcc_lo
	s_delay_alu instid0(VALU_DEP_3) | instskip(NEXT) | instid1(VALU_DEP_2)
	v_add_nc_u32_e32 v7, 1, v8
	v_cmp_le_u32_e32 vcc_lo, s8, v2
	s_delay_alu instid0(VALU_DEP_2) | instskip(SKIP_1) | instid1(VALU_DEP_2)
	v_dual_cndmask_b32 v2, v8, v7, vcc_lo :: v_dual_bitop2_b32 v9, s9, v9 bitop3:0x14
	v_cmp_le_u64_e32 vcc_lo, s[2:3], v[4:5]
	v_xor_b32_e32 v2, v2, v9
	s_or_b32 s11, vcc_lo, s11
	s_delay_alu instid0(VALU_DEP_1)
	v_sub_nc_u32_e32 v2, v2, v9
	global_store_b32 v[0:1], v2, off
	s_wait_xcnt 0x0
	v_add_nc_u64_e32 v[0:1], s[6:7], v[0:1]
	s_and_not1_b32 exec_lo, exec_lo, s11
	s_cbranch_execnz .LBB95_18
.LBB95_19:
	s_endpgm
	.section	.rodata,"a",@progbits
	.p2align	6, 0x0
	.amdhsa_kernel _ZN7rocprim17ROCPRIM_400000_NS6detail30init_device_scan_by_key_kernelINS1_19lookback_scan_stateINS0_5tupleIJibEEELb1ELb1EEEN6thrust23THRUST_200600_302600_NS18transform_iteratorI9which_rowNS8_17counting_iteratorIiNS8_11use_defaultESC_SC_EESC_SC_EEjNS1_16block_id_wrapperIjLb1EEEEEvT_jjPNSH_10value_typeET0_PNSt15iterator_traitsISK_E10value_typeEmT1_T2_
		.amdhsa_group_segment_fixed_size 0
		.amdhsa_private_segment_fixed_size 0
		.amdhsa_kernarg_size 320
		.amdhsa_user_sgpr_count 2
		.amdhsa_user_sgpr_dispatch_ptr 0
		.amdhsa_user_sgpr_queue_ptr 0
		.amdhsa_user_sgpr_kernarg_segment_ptr 1
		.amdhsa_user_sgpr_dispatch_id 0
		.amdhsa_user_sgpr_kernarg_preload_length 0
		.amdhsa_user_sgpr_kernarg_preload_offset 0
		.amdhsa_user_sgpr_private_segment_size 0
		.amdhsa_wavefront_size32 1
		.amdhsa_uses_dynamic_stack 0
		.amdhsa_enable_private_segment 0
		.amdhsa_system_sgpr_workgroup_id_x 1
		.amdhsa_system_sgpr_workgroup_id_y 0
		.amdhsa_system_sgpr_workgroup_id_z 0
		.amdhsa_system_sgpr_workgroup_info 0
		.amdhsa_system_vgpr_workitem_id 0
		.amdhsa_next_free_vgpr 10
		.amdhsa_next_free_sgpr 17
		.amdhsa_named_barrier_count 0
		.amdhsa_reserve_vcc 1
		.amdhsa_float_round_mode_32 0
		.amdhsa_float_round_mode_16_64 0
		.amdhsa_float_denorm_mode_32 3
		.amdhsa_float_denorm_mode_16_64 3
		.amdhsa_fp16_overflow 0
		.amdhsa_memory_ordered 1
		.amdhsa_forward_progress 1
		.amdhsa_inst_pref_size 7
		.amdhsa_round_robin_scheduling 0
		.amdhsa_exception_fp_ieee_invalid_op 0
		.amdhsa_exception_fp_denorm_src 0
		.amdhsa_exception_fp_ieee_div_zero 0
		.amdhsa_exception_fp_ieee_overflow 0
		.amdhsa_exception_fp_ieee_underflow 0
		.amdhsa_exception_fp_ieee_inexact 0
		.amdhsa_exception_int_div_zero 0
	.end_amdhsa_kernel
	.section	.text._ZN7rocprim17ROCPRIM_400000_NS6detail30init_device_scan_by_key_kernelINS1_19lookback_scan_stateINS0_5tupleIJibEEELb1ELb1EEEN6thrust23THRUST_200600_302600_NS18transform_iteratorI9which_rowNS8_17counting_iteratorIiNS8_11use_defaultESC_SC_EESC_SC_EEjNS1_16block_id_wrapperIjLb1EEEEEvT_jjPNSH_10value_typeET0_PNSt15iterator_traitsISK_E10value_typeEmT1_T2_,"axG",@progbits,_ZN7rocprim17ROCPRIM_400000_NS6detail30init_device_scan_by_key_kernelINS1_19lookback_scan_stateINS0_5tupleIJibEEELb1ELb1EEEN6thrust23THRUST_200600_302600_NS18transform_iteratorI9which_rowNS8_17counting_iteratorIiNS8_11use_defaultESC_SC_EESC_SC_EEjNS1_16block_id_wrapperIjLb1EEEEEvT_jjPNSH_10value_typeET0_PNSt15iterator_traitsISK_E10value_typeEmT1_T2_,comdat
.Lfunc_end95:
	.size	_ZN7rocprim17ROCPRIM_400000_NS6detail30init_device_scan_by_key_kernelINS1_19lookback_scan_stateINS0_5tupleIJibEEELb1ELb1EEEN6thrust23THRUST_200600_302600_NS18transform_iteratorI9which_rowNS8_17counting_iteratorIiNS8_11use_defaultESC_SC_EESC_SC_EEjNS1_16block_id_wrapperIjLb1EEEEEvT_jjPNSH_10value_typeET0_PNSt15iterator_traitsISK_E10value_typeEmT1_T2_, .Lfunc_end95-_ZN7rocprim17ROCPRIM_400000_NS6detail30init_device_scan_by_key_kernelINS1_19lookback_scan_stateINS0_5tupleIJibEEELb1ELb1EEEN6thrust23THRUST_200600_302600_NS18transform_iteratorI9which_rowNS8_17counting_iteratorIiNS8_11use_defaultESC_SC_EESC_SC_EEjNS1_16block_id_wrapperIjLb1EEEEEvT_jjPNSH_10value_typeET0_PNSt15iterator_traitsISK_E10value_typeEmT1_T2_
                                        ; -- End function
	.set _ZN7rocprim17ROCPRIM_400000_NS6detail30init_device_scan_by_key_kernelINS1_19lookback_scan_stateINS0_5tupleIJibEEELb1ELb1EEEN6thrust23THRUST_200600_302600_NS18transform_iteratorI9which_rowNS8_17counting_iteratorIiNS8_11use_defaultESC_SC_EESC_SC_EEjNS1_16block_id_wrapperIjLb1EEEEEvT_jjPNSH_10value_typeET0_PNSt15iterator_traitsISK_E10value_typeEmT1_T2_.num_vgpr, 10
	.set _ZN7rocprim17ROCPRIM_400000_NS6detail30init_device_scan_by_key_kernelINS1_19lookback_scan_stateINS0_5tupleIJibEEELb1ELb1EEEN6thrust23THRUST_200600_302600_NS18transform_iteratorI9which_rowNS8_17counting_iteratorIiNS8_11use_defaultESC_SC_EESC_SC_EEjNS1_16block_id_wrapperIjLb1EEEEEvT_jjPNSH_10value_typeET0_PNSt15iterator_traitsISK_E10value_typeEmT1_T2_.num_agpr, 0
	.set _ZN7rocprim17ROCPRIM_400000_NS6detail30init_device_scan_by_key_kernelINS1_19lookback_scan_stateINS0_5tupleIJibEEELb1ELb1EEEN6thrust23THRUST_200600_302600_NS18transform_iteratorI9which_rowNS8_17counting_iteratorIiNS8_11use_defaultESC_SC_EESC_SC_EEjNS1_16block_id_wrapperIjLb1EEEEEvT_jjPNSH_10value_typeET0_PNSt15iterator_traitsISK_E10value_typeEmT1_T2_.numbered_sgpr, 17
	.set _ZN7rocprim17ROCPRIM_400000_NS6detail30init_device_scan_by_key_kernelINS1_19lookback_scan_stateINS0_5tupleIJibEEELb1ELb1EEEN6thrust23THRUST_200600_302600_NS18transform_iteratorI9which_rowNS8_17counting_iteratorIiNS8_11use_defaultESC_SC_EESC_SC_EEjNS1_16block_id_wrapperIjLb1EEEEEvT_jjPNSH_10value_typeET0_PNSt15iterator_traitsISK_E10value_typeEmT1_T2_.num_named_barrier, 0
	.set _ZN7rocprim17ROCPRIM_400000_NS6detail30init_device_scan_by_key_kernelINS1_19lookback_scan_stateINS0_5tupleIJibEEELb1ELb1EEEN6thrust23THRUST_200600_302600_NS18transform_iteratorI9which_rowNS8_17counting_iteratorIiNS8_11use_defaultESC_SC_EESC_SC_EEjNS1_16block_id_wrapperIjLb1EEEEEvT_jjPNSH_10value_typeET0_PNSt15iterator_traitsISK_E10value_typeEmT1_T2_.private_seg_size, 0
	.set _ZN7rocprim17ROCPRIM_400000_NS6detail30init_device_scan_by_key_kernelINS1_19lookback_scan_stateINS0_5tupleIJibEEELb1ELb1EEEN6thrust23THRUST_200600_302600_NS18transform_iteratorI9which_rowNS8_17counting_iteratorIiNS8_11use_defaultESC_SC_EESC_SC_EEjNS1_16block_id_wrapperIjLb1EEEEEvT_jjPNSH_10value_typeET0_PNSt15iterator_traitsISK_E10value_typeEmT1_T2_.uses_vcc, 1
	.set _ZN7rocprim17ROCPRIM_400000_NS6detail30init_device_scan_by_key_kernelINS1_19lookback_scan_stateINS0_5tupleIJibEEELb1ELb1EEEN6thrust23THRUST_200600_302600_NS18transform_iteratorI9which_rowNS8_17counting_iteratorIiNS8_11use_defaultESC_SC_EESC_SC_EEjNS1_16block_id_wrapperIjLb1EEEEEvT_jjPNSH_10value_typeET0_PNSt15iterator_traitsISK_E10value_typeEmT1_T2_.uses_flat_scratch, 0
	.set _ZN7rocprim17ROCPRIM_400000_NS6detail30init_device_scan_by_key_kernelINS1_19lookback_scan_stateINS0_5tupleIJibEEELb1ELb1EEEN6thrust23THRUST_200600_302600_NS18transform_iteratorI9which_rowNS8_17counting_iteratorIiNS8_11use_defaultESC_SC_EESC_SC_EEjNS1_16block_id_wrapperIjLb1EEEEEvT_jjPNSH_10value_typeET0_PNSt15iterator_traitsISK_E10value_typeEmT1_T2_.has_dyn_sized_stack, 0
	.set _ZN7rocprim17ROCPRIM_400000_NS6detail30init_device_scan_by_key_kernelINS1_19lookback_scan_stateINS0_5tupleIJibEEELb1ELb1EEEN6thrust23THRUST_200600_302600_NS18transform_iteratorI9which_rowNS8_17counting_iteratorIiNS8_11use_defaultESC_SC_EESC_SC_EEjNS1_16block_id_wrapperIjLb1EEEEEvT_jjPNSH_10value_typeET0_PNSt15iterator_traitsISK_E10value_typeEmT1_T2_.has_recursion, 0
	.set _ZN7rocprim17ROCPRIM_400000_NS6detail30init_device_scan_by_key_kernelINS1_19lookback_scan_stateINS0_5tupleIJibEEELb1ELb1EEEN6thrust23THRUST_200600_302600_NS18transform_iteratorI9which_rowNS8_17counting_iteratorIiNS8_11use_defaultESC_SC_EESC_SC_EEjNS1_16block_id_wrapperIjLb1EEEEEvT_jjPNSH_10value_typeET0_PNSt15iterator_traitsISK_E10value_typeEmT1_T2_.has_indirect_call, 0
	.section	.AMDGPU.csdata,"",@progbits
; Kernel info:
; codeLenInByte = 824
; TotalNumSgprs: 19
; NumVgprs: 10
; ScratchSize: 0
; MemoryBound: 0
; FloatMode: 240
; IeeeMode: 1
; LDSByteSize: 0 bytes/workgroup (compile time only)
; SGPRBlocks: 0
; VGPRBlocks: 0
; NumSGPRsForWavesPerEU: 19
; NumVGPRsForWavesPerEU: 10
; NamedBarCnt: 0
; Occupancy: 16
; WaveLimiterHint : 0
; COMPUTE_PGM_RSRC2:SCRATCH_EN: 0
; COMPUTE_PGM_RSRC2:USER_SGPR: 2
; COMPUTE_PGM_RSRC2:TRAP_HANDLER: 0
; COMPUTE_PGM_RSRC2:TGID_X_EN: 1
; COMPUTE_PGM_RSRC2:TGID_Y_EN: 0
; COMPUTE_PGM_RSRC2:TGID_Z_EN: 0
; COMPUTE_PGM_RSRC2:TIDIG_COMP_CNT: 0
	.section	.text._ZN7rocprim17ROCPRIM_400000_NS6detail30init_device_scan_by_key_kernelINS1_19lookback_scan_stateINS0_5tupleIJibEEELb1ELb1EEENS1_16block_id_wrapperIjLb1EEEEEvT_jjPNS9_10value_typeET0_,"axG",@progbits,_ZN7rocprim17ROCPRIM_400000_NS6detail30init_device_scan_by_key_kernelINS1_19lookback_scan_stateINS0_5tupleIJibEEELb1ELb1EEENS1_16block_id_wrapperIjLb1EEEEEvT_jjPNS9_10value_typeET0_,comdat
	.protected	_ZN7rocprim17ROCPRIM_400000_NS6detail30init_device_scan_by_key_kernelINS1_19lookback_scan_stateINS0_5tupleIJibEEELb1ELb1EEENS1_16block_id_wrapperIjLb1EEEEEvT_jjPNS9_10value_typeET0_ ; -- Begin function _ZN7rocprim17ROCPRIM_400000_NS6detail30init_device_scan_by_key_kernelINS1_19lookback_scan_stateINS0_5tupleIJibEEELb1ELb1EEENS1_16block_id_wrapperIjLb1EEEEEvT_jjPNS9_10value_typeET0_
	.globl	_ZN7rocprim17ROCPRIM_400000_NS6detail30init_device_scan_by_key_kernelINS1_19lookback_scan_stateINS0_5tupleIJibEEELb1ELb1EEENS1_16block_id_wrapperIjLb1EEEEEvT_jjPNS9_10value_typeET0_
	.p2align	8
	.type	_ZN7rocprim17ROCPRIM_400000_NS6detail30init_device_scan_by_key_kernelINS1_19lookback_scan_stateINS0_5tupleIJibEEELb1ELb1EEENS1_16block_id_wrapperIjLb1EEEEEvT_jjPNS9_10value_typeET0_,@function
_ZN7rocprim17ROCPRIM_400000_NS6detail30init_device_scan_by_key_kernelINS1_19lookback_scan_stateINS0_5tupleIJibEEELb1ELb1EEENS1_16block_id_wrapperIjLb1EEEEEvT_jjPNS9_10value_typeET0_: ; @_ZN7rocprim17ROCPRIM_400000_NS6detail30init_device_scan_by_key_kernelINS1_19lookback_scan_stateINS0_5tupleIJibEEELb1ELb1EEENS1_16block_id_wrapperIjLb1EEEEEvT_jjPNS9_10value_typeET0_
; %bb.0:
	s_clause 0x1
	s_load_b32 s2, s[0:1], 0x2c
	s_load_b256 s[4:11], s[0:1], 0x0
	s_wait_xcnt 0x0
	s_bfe_u32 s0, ttmp6, 0x4000c
	s_and_b32 s1, ttmp6, 15
	s_add_co_i32 s0, s0, 1
	s_getreg_b32 s3, hwreg(HW_REG_IB_STS2, 6, 4)
	s_mul_i32 s0, ttmp9, s0
	s_delay_alu instid0(SALU_CYCLE_1)
	s_add_co_i32 s1, s1, s0
	s_wait_kmcnt 0x0
	s_and_b32 s2, s2, 0xffff
	s_cmp_eq_u32 s3, 0
	s_cselect_b32 s0, ttmp9, s1
	s_cmp_eq_u64 s[8:9], 0
	v_mad_u32 v8, s0, s2, v0
	s_cbranch_scc1 .LBB96_10
; %bb.1:
	s_cmp_lt_u32 s7, s6
	s_mov_b32 s12, exec_lo
	s_cselect_b32 s0, s7, 0
	s_delay_alu instid0(VALU_DEP_1) | instid1(SALU_CYCLE_1)
	v_cmpx_eq_u32_e64 s0, v8
	s_cbranch_execz .LBB96_9
; %bb.2:
	s_add_co_i32 s0, s7, 32
	s_mov_b32 s1, 0
	v_mov_b32_e32 v5, 0
	s_lshl_b64 s[2:3], s[0:1], 4
	s_mov_b32 s0, exec_lo
	s_add_nc_u64 s[2:3], s[4:5], s[2:3]
	s_delay_alu instid0(SALU_CYCLE_1) | instskip(SKIP_2) | instid1(VALU_DEP_1)
	v_mov_b64_e32 v[0:1], s[2:3]
	;;#ASMSTART
	global_load_b128 v[0:3], v[0:1] off scope:SCOPE_DEV	
s_wait_loadcnt 0x0
	;;#ASMEND
	v_and_b32_e32 v4, 0xff, v2
	v_cmpx_eq_u64_e32 0, v[4:5]
	s_cbranch_execz .LBB96_8
; %bb.3:
	v_mov_b64_e32 v[6:7], s[2:3]
	s_mov_b32 s2, 1
.LBB96_4:                               ; =>This Loop Header: Depth=1
                                        ;     Child Loop BB96_5 Depth 2
	s_delay_alu instid0(SALU_CYCLE_1)
	s_mov_b32 s3, s2
.LBB96_5:                               ;   Parent Loop BB96_4 Depth=1
                                        ; =>  This Inner Loop Header: Depth=2
	s_delay_alu instid0(SALU_CYCLE_1)
	s_add_co_i32 s3, s3, -1
	s_sleep 1
	s_cmp_eq_u32 s3, 0
	s_cbranch_scc0 .LBB96_5
; %bb.6:                                ;   in Loop: Header=BB96_4 Depth=1
	;;#ASMSTART
	global_load_b128 v[0:3], v[6:7] off scope:SCOPE_DEV	
s_wait_loadcnt 0x0
	;;#ASMEND
	v_and_b32_e32 v4, 0xff, v2
	s_cmp_lt_u32 s2, 32
	s_cselect_b32 s3, -1, 0
	s_delay_alu instid0(VALU_DEP_1) | instskip(SKIP_3) | instid1(SALU_CYCLE_1)
	v_cmp_ne_u64_e32 vcc_lo, 0, v[4:5]
	s_cmp_lg_u32 s3, 0
	s_add_co_ci_u32 s2, s2, 0
	s_or_b32 s1, vcc_lo, s1
	s_and_not1_b32 exec_lo, exec_lo, s1
	s_cbranch_execnz .LBB96_4
; %bb.7:
	s_or_b32 exec_lo, exec_lo, s1
.LBB96_8:
	s_delay_alu instid0(SALU_CYCLE_1)
	s_or_b32 exec_lo, exec_lo, s0
	v_mov_b32_e32 v2, 0
	s_clause 0x1
	global_store_b32 v2, v0, s[8:9]
	global_store_b8 v2, v1, s[8:9] offset:4
.LBB96_9:
	s_wait_xcnt 0x0
	s_or_b32 exec_lo, exec_lo, s12
.LBB96_10:
	s_delay_alu instid0(SALU_CYCLE_1) | instskip(NEXT) | instid1(VALU_DEP_1)
	s_mov_b32 s0, exec_lo
	v_cmpx_eq_u32_e32 0, v8
	s_cbranch_execz .LBB96_12
; %bb.11:
	v_mov_b32_e32 v0, 0
	global_store_b32 v0, v0, s[10:11]
.LBB96_12:
	s_wait_xcnt 0x0
	s_or_b32 exec_lo, exec_lo, s0
	s_delay_alu instid0(SALU_CYCLE_1)
	s_mov_b32 s0, exec_lo
	v_cmpx_gt_u32_e64 s6, v8
	s_cbranch_execz .LBB96_14
; %bb.13:
	v_dual_mov_b32 v0, 0 :: v_dual_add_nc_u32 v4, 32, v8
	s_delay_alu instid0(VALU_DEP_1)
	v_dual_mov_b32 v1, v0 :: v_dual_mov_b32 v2, v0
	v_mov_b32_e32 v3, v0
	global_store_b128 v4, v[0:3], s[4:5] scale_offset
.LBB96_14:
	s_wait_xcnt 0x0
	s_or_b32 exec_lo, exec_lo, s0
	s_delay_alu instid0(SALU_CYCLE_1)
	s_mov_b32 s0, exec_lo
	v_cmpx_gt_u32_e32 32, v8
	s_cbranch_execz .LBB96_16
; %bb.15:
	v_mov_b32_e32 v0, 0
	s_delay_alu instid0(VALU_DEP_1)
	v_dual_mov_b32 v2, 0xff :: v_dual_mov_b32 v1, v0
	v_mov_b32_e32 v3, v0
	global_store_b128 v8, v[0:3], s[4:5] scale_offset
.LBB96_16:
	s_endpgm
	.section	.rodata,"a",@progbits
	.p2align	6, 0x0
	.amdhsa_kernel _ZN7rocprim17ROCPRIM_400000_NS6detail30init_device_scan_by_key_kernelINS1_19lookback_scan_stateINS0_5tupleIJibEEELb1ELb1EEENS1_16block_id_wrapperIjLb1EEEEEvT_jjPNS9_10value_typeET0_
		.amdhsa_group_segment_fixed_size 0
		.amdhsa_private_segment_fixed_size 0
		.amdhsa_kernarg_size 288
		.amdhsa_user_sgpr_count 2
		.amdhsa_user_sgpr_dispatch_ptr 0
		.amdhsa_user_sgpr_queue_ptr 0
		.amdhsa_user_sgpr_kernarg_segment_ptr 1
		.amdhsa_user_sgpr_dispatch_id 0
		.amdhsa_user_sgpr_kernarg_preload_length 0
		.amdhsa_user_sgpr_kernarg_preload_offset 0
		.amdhsa_user_sgpr_private_segment_size 0
		.amdhsa_wavefront_size32 1
		.amdhsa_uses_dynamic_stack 0
		.amdhsa_enable_private_segment 0
		.amdhsa_system_sgpr_workgroup_id_x 1
		.amdhsa_system_sgpr_workgroup_id_y 0
		.amdhsa_system_sgpr_workgroup_id_z 0
		.amdhsa_system_sgpr_workgroup_info 0
		.amdhsa_system_vgpr_workitem_id 0
		.amdhsa_next_free_vgpr 9
		.amdhsa_next_free_sgpr 13
		.amdhsa_named_barrier_count 0
		.amdhsa_reserve_vcc 1
		.amdhsa_float_round_mode_32 0
		.amdhsa_float_round_mode_16_64 0
		.amdhsa_float_denorm_mode_32 3
		.amdhsa_float_denorm_mode_16_64 3
		.amdhsa_fp16_overflow 0
		.amdhsa_memory_ordered 1
		.amdhsa_forward_progress 1
		.amdhsa_inst_pref_size 4
		.amdhsa_round_robin_scheduling 0
		.amdhsa_exception_fp_ieee_invalid_op 0
		.amdhsa_exception_fp_denorm_src 0
		.amdhsa_exception_fp_ieee_div_zero 0
		.amdhsa_exception_fp_ieee_overflow 0
		.amdhsa_exception_fp_ieee_underflow 0
		.amdhsa_exception_fp_ieee_inexact 0
		.amdhsa_exception_int_div_zero 0
	.end_amdhsa_kernel
	.section	.text._ZN7rocprim17ROCPRIM_400000_NS6detail30init_device_scan_by_key_kernelINS1_19lookback_scan_stateINS0_5tupleIJibEEELb1ELb1EEENS1_16block_id_wrapperIjLb1EEEEEvT_jjPNS9_10value_typeET0_,"axG",@progbits,_ZN7rocprim17ROCPRIM_400000_NS6detail30init_device_scan_by_key_kernelINS1_19lookback_scan_stateINS0_5tupleIJibEEELb1ELb1EEENS1_16block_id_wrapperIjLb1EEEEEvT_jjPNS9_10value_typeET0_,comdat
.Lfunc_end96:
	.size	_ZN7rocprim17ROCPRIM_400000_NS6detail30init_device_scan_by_key_kernelINS1_19lookback_scan_stateINS0_5tupleIJibEEELb1ELb1EEENS1_16block_id_wrapperIjLb1EEEEEvT_jjPNS9_10value_typeET0_, .Lfunc_end96-_ZN7rocprim17ROCPRIM_400000_NS6detail30init_device_scan_by_key_kernelINS1_19lookback_scan_stateINS0_5tupleIJibEEELb1ELb1EEENS1_16block_id_wrapperIjLb1EEEEEvT_jjPNS9_10value_typeET0_
                                        ; -- End function
	.set _ZN7rocprim17ROCPRIM_400000_NS6detail30init_device_scan_by_key_kernelINS1_19lookback_scan_stateINS0_5tupleIJibEEELb1ELb1EEENS1_16block_id_wrapperIjLb1EEEEEvT_jjPNS9_10value_typeET0_.num_vgpr, 9
	.set _ZN7rocprim17ROCPRIM_400000_NS6detail30init_device_scan_by_key_kernelINS1_19lookback_scan_stateINS0_5tupleIJibEEELb1ELb1EEENS1_16block_id_wrapperIjLb1EEEEEvT_jjPNS9_10value_typeET0_.num_agpr, 0
	.set _ZN7rocprim17ROCPRIM_400000_NS6detail30init_device_scan_by_key_kernelINS1_19lookback_scan_stateINS0_5tupleIJibEEELb1ELb1EEENS1_16block_id_wrapperIjLb1EEEEEvT_jjPNS9_10value_typeET0_.numbered_sgpr, 13
	.set _ZN7rocprim17ROCPRIM_400000_NS6detail30init_device_scan_by_key_kernelINS1_19lookback_scan_stateINS0_5tupleIJibEEELb1ELb1EEENS1_16block_id_wrapperIjLb1EEEEEvT_jjPNS9_10value_typeET0_.num_named_barrier, 0
	.set _ZN7rocprim17ROCPRIM_400000_NS6detail30init_device_scan_by_key_kernelINS1_19lookback_scan_stateINS0_5tupleIJibEEELb1ELb1EEENS1_16block_id_wrapperIjLb1EEEEEvT_jjPNS9_10value_typeET0_.private_seg_size, 0
	.set _ZN7rocprim17ROCPRIM_400000_NS6detail30init_device_scan_by_key_kernelINS1_19lookback_scan_stateINS0_5tupleIJibEEELb1ELb1EEENS1_16block_id_wrapperIjLb1EEEEEvT_jjPNS9_10value_typeET0_.uses_vcc, 1
	.set _ZN7rocprim17ROCPRIM_400000_NS6detail30init_device_scan_by_key_kernelINS1_19lookback_scan_stateINS0_5tupleIJibEEELb1ELb1EEENS1_16block_id_wrapperIjLb1EEEEEvT_jjPNS9_10value_typeET0_.uses_flat_scratch, 0
	.set _ZN7rocprim17ROCPRIM_400000_NS6detail30init_device_scan_by_key_kernelINS1_19lookback_scan_stateINS0_5tupleIJibEEELb1ELb1EEENS1_16block_id_wrapperIjLb1EEEEEvT_jjPNS9_10value_typeET0_.has_dyn_sized_stack, 0
	.set _ZN7rocprim17ROCPRIM_400000_NS6detail30init_device_scan_by_key_kernelINS1_19lookback_scan_stateINS0_5tupleIJibEEELb1ELb1EEENS1_16block_id_wrapperIjLb1EEEEEvT_jjPNS9_10value_typeET0_.has_recursion, 0
	.set _ZN7rocprim17ROCPRIM_400000_NS6detail30init_device_scan_by_key_kernelINS1_19lookback_scan_stateINS0_5tupleIJibEEELb1ELb1EEENS1_16block_id_wrapperIjLb1EEEEEvT_jjPNS9_10value_typeET0_.has_indirect_call, 0
	.section	.AMDGPU.csdata,"",@progbits
; Kernel info:
; codeLenInByte = 464
; TotalNumSgprs: 15
; NumVgprs: 9
; ScratchSize: 0
; MemoryBound: 0
; FloatMode: 240
; IeeeMode: 1
; LDSByteSize: 0 bytes/workgroup (compile time only)
; SGPRBlocks: 0
; VGPRBlocks: 0
; NumSGPRsForWavesPerEU: 15
; NumVGPRsForWavesPerEU: 9
; NamedBarCnt: 0
; Occupancy: 16
; WaveLimiterHint : 0
; COMPUTE_PGM_RSRC2:SCRATCH_EN: 0
; COMPUTE_PGM_RSRC2:USER_SGPR: 2
; COMPUTE_PGM_RSRC2:TRAP_HANDLER: 0
; COMPUTE_PGM_RSRC2:TGID_X_EN: 1
; COMPUTE_PGM_RSRC2:TGID_Y_EN: 0
; COMPUTE_PGM_RSRC2:TGID_Z_EN: 0
; COMPUTE_PGM_RSRC2:TIDIG_COMP_CNT: 0
	.section	.text._ZN7rocprim17ROCPRIM_400000_NS6detail17trampoline_kernelINS0_14default_configENS1_27scan_by_key_config_selectorIiiEEZZNS1_16scan_by_key_implILNS1_25lookback_scan_determinismE0ELb0ES3_N6thrust23THRUST_200600_302600_NS18transform_iteratorI9which_rowNS9_17counting_iteratorIiNS9_11use_defaultESD_SD_EESD_SD_EENS9_6detail15normal_iteratorINS9_10device_ptrIiEEEESK_iNS9_4plusIvEENS9_8equal_toIvEEiEE10hipError_tPvRmT2_T3_T4_T5_mT6_T7_P12ihipStream_tbENKUlT_T0_E_clISt17integral_constantIbLb1EES15_EEDaS10_S11_EUlS10_E_NS1_11comp_targetILNS1_3genE0ELNS1_11target_archE4294967295ELNS1_3gpuE0ELNS1_3repE0EEENS1_30default_config_static_selectorELNS0_4arch9wavefront6targetE0EEEvT1_,"axG",@progbits,_ZN7rocprim17ROCPRIM_400000_NS6detail17trampoline_kernelINS0_14default_configENS1_27scan_by_key_config_selectorIiiEEZZNS1_16scan_by_key_implILNS1_25lookback_scan_determinismE0ELb0ES3_N6thrust23THRUST_200600_302600_NS18transform_iteratorI9which_rowNS9_17counting_iteratorIiNS9_11use_defaultESD_SD_EESD_SD_EENS9_6detail15normal_iteratorINS9_10device_ptrIiEEEESK_iNS9_4plusIvEENS9_8equal_toIvEEiEE10hipError_tPvRmT2_T3_T4_T5_mT6_T7_P12ihipStream_tbENKUlT_T0_E_clISt17integral_constantIbLb1EES15_EEDaS10_S11_EUlS10_E_NS1_11comp_targetILNS1_3genE0ELNS1_11target_archE4294967295ELNS1_3gpuE0ELNS1_3repE0EEENS1_30default_config_static_selectorELNS0_4arch9wavefront6targetE0EEEvT1_,comdat
	.protected	_ZN7rocprim17ROCPRIM_400000_NS6detail17trampoline_kernelINS0_14default_configENS1_27scan_by_key_config_selectorIiiEEZZNS1_16scan_by_key_implILNS1_25lookback_scan_determinismE0ELb0ES3_N6thrust23THRUST_200600_302600_NS18transform_iteratorI9which_rowNS9_17counting_iteratorIiNS9_11use_defaultESD_SD_EESD_SD_EENS9_6detail15normal_iteratorINS9_10device_ptrIiEEEESK_iNS9_4plusIvEENS9_8equal_toIvEEiEE10hipError_tPvRmT2_T3_T4_T5_mT6_T7_P12ihipStream_tbENKUlT_T0_E_clISt17integral_constantIbLb1EES15_EEDaS10_S11_EUlS10_E_NS1_11comp_targetILNS1_3genE0ELNS1_11target_archE4294967295ELNS1_3gpuE0ELNS1_3repE0EEENS1_30default_config_static_selectorELNS0_4arch9wavefront6targetE0EEEvT1_ ; -- Begin function _ZN7rocprim17ROCPRIM_400000_NS6detail17trampoline_kernelINS0_14default_configENS1_27scan_by_key_config_selectorIiiEEZZNS1_16scan_by_key_implILNS1_25lookback_scan_determinismE0ELb0ES3_N6thrust23THRUST_200600_302600_NS18transform_iteratorI9which_rowNS9_17counting_iteratorIiNS9_11use_defaultESD_SD_EESD_SD_EENS9_6detail15normal_iteratorINS9_10device_ptrIiEEEESK_iNS9_4plusIvEENS9_8equal_toIvEEiEE10hipError_tPvRmT2_T3_T4_T5_mT6_T7_P12ihipStream_tbENKUlT_T0_E_clISt17integral_constantIbLb1EES15_EEDaS10_S11_EUlS10_E_NS1_11comp_targetILNS1_3genE0ELNS1_11target_archE4294967295ELNS1_3gpuE0ELNS1_3repE0EEENS1_30default_config_static_selectorELNS0_4arch9wavefront6targetE0EEEvT1_
	.globl	_ZN7rocprim17ROCPRIM_400000_NS6detail17trampoline_kernelINS0_14default_configENS1_27scan_by_key_config_selectorIiiEEZZNS1_16scan_by_key_implILNS1_25lookback_scan_determinismE0ELb0ES3_N6thrust23THRUST_200600_302600_NS18transform_iteratorI9which_rowNS9_17counting_iteratorIiNS9_11use_defaultESD_SD_EESD_SD_EENS9_6detail15normal_iteratorINS9_10device_ptrIiEEEESK_iNS9_4plusIvEENS9_8equal_toIvEEiEE10hipError_tPvRmT2_T3_T4_T5_mT6_T7_P12ihipStream_tbENKUlT_T0_E_clISt17integral_constantIbLb1EES15_EEDaS10_S11_EUlS10_E_NS1_11comp_targetILNS1_3genE0ELNS1_11target_archE4294967295ELNS1_3gpuE0ELNS1_3repE0EEENS1_30default_config_static_selectorELNS0_4arch9wavefront6targetE0EEEvT1_
	.p2align	8
	.type	_ZN7rocprim17ROCPRIM_400000_NS6detail17trampoline_kernelINS0_14default_configENS1_27scan_by_key_config_selectorIiiEEZZNS1_16scan_by_key_implILNS1_25lookback_scan_determinismE0ELb0ES3_N6thrust23THRUST_200600_302600_NS18transform_iteratorI9which_rowNS9_17counting_iteratorIiNS9_11use_defaultESD_SD_EESD_SD_EENS9_6detail15normal_iteratorINS9_10device_ptrIiEEEESK_iNS9_4plusIvEENS9_8equal_toIvEEiEE10hipError_tPvRmT2_T3_T4_T5_mT6_T7_P12ihipStream_tbENKUlT_T0_E_clISt17integral_constantIbLb1EES15_EEDaS10_S11_EUlS10_E_NS1_11comp_targetILNS1_3genE0ELNS1_11target_archE4294967295ELNS1_3gpuE0ELNS1_3repE0EEENS1_30default_config_static_selectorELNS0_4arch9wavefront6targetE0EEEvT1_,@function
_ZN7rocprim17ROCPRIM_400000_NS6detail17trampoline_kernelINS0_14default_configENS1_27scan_by_key_config_selectorIiiEEZZNS1_16scan_by_key_implILNS1_25lookback_scan_determinismE0ELb0ES3_N6thrust23THRUST_200600_302600_NS18transform_iteratorI9which_rowNS9_17counting_iteratorIiNS9_11use_defaultESD_SD_EESD_SD_EENS9_6detail15normal_iteratorINS9_10device_ptrIiEEEESK_iNS9_4plusIvEENS9_8equal_toIvEEiEE10hipError_tPvRmT2_T3_T4_T5_mT6_T7_P12ihipStream_tbENKUlT_T0_E_clISt17integral_constantIbLb1EES15_EEDaS10_S11_EUlS10_E_NS1_11comp_targetILNS1_3genE0ELNS1_11target_archE4294967295ELNS1_3gpuE0ELNS1_3repE0EEENS1_30default_config_static_selectorELNS0_4arch9wavefront6targetE0EEEvT1_: ; @_ZN7rocprim17ROCPRIM_400000_NS6detail17trampoline_kernelINS0_14default_configENS1_27scan_by_key_config_selectorIiiEEZZNS1_16scan_by_key_implILNS1_25lookback_scan_determinismE0ELb0ES3_N6thrust23THRUST_200600_302600_NS18transform_iteratorI9which_rowNS9_17counting_iteratorIiNS9_11use_defaultESD_SD_EESD_SD_EENS9_6detail15normal_iteratorINS9_10device_ptrIiEEEESK_iNS9_4plusIvEENS9_8equal_toIvEEiEE10hipError_tPvRmT2_T3_T4_T5_mT6_T7_P12ihipStream_tbENKUlT_T0_E_clISt17integral_constantIbLb1EES15_EEDaS10_S11_EUlS10_E_NS1_11comp_targetILNS1_3genE0ELNS1_11target_archE4294967295ELNS1_3gpuE0ELNS1_3repE0EEENS1_30default_config_static_selectorELNS0_4arch9wavefront6targetE0EEEvT1_
; %bb.0:
	s_endpgm
	.section	.rodata,"a",@progbits
	.p2align	6, 0x0
	.amdhsa_kernel _ZN7rocprim17ROCPRIM_400000_NS6detail17trampoline_kernelINS0_14default_configENS1_27scan_by_key_config_selectorIiiEEZZNS1_16scan_by_key_implILNS1_25lookback_scan_determinismE0ELb0ES3_N6thrust23THRUST_200600_302600_NS18transform_iteratorI9which_rowNS9_17counting_iteratorIiNS9_11use_defaultESD_SD_EESD_SD_EENS9_6detail15normal_iteratorINS9_10device_ptrIiEEEESK_iNS9_4plusIvEENS9_8equal_toIvEEiEE10hipError_tPvRmT2_T3_T4_T5_mT6_T7_P12ihipStream_tbENKUlT_T0_E_clISt17integral_constantIbLb1EES15_EEDaS10_S11_EUlS10_E_NS1_11comp_targetILNS1_3genE0ELNS1_11target_archE4294967295ELNS1_3gpuE0ELNS1_3repE0EEENS1_30default_config_static_selectorELNS0_4arch9wavefront6targetE0EEEvT1_
		.amdhsa_group_segment_fixed_size 0
		.amdhsa_private_segment_fixed_size 0
		.amdhsa_kernarg_size 112
		.amdhsa_user_sgpr_count 2
		.amdhsa_user_sgpr_dispatch_ptr 0
		.amdhsa_user_sgpr_queue_ptr 0
		.amdhsa_user_sgpr_kernarg_segment_ptr 1
		.amdhsa_user_sgpr_dispatch_id 0
		.amdhsa_user_sgpr_kernarg_preload_length 0
		.amdhsa_user_sgpr_kernarg_preload_offset 0
		.amdhsa_user_sgpr_private_segment_size 0
		.amdhsa_wavefront_size32 1
		.amdhsa_uses_dynamic_stack 0
		.amdhsa_enable_private_segment 0
		.amdhsa_system_sgpr_workgroup_id_x 1
		.amdhsa_system_sgpr_workgroup_id_y 0
		.amdhsa_system_sgpr_workgroup_id_z 0
		.amdhsa_system_sgpr_workgroup_info 0
		.amdhsa_system_vgpr_workitem_id 0
		.amdhsa_next_free_vgpr 1
		.amdhsa_next_free_sgpr 1
		.amdhsa_named_barrier_count 0
		.amdhsa_reserve_vcc 0
		.amdhsa_float_round_mode_32 0
		.amdhsa_float_round_mode_16_64 0
		.amdhsa_float_denorm_mode_32 3
		.amdhsa_float_denorm_mode_16_64 3
		.amdhsa_fp16_overflow 0
		.amdhsa_memory_ordered 1
		.amdhsa_forward_progress 1
		.amdhsa_inst_pref_size 1
		.amdhsa_round_robin_scheduling 0
		.amdhsa_exception_fp_ieee_invalid_op 0
		.amdhsa_exception_fp_denorm_src 0
		.amdhsa_exception_fp_ieee_div_zero 0
		.amdhsa_exception_fp_ieee_overflow 0
		.amdhsa_exception_fp_ieee_underflow 0
		.amdhsa_exception_fp_ieee_inexact 0
		.amdhsa_exception_int_div_zero 0
	.end_amdhsa_kernel
	.section	.text._ZN7rocprim17ROCPRIM_400000_NS6detail17trampoline_kernelINS0_14default_configENS1_27scan_by_key_config_selectorIiiEEZZNS1_16scan_by_key_implILNS1_25lookback_scan_determinismE0ELb0ES3_N6thrust23THRUST_200600_302600_NS18transform_iteratorI9which_rowNS9_17counting_iteratorIiNS9_11use_defaultESD_SD_EESD_SD_EENS9_6detail15normal_iteratorINS9_10device_ptrIiEEEESK_iNS9_4plusIvEENS9_8equal_toIvEEiEE10hipError_tPvRmT2_T3_T4_T5_mT6_T7_P12ihipStream_tbENKUlT_T0_E_clISt17integral_constantIbLb1EES15_EEDaS10_S11_EUlS10_E_NS1_11comp_targetILNS1_3genE0ELNS1_11target_archE4294967295ELNS1_3gpuE0ELNS1_3repE0EEENS1_30default_config_static_selectorELNS0_4arch9wavefront6targetE0EEEvT1_,"axG",@progbits,_ZN7rocprim17ROCPRIM_400000_NS6detail17trampoline_kernelINS0_14default_configENS1_27scan_by_key_config_selectorIiiEEZZNS1_16scan_by_key_implILNS1_25lookback_scan_determinismE0ELb0ES3_N6thrust23THRUST_200600_302600_NS18transform_iteratorI9which_rowNS9_17counting_iteratorIiNS9_11use_defaultESD_SD_EESD_SD_EENS9_6detail15normal_iteratorINS9_10device_ptrIiEEEESK_iNS9_4plusIvEENS9_8equal_toIvEEiEE10hipError_tPvRmT2_T3_T4_T5_mT6_T7_P12ihipStream_tbENKUlT_T0_E_clISt17integral_constantIbLb1EES15_EEDaS10_S11_EUlS10_E_NS1_11comp_targetILNS1_3genE0ELNS1_11target_archE4294967295ELNS1_3gpuE0ELNS1_3repE0EEENS1_30default_config_static_selectorELNS0_4arch9wavefront6targetE0EEEvT1_,comdat
.Lfunc_end97:
	.size	_ZN7rocprim17ROCPRIM_400000_NS6detail17trampoline_kernelINS0_14default_configENS1_27scan_by_key_config_selectorIiiEEZZNS1_16scan_by_key_implILNS1_25lookback_scan_determinismE0ELb0ES3_N6thrust23THRUST_200600_302600_NS18transform_iteratorI9which_rowNS9_17counting_iteratorIiNS9_11use_defaultESD_SD_EESD_SD_EENS9_6detail15normal_iteratorINS9_10device_ptrIiEEEESK_iNS9_4plusIvEENS9_8equal_toIvEEiEE10hipError_tPvRmT2_T3_T4_T5_mT6_T7_P12ihipStream_tbENKUlT_T0_E_clISt17integral_constantIbLb1EES15_EEDaS10_S11_EUlS10_E_NS1_11comp_targetILNS1_3genE0ELNS1_11target_archE4294967295ELNS1_3gpuE0ELNS1_3repE0EEENS1_30default_config_static_selectorELNS0_4arch9wavefront6targetE0EEEvT1_, .Lfunc_end97-_ZN7rocprim17ROCPRIM_400000_NS6detail17trampoline_kernelINS0_14default_configENS1_27scan_by_key_config_selectorIiiEEZZNS1_16scan_by_key_implILNS1_25lookback_scan_determinismE0ELb0ES3_N6thrust23THRUST_200600_302600_NS18transform_iteratorI9which_rowNS9_17counting_iteratorIiNS9_11use_defaultESD_SD_EESD_SD_EENS9_6detail15normal_iteratorINS9_10device_ptrIiEEEESK_iNS9_4plusIvEENS9_8equal_toIvEEiEE10hipError_tPvRmT2_T3_T4_T5_mT6_T7_P12ihipStream_tbENKUlT_T0_E_clISt17integral_constantIbLb1EES15_EEDaS10_S11_EUlS10_E_NS1_11comp_targetILNS1_3genE0ELNS1_11target_archE4294967295ELNS1_3gpuE0ELNS1_3repE0EEENS1_30default_config_static_selectorELNS0_4arch9wavefront6targetE0EEEvT1_
                                        ; -- End function
	.set _ZN7rocprim17ROCPRIM_400000_NS6detail17trampoline_kernelINS0_14default_configENS1_27scan_by_key_config_selectorIiiEEZZNS1_16scan_by_key_implILNS1_25lookback_scan_determinismE0ELb0ES3_N6thrust23THRUST_200600_302600_NS18transform_iteratorI9which_rowNS9_17counting_iteratorIiNS9_11use_defaultESD_SD_EESD_SD_EENS9_6detail15normal_iteratorINS9_10device_ptrIiEEEESK_iNS9_4plusIvEENS9_8equal_toIvEEiEE10hipError_tPvRmT2_T3_T4_T5_mT6_T7_P12ihipStream_tbENKUlT_T0_E_clISt17integral_constantIbLb1EES15_EEDaS10_S11_EUlS10_E_NS1_11comp_targetILNS1_3genE0ELNS1_11target_archE4294967295ELNS1_3gpuE0ELNS1_3repE0EEENS1_30default_config_static_selectorELNS0_4arch9wavefront6targetE0EEEvT1_.num_vgpr, 0
	.set _ZN7rocprim17ROCPRIM_400000_NS6detail17trampoline_kernelINS0_14default_configENS1_27scan_by_key_config_selectorIiiEEZZNS1_16scan_by_key_implILNS1_25lookback_scan_determinismE0ELb0ES3_N6thrust23THRUST_200600_302600_NS18transform_iteratorI9which_rowNS9_17counting_iteratorIiNS9_11use_defaultESD_SD_EESD_SD_EENS9_6detail15normal_iteratorINS9_10device_ptrIiEEEESK_iNS9_4plusIvEENS9_8equal_toIvEEiEE10hipError_tPvRmT2_T3_T4_T5_mT6_T7_P12ihipStream_tbENKUlT_T0_E_clISt17integral_constantIbLb1EES15_EEDaS10_S11_EUlS10_E_NS1_11comp_targetILNS1_3genE0ELNS1_11target_archE4294967295ELNS1_3gpuE0ELNS1_3repE0EEENS1_30default_config_static_selectorELNS0_4arch9wavefront6targetE0EEEvT1_.num_agpr, 0
	.set _ZN7rocprim17ROCPRIM_400000_NS6detail17trampoline_kernelINS0_14default_configENS1_27scan_by_key_config_selectorIiiEEZZNS1_16scan_by_key_implILNS1_25lookback_scan_determinismE0ELb0ES3_N6thrust23THRUST_200600_302600_NS18transform_iteratorI9which_rowNS9_17counting_iteratorIiNS9_11use_defaultESD_SD_EESD_SD_EENS9_6detail15normal_iteratorINS9_10device_ptrIiEEEESK_iNS9_4plusIvEENS9_8equal_toIvEEiEE10hipError_tPvRmT2_T3_T4_T5_mT6_T7_P12ihipStream_tbENKUlT_T0_E_clISt17integral_constantIbLb1EES15_EEDaS10_S11_EUlS10_E_NS1_11comp_targetILNS1_3genE0ELNS1_11target_archE4294967295ELNS1_3gpuE0ELNS1_3repE0EEENS1_30default_config_static_selectorELNS0_4arch9wavefront6targetE0EEEvT1_.numbered_sgpr, 0
	.set _ZN7rocprim17ROCPRIM_400000_NS6detail17trampoline_kernelINS0_14default_configENS1_27scan_by_key_config_selectorIiiEEZZNS1_16scan_by_key_implILNS1_25lookback_scan_determinismE0ELb0ES3_N6thrust23THRUST_200600_302600_NS18transform_iteratorI9which_rowNS9_17counting_iteratorIiNS9_11use_defaultESD_SD_EESD_SD_EENS9_6detail15normal_iteratorINS9_10device_ptrIiEEEESK_iNS9_4plusIvEENS9_8equal_toIvEEiEE10hipError_tPvRmT2_T3_T4_T5_mT6_T7_P12ihipStream_tbENKUlT_T0_E_clISt17integral_constantIbLb1EES15_EEDaS10_S11_EUlS10_E_NS1_11comp_targetILNS1_3genE0ELNS1_11target_archE4294967295ELNS1_3gpuE0ELNS1_3repE0EEENS1_30default_config_static_selectorELNS0_4arch9wavefront6targetE0EEEvT1_.num_named_barrier, 0
	.set _ZN7rocprim17ROCPRIM_400000_NS6detail17trampoline_kernelINS0_14default_configENS1_27scan_by_key_config_selectorIiiEEZZNS1_16scan_by_key_implILNS1_25lookback_scan_determinismE0ELb0ES3_N6thrust23THRUST_200600_302600_NS18transform_iteratorI9which_rowNS9_17counting_iteratorIiNS9_11use_defaultESD_SD_EESD_SD_EENS9_6detail15normal_iteratorINS9_10device_ptrIiEEEESK_iNS9_4plusIvEENS9_8equal_toIvEEiEE10hipError_tPvRmT2_T3_T4_T5_mT6_T7_P12ihipStream_tbENKUlT_T0_E_clISt17integral_constantIbLb1EES15_EEDaS10_S11_EUlS10_E_NS1_11comp_targetILNS1_3genE0ELNS1_11target_archE4294967295ELNS1_3gpuE0ELNS1_3repE0EEENS1_30default_config_static_selectorELNS0_4arch9wavefront6targetE0EEEvT1_.private_seg_size, 0
	.set _ZN7rocprim17ROCPRIM_400000_NS6detail17trampoline_kernelINS0_14default_configENS1_27scan_by_key_config_selectorIiiEEZZNS1_16scan_by_key_implILNS1_25lookback_scan_determinismE0ELb0ES3_N6thrust23THRUST_200600_302600_NS18transform_iteratorI9which_rowNS9_17counting_iteratorIiNS9_11use_defaultESD_SD_EESD_SD_EENS9_6detail15normal_iteratorINS9_10device_ptrIiEEEESK_iNS9_4plusIvEENS9_8equal_toIvEEiEE10hipError_tPvRmT2_T3_T4_T5_mT6_T7_P12ihipStream_tbENKUlT_T0_E_clISt17integral_constantIbLb1EES15_EEDaS10_S11_EUlS10_E_NS1_11comp_targetILNS1_3genE0ELNS1_11target_archE4294967295ELNS1_3gpuE0ELNS1_3repE0EEENS1_30default_config_static_selectorELNS0_4arch9wavefront6targetE0EEEvT1_.uses_vcc, 0
	.set _ZN7rocprim17ROCPRIM_400000_NS6detail17trampoline_kernelINS0_14default_configENS1_27scan_by_key_config_selectorIiiEEZZNS1_16scan_by_key_implILNS1_25lookback_scan_determinismE0ELb0ES3_N6thrust23THRUST_200600_302600_NS18transform_iteratorI9which_rowNS9_17counting_iteratorIiNS9_11use_defaultESD_SD_EESD_SD_EENS9_6detail15normal_iteratorINS9_10device_ptrIiEEEESK_iNS9_4plusIvEENS9_8equal_toIvEEiEE10hipError_tPvRmT2_T3_T4_T5_mT6_T7_P12ihipStream_tbENKUlT_T0_E_clISt17integral_constantIbLb1EES15_EEDaS10_S11_EUlS10_E_NS1_11comp_targetILNS1_3genE0ELNS1_11target_archE4294967295ELNS1_3gpuE0ELNS1_3repE0EEENS1_30default_config_static_selectorELNS0_4arch9wavefront6targetE0EEEvT1_.uses_flat_scratch, 0
	.set _ZN7rocprim17ROCPRIM_400000_NS6detail17trampoline_kernelINS0_14default_configENS1_27scan_by_key_config_selectorIiiEEZZNS1_16scan_by_key_implILNS1_25lookback_scan_determinismE0ELb0ES3_N6thrust23THRUST_200600_302600_NS18transform_iteratorI9which_rowNS9_17counting_iteratorIiNS9_11use_defaultESD_SD_EESD_SD_EENS9_6detail15normal_iteratorINS9_10device_ptrIiEEEESK_iNS9_4plusIvEENS9_8equal_toIvEEiEE10hipError_tPvRmT2_T3_T4_T5_mT6_T7_P12ihipStream_tbENKUlT_T0_E_clISt17integral_constantIbLb1EES15_EEDaS10_S11_EUlS10_E_NS1_11comp_targetILNS1_3genE0ELNS1_11target_archE4294967295ELNS1_3gpuE0ELNS1_3repE0EEENS1_30default_config_static_selectorELNS0_4arch9wavefront6targetE0EEEvT1_.has_dyn_sized_stack, 0
	.set _ZN7rocprim17ROCPRIM_400000_NS6detail17trampoline_kernelINS0_14default_configENS1_27scan_by_key_config_selectorIiiEEZZNS1_16scan_by_key_implILNS1_25lookback_scan_determinismE0ELb0ES3_N6thrust23THRUST_200600_302600_NS18transform_iteratorI9which_rowNS9_17counting_iteratorIiNS9_11use_defaultESD_SD_EESD_SD_EENS9_6detail15normal_iteratorINS9_10device_ptrIiEEEESK_iNS9_4plusIvEENS9_8equal_toIvEEiEE10hipError_tPvRmT2_T3_T4_T5_mT6_T7_P12ihipStream_tbENKUlT_T0_E_clISt17integral_constantIbLb1EES15_EEDaS10_S11_EUlS10_E_NS1_11comp_targetILNS1_3genE0ELNS1_11target_archE4294967295ELNS1_3gpuE0ELNS1_3repE0EEENS1_30default_config_static_selectorELNS0_4arch9wavefront6targetE0EEEvT1_.has_recursion, 0
	.set _ZN7rocprim17ROCPRIM_400000_NS6detail17trampoline_kernelINS0_14default_configENS1_27scan_by_key_config_selectorIiiEEZZNS1_16scan_by_key_implILNS1_25lookback_scan_determinismE0ELb0ES3_N6thrust23THRUST_200600_302600_NS18transform_iteratorI9which_rowNS9_17counting_iteratorIiNS9_11use_defaultESD_SD_EESD_SD_EENS9_6detail15normal_iteratorINS9_10device_ptrIiEEEESK_iNS9_4plusIvEENS9_8equal_toIvEEiEE10hipError_tPvRmT2_T3_T4_T5_mT6_T7_P12ihipStream_tbENKUlT_T0_E_clISt17integral_constantIbLb1EES15_EEDaS10_S11_EUlS10_E_NS1_11comp_targetILNS1_3genE0ELNS1_11target_archE4294967295ELNS1_3gpuE0ELNS1_3repE0EEENS1_30default_config_static_selectorELNS0_4arch9wavefront6targetE0EEEvT1_.has_indirect_call, 0
	.section	.AMDGPU.csdata,"",@progbits
; Kernel info:
; codeLenInByte = 4
; TotalNumSgprs: 0
; NumVgprs: 0
; ScratchSize: 0
; MemoryBound: 0
; FloatMode: 240
; IeeeMode: 1
; LDSByteSize: 0 bytes/workgroup (compile time only)
; SGPRBlocks: 0
; VGPRBlocks: 0
; NumSGPRsForWavesPerEU: 1
; NumVGPRsForWavesPerEU: 1
; NamedBarCnt: 0
; Occupancy: 16
; WaveLimiterHint : 0
; COMPUTE_PGM_RSRC2:SCRATCH_EN: 0
; COMPUTE_PGM_RSRC2:USER_SGPR: 2
; COMPUTE_PGM_RSRC2:TRAP_HANDLER: 0
; COMPUTE_PGM_RSRC2:TGID_X_EN: 1
; COMPUTE_PGM_RSRC2:TGID_Y_EN: 0
; COMPUTE_PGM_RSRC2:TGID_Z_EN: 0
; COMPUTE_PGM_RSRC2:TIDIG_COMP_CNT: 0
	.section	.text._ZN7rocprim17ROCPRIM_400000_NS6detail17trampoline_kernelINS0_14default_configENS1_27scan_by_key_config_selectorIiiEEZZNS1_16scan_by_key_implILNS1_25lookback_scan_determinismE0ELb0ES3_N6thrust23THRUST_200600_302600_NS18transform_iteratorI9which_rowNS9_17counting_iteratorIiNS9_11use_defaultESD_SD_EESD_SD_EENS9_6detail15normal_iteratorINS9_10device_ptrIiEEEESK_iNS9_4plusIvEENS9_8equal_toIvEEiEE10hipError_tPvRmT2_T3_T4_T5_mT6_T7_P12ihipStream_tbENKUlT_T0_E_clISt17integral_constantIbLb1EES15_EEDaS10_S11_EUlS10_E_NS1_11comp_targetILNS1_3genE10ELNS1_11target_archE1201ELNS1_3gpuE5ELNS1_3repE0EEENS1_30default_config_static_selectorELNS0_4arch9wavefront6targetE0EEEvT1_,"axG",@progbits,_ZN7rocprim17ROCPRIM_400000_NS6detail17trampoline_kernelINS0_14default_configENS1_27scan_by_key_config_selectorIiiEEZZNS1_16scan_by_key_implILNS1_25lookback_scan_determinismE0ELb0ES3_N6thrust23THRUST_200600_302600_NS18transform_iteratorI9which_rowNS9_17counting_iteratorIiNS9_11use_defaultESD_SD_EESD_SD_EENS9_6detail15normal_iteratorINS9_10device_ptrIiEEEESK_iNS9_4plusIvEENS9_8equal_toIvEEiEE10hipError_tPvRmT2_T3_T4_T5_mT6_T7_P12ihipStream_tbENKUlT_T0_E_clISt17integral_constantIbLb1EES15_EEDaS10_S11_EUlS10_E_NS1_11comp_targetILNS1_3genE10ELNS1_11target_archE1201ELNS1_3gpuE5ELNS1_3repE0EEENS1_30default_config_static_selectorELNS0_4arch9wavefront6targetE0EEEvT1_,comdat
	.protected	_ZN7rocprim17ROCPRIM_400000_NS6detail17trampoline_kernelINS0_14default_configENS1_27scan_by_key_config_selectorIiiEEZZNS1_16scan_by_key_implILNS1_25lookback_scan_determinismE0ELb0ES3_N6thrust23THRUST_200600_302600_NS18transform_iteratorI9which_rowNS9_17counting_iteratorIiNS9_11use_defaultESD_SD_EESD_SD_EENS9_6detail15normal_iteratorINS9_10device_ptrIiEEEESK_iNS9_4plusIvEENS9_8equal_toIvEEiEE10hipError_tPvRmT2_T3_T4_T5_mT6_T7_P12ihipStream_tbENKUlT_T0_E_clISt17integral_constantIbLb1EES15_EEDaS10_S11_EUlS10_E_NS1_11comp_targetILNS1_3genE10ELNS1_11target_archE1201ELNS1_3gpuE5ELNS1_3repE0EEENS1_30default_config_static_selectorELNS0_4arch9wavefront6targetE0EEEvT1_ ; -- Begin function _ZN7rocprim17ROCPRIM_400000_NS6detail17trampoline_kernelINS0_14default_configENS1_27scan_by_key_config_selectorIiiEEZZNS1_16scan_by_key_implILNS1_25lookback_scan_determinismE0ELb0ES3_N6thrust23THRUST_200600_302600_NS18transform_iteratorI9which_rowNS9_17counting_iteratorIiNS9_11use_defaultESD_SD_EESD_SD_EENS9_6detail15normal_iteratorINS9_10device_ptrIiEEEESK_iNS9_4plusIvEENS9_8equal_toIvEEiEE10hipError_tPvRmT2_T3_T4_T5_mT6_T7_P12ihipStream_tbENKUlT_T0_E_clISt17integral_constantIbLb1EES15_EEDaS10_S11_EUlS10_E_NS1_11comp_targetILNS1_3genE10ELNS1_11target_archE1201ELNS1_3gpuE5ELNS1_3repE0EEENS1_30default_config_static_selectorELNS0_4arch9wavefront6targetE0EEEvT1_
	.globl	_ZN7rocprim17ROCPRIM_400000_NS6detail17trampoline_kernelINS0_14default_configENS1_27scan_by_key_config_selectorIiiEEZZNS1_16scan_by_key_implILNS1_25lookback_scan_determinismE0ELb0ES3_N6thrust23THRUST_200600_302600_NS18transform_iteratorI9which_rowNS9_17counting_iteratorIiNS9_11use_defaultESD_SD_EESD_SD_EENS9_6detail15normal_iteratorINS9_10device_ptrIiEEEESK_iNS9_4plusIvEENS9_8equal_toIvEEiEE10hipError_tPvRmT2_T3_T4_T5_mT6_T7_P12ihipStream_tbENKUlT_T0_E_clISt17integral_constantIbLb1EES15_EEDaS10_S11_EUlS10_E_NS1_11comp_targetILNS1_3genE10ELNS1_11target_archE1201ELNS1_3gpuE5ELNS1_3repE0EEENS1_30default_config_static_selectorELNS0_4arch9wavefront6targetE0EEEvT1_
	.p2align	8
	.type	_ZN7rocprim17ROCPRIM_400000_NS6detail17trampoline_kernelINS0_14default_configENS1_27scan_by_key_config_selectorIiiEEZZNS1_16scan_by_key_implILNS1_25lookback_scan_determinismE0ELb0ES3_N6thrust23THRUST_200600_302600_NS18transform_iteratorI9which_rowNS9_17counting_iteratorIiNS9_11use_defaultESD_SD_EESD_SD_EENS9_6detail15normal_iteratorINS9_10device_ptrIiEEEESK_iNS9_4plusIvEENS9_8equal_toIvEEiEE10hipError_tPvRmT2_T3_T4_T5_mT6_T7_P12ihipStream_tbENKUlT_T0_E_clISt17integral_constantIbLb1EES15_EEDaS10_S11_EUlS10_E_NS1_11comp_targetILNS1_3genE10ELNS1_11target_archE1201ELNS1_3gpuE5ELNS1_3repE0EEENS1_30default_config_static_selectorELNS0_4arch9wavefront6targetE0EEEvT1_,@function
_ZN7rocprim17ROCPRIM_400000_NS6detail17trampoline_kernelINS0_14default_configENS1_27scan_by_key_config_selectorIiiEEZZNS1_16scan_by_key_implILNS1_25lookback_scan_determinismE0ELb0ES3_N6thrust23THRUST_200600_302600_NS18transform_iteratorI9which_rowNS9_17counting_iteratorIiNS9_11use_defaultESD_SD_EESD_SD_EENS9_6detail15normal_iteratorINS9_10device_ptrIiEEEESK_iNS9_4plusIvEENS9_8equal_toIvEEiEE10hipError_tPvRmT2_T3_T4_T5_mT6_T7_P12ihipStream_tbENKUlT_T0_E_clISt17integral_constantIbLb1EES15_EEDaS10_S11_EUlS10_E_NS1_11comp_targetILNS1_3genE10ELNS1_11target_archE1201ELNS1_3gpuE5ELNS1_3repE0EEENS1_30default_config_static_selectorELNS0_4arch9wavefront6targetE0EEEvT1_: ; @_ZN7rocprim17ROCPRIM_400000_NS6detail17trampoline_kernelINS0_14default_configENS1_27scan_by_key_config_selectorIiiEEZZNS1_16scan_by_key_implILNS1_25lookback_scan_determinismE0ELb0ES3_N6thrust23THRUST_200600_302600_NS18transform_iteratorI9which_rowNS9_17counting_iteratorIiNS9_11use_defaultESD_SD_EESD_SD_EENS9_6detail15normal_iteratorINS9_10device_ptrIiEEEESK_iNS9_4plusIvEENS9_8equal_toIvEEiEE10hipError_tPvRmT2_T3_T4_T5_mT6_T7_P12ihipStream_tbENKUlT_T0_E_clISt17integral_constantIbLb1EES15_EEDaS10_S11_EUlS10_E_NS1_11comp_targetILNS1_3genE10ELNS1_11target_archE1201ELNS1_3gpuE5ELNS1_3repE0EEENS1_30default_config_static_selectorELNS0_4arch9wavefront6targetE0EEEvT1_
; %bb.0:
	.section	.rodata,"a",@progbits
	.p2align	6, 0x0
	.amdhsa_kernel _ZN7rocprim17ROCPRIM_400000_NS6detail17trampoline_kernelINS0_14default_configENS1_27scan_by_key_config_selectorIiiEEZZNS1_16scan_by_key_implILNS1_25lookback_scan_determinismE0ELb0ES3_N6thrust23THRUST_200600_302600_NS18transform_iteratorI9which_rowNS9_17counting_iteratorIiNS9_11use_defaultESD_SD_EESD_SD_EENS9_6detail15normal_iteratorINS9_10device_ptrIiEEEESK_iNS9_4plusIvEENS9_8equal_toIvEEiEE10hipError_tPvRmT2_T3_T4_T5_mT6_T7_P12ihipStream_tbENKUlT_T0_E_clISt17integral_constantIbLb1EES15_EEDaS10_S11_EUlS10_E_NS1_11comp_targetILNS1_3genE10ELNS1_11target_archE1201ELNS1_3gpuE5ELNS1_3repE0EEENS1_30default_config_static_selectorELNS0_4arch9wavefront6targetE0EEEvT1_
		.amdhsa_group_segment_fixed_size 0
		.amdhsa_private_segment_fixed_size 0
		.amdhsa_kernarg_size 112
		.amdhsa_user_sgpr_count 2
		.amdhsa_user_sgpr_dispatch_ptr 0
		.amdhsa_user_sgpr_queue_ptr 0
		.amdhsa_user_sgpr_kernarg_segment_ptr 1
		.amdhsa_user_sgpr_dispatch_id 0
		.amdhsa_user_sgpr_kernarg_preload_length 0
		.amdhsa_user_sgpr_kernarg_preload_offset 0
		.amdhsa_user_sgpr_private_segment_size 0
		.amdhsa_wavefront_size32 1
		.amdhsa_uses_dynamic_stack 0
		.amdhsa_enable_private_segment 0
		.amdhsa_system_sgpr_workgroup_id_x 1
		.amdhsa_system_sgpr_workgroup_id_y 0
		.amdhsa_system_sgpr_workgroup_id_z 0
		.amdhsa_system_sgpr_workgroup_info 0
		.amdhsa_system_vgpr_workitem_id 0
		.amdhsa_next_free_vgpr 1
		.amdhsa_next_free_sgpr 1
		.amdhsa_named_barrier_count 0
		.amdhsa_reserve_vcc 0
		.amdhsa_float_round_mode_32 0
		.amdhsa_float_round_mode_16_64 0
		.amdhsa_float_denorm_mode_32 3
		.amdhsa_float_denorm_mode_16_64 3
		.amdhsa_fp16_overflow 0
		.amdhsa_memory_ordered 1
		.amdhsa_forward_progress 1
		.amdhsa_inst_pref_size 0
		.amdhsa_round_robin_scheduling 0
		.amdhsa_exception_fp_ieee_invalid_op 0
		.amdhsa_exception_fp_denorm_src 0
		.amdhsa_exception_fp_ieee_div_zero 0
		.amdhsa_exception_fp_ieee_overflow 0
		.amdhsa_exception_fp_ieee_underflow 0
		.amdhsa_exception_fp_ieee_inexact 0
		.amdhsa_exception_int_div_zero 0
	.end_amdhsa_kernel
	.section	.text._ZN7rocprim17ROCPRIM_400000_NS6detail17trampoline_kernelINS0_14default_configENS1_27scan_by_key_config_selectorIiiEEZZNS1_16scan_by_key_implILNS1_25lookback_scan_determinismE0ELb0ES3_N6thrust23THRUST_200600_302600_NS18transform_iteratorI9which_rowNS9_17counting_iteratorIiNS9_11use_defaultESD_SD_EESD_SD_EENS9_6detail15normal_iteratorINS9_10device_ptrIiEEEESK_iNS9_4plusIvEENS9_8equal_toIvEEiEE10hipError_tPvRmT2_T3_T4_T5_mT6_T7_P12ihipStream_tbENKUlT_T0_E_clISt17integral_constantIbLb1EES15_EEDaS10_S11_EUlS10_E_NS1_11comp_targetILNS1_3genE10ELNS1_11target_archE1201ELNS1_3gpuE5ELNS1_3repE0EEENS1_30default_config_static_selectorELNS0_4arch9wavefront6targetE0EEEvT1_,"axG",@progbits,_ZN7rocprim17ROCPRIM_400000_NS6detail17trampoline_kernelINS0_14default_configENS1_27scan_by_key_config_selectorIiiEEZZNS1_16scan_by_key_implILNS1_25lookback_scan_determinismE0ELb0ES3_N6thrust23THRUST_200600_302600_NS18transform_iteratorI9which_rowNS9_17counting_iteratorIiNS9_11use_defaultESD_SD_EESD_SD_EENS9_6detail15normal_iteratorINS9_10device_ptrIiEEEESK_iNS9_4plusIvEENS9_8equal_toIvEEiEE10hipError_tPvRmT2_T3_T4_T5_mT6_T7_P12ihipStream_tbENKUlT_T0_E_clISt17integral_constantIbLb1EES15_EEDaS10_S11_EUlS10_E_NS1_11comp_targetILNS1_3genE10ELNS1_11target_archE1201ELNS1_3gpuE5ELNS1_3repE0EEENS1_30default_config_static_selectorELNS0_4arch9wavefront6targetE0EEEvT1_,comdat
.Lfunc_end98:
	.size	_ZN7rocprim17ROCPRIM_400000_NS6detail17trampoline_kernelINS0_14default_configENS1_27scan_by_key_config_selectorIiiEEZZNS1_16scan_by_key_implILNS1_25lookback_scan_determinismE0ELb0ES3_N6thrust23THRUST_200600_302600_NS18transform_iteratorI9which_rowNS9_17counting_iteratorIiNS9_11use_defaultESD_SD_EESD_SD_EENS9_6detail15normal_iteratorINS9_10device_ptrIiEEEESK_iNS9_4plusIvEENS9_8equal_toIvEEiEE10hipError_tPvRmT2_T3_T4_T5_mT6_T7_P12ihipStream_tbENKUlT_T0_E_clISt17integral_constantIbLb1EES15_EEDaS10_S11_EUlS10_E_NS1_11comp_targetILNS1_3genE10ELNS1_11target_archE1201ELNS1_3gpuE5ELNS1_3repE0EEENS1_30default_config_static_selectorELNS0_4arch9wavefront6targetE0EEEvT1_, .Lfunc_end98-_ZN7rocprim17ROCPRIM_400000_NS6detail17trampoline_kernelINS0_14default_configENS1_27scan_by_key_config_selectorIiiEEZZNS1_16scan_by_key_implILNS1_25lookback_scan_determinismE0ELb0ES3_N6thrust23THRUST_200600_302600_NS18transform_iteratorI9which_rowNS9_17counting_iteratorIiNS9_11use_defaultESD_SD_EESD_SD_EENS9_6detail15normal_iteratorINS9_10device_ptrIiEEEESK_iNS9_4plusIvEENS9_8equal_toIvEEiEE10hipError_tPvRmT2_T3_T4_T5_mT6_T7_P12ihipStream_tbENKUlT_T0_E_clISt17integral_constantIbLb1EES15_EEDaS10_S11_EUlS10_E_NS1_11comp_targetILNS1_3genE10ELNS1_11target_archE1201ELNS1_3gpuE5ELNS1_3repE0EEENS1_30default_config_static_selectorELNS0_4arch9wavefront6targetE0EEEvT1_
                                        ; -- End function
	.set _ZN7rocprim17ROCPRIM_400000_NS6detail17trampoline_kernelINS0_14default_configENS1_27scan_by_key_config_selectorIiiEEZZNS1_16scan_by_key_implILNS1_25lookback_scan_determinismE0ELb0ES3_N6thrust23THRUST_200600_302600_NS18transform_iteratorI9which_rowNS9_17counting_iteratorIiNS9_11use_defaultESD_SD_EESD_SD_EENS9_6detail15normal_iteratorINS9_10device_ptrIiEEEESK_iNS9_4plusIvEENS9_8equal_toIvEEiEE10hipError_tPvRmT2_T3_T4_T5_mT6_T7_P12ihipStream_tbENKUlT_T0_E_clISt17integral_constantIbLb1EES15_EEDaS10_S11_EUlS10_E_NS1_11comp_targetILNS1_3genE10ELNS1_11target_archE1201ELNS1_3gpuE5ELNS1_3repE0EEENS1_30default_config_static_selectorELNS0_4arch9wavefront6targetE0EEEvT1_.num_vgpr, 0
	.set _ZN7rocprim17ROCPRIM_400000_NS6detail17trampoline_kernelINS0_14default_configENS1_27scan_by_key_config_selectorIiiEEZZNS1_16scan_by_key_implILNS1_25lookback_scan_determinismE0ELb0ES3_N6thrust23THRUST_200600_302600_NS18transform_iteratorI9which_rowNS9_17counting_iteratorIiNS9_11use_defaultESD_SD_EESD_SD_EENS9_6detail15normal_iteratorINS9_10device_ptrIiEEEESK_iNS9_4plusIvEENS9_8equal_toIvEEiEE10hipError_tPvRmT2_T3_T4_T5_mT6_T7_P12ihipStream_tbENKUlT_T0_E_clISt17integral_constantIbLb1EES15_EEDaS10_S11_EUlS10_E_NS1_11comp_targetILNS1_3genE10ELNS1_11target_archE1201ELNS1_3gpuE5ELNS1_3repE0EEENS1_30default_config_static_selectorELNS0_4arch9wavefront6targetE0EEEvT1_.num_agpr, 0
	.set _ZN7rocprim17ROCPRIM_400000_NS6detail17trampoline_kernelINS0_14default_configENS1_27scan_by_key_config_selectorIiiEEZZNS1_16scan_by_key_implILNS1_25lookback_scan_determinismE0ELb0ES3_N6thrust23THRUST_200600_302600_NS18transform_iteratorI9which_rowNS9_17counting_iteratorIiNS9_11use_defaultESD_SD_EESD_SD_EENS9_6detail15normal_iteratorINS9_10device_ptrIiEEEESK_iNS9_4plusIvEENS9_8equal_toIvEEiEE10hipError_tPvRmT2_T3_T4_T5_mT6_T7_P12ihipStream_tbENKUlT_T0_E_clISt17integral_constantIbLb1EES15_EEDaS10_S11_EUlS10_E_NS1_11comp_targetILNS1_3genE10ELNS1_11target_archE1201ELNS1_3gpuE5ELNS1_3repE0EEENS1_30default_config_static_selectorELNS0_4arch9wavefront6targetE0EEEvT1_.numbered_sgpr, 0
	.set _ZN7rocprim17ROCPRIM_400000_NS6detail17trampoline_kernelINS0_14default_configENS1_27scan_by_key_config_selectorIiiEEZZNS1_16scan_by_key_implILNS1_25lookback_scan_determinismE0ELb0ES3_N6thrust23THRUST_200600_302600_NS18transform_iteratorI9which_rowNS9_17counting_iteratorIiNS9_11use_defaultESD_SD_EESD_SD_EENS9_6detail15normal_iteratorINS9_10device_ptrIiEEEESK_iNS9_4plusIvEENS9_8equal_toIvEEiEE10hipError_tPvRmT2_T3_T4_T5_mT6_T7_P12ihipStream_tbENKUlT_T0_E_clISt17integral_constantIbLb1EES15_EEDaS10_S11_EUlS10_E_NS1_11comp_targetILNS1_3genE10ELNS1_11target_archE1201ELNS1_3gpuE5ELNS1_3repE0EEENS1_30default_config_static_selectorELNS0_4arch9wavefront6targetE0EEEvT1_.num_named_barrier, 0
	.set _ZN7rocprim17ROCPRIM_400000_NS6detail17trampoline_kernelINS0_14default_configENS1_27scan_by_key_config_selectorIiiEEZZNS1_16scan_by_key_implILNS1_25lookback_scan_determinismE0ELb0ES3_N6thrust23THRUST_200600_302600_NS18transform_iteratorI9which_rowNS9_17counting_iteratorIiNS9_11use_defaultESD_SD_EESD_SD_EENS9_6detail15normal_iteratorINS9_10device_ptrIiEEEESK_iNS9_4plusIvEENS9_8equal_toIvEEiEE10hipError_tPvRmT2_T3_T4_T5_mT6_T7_P12ihipStream_tbENKUlT_T0_E_clISt17integral_constantIbLb1EES15_EEDaS10_S11_EUlS10_E_NS1_11comp_targetILNS1_3genE10ELNS1_11target_archE1201ELNS1_3gpuE5ELNS1_3repE0EEENS1_30default_config_static_selectorELNS0_4arch9wavefront6targetE0EEEvT1_.private_seg_size, 0
	.set _ZN7rocprim17ROCPRIM_400000_NS6detail17trampoline_kernelINS0_14default_configENS1_27scan_by_key_config_selectorIiiEEZZNS1_16scan_by_key_implILNS1_25lookback_scan_determinismE0ELb0ES3_N6thrust23THRUST_200600_302600_NS18transform_iteratorI9which_rowNS9_17counting_iteratorIiNS9_11use_defaultESD_SD_EESD_SD_EENS9_6detail15normal_iteratorINS9_10device_ptrIiEEEESK_iNS9_4plusIvEENS9_8equal_toIvEEiEE10hipError_tPvRmT2_T3_T4_T5_mT6_T7_P12ihipStream_tbENKUlT_T0_E_clISt17integral_constantIbLb1EES15_EEDaS10_S11_EUlS10_E_NS1_11comp_targetILNS1_3genE10ELNS1_11target_archE1201ELNS1_3gpuE5ELNS1_3repE0EEENS1_30default_config_static_selectorELNS0_4arch9wavefront6targetE0EEEvT1_.uses_vcc, 0
	.set _ZN7rocprim17ROCPRIM_400000_NS6detail17trampoline_kernelINS0_14default_configENS1_27scan_by_key_config_selectorIiiEEZZNS1_16scan_by_key_implILNS1_25lookback_scan_determinismE0ELb0ES3_N6thrust23THRUST_200600_302600_NS18transform_iteratorI9which_rowNS9_17counting_iteratorIiNS9_11use_defaultESD_SD_EESD_SD_EENS9_6detail15normal_iteratorINS9_10device_ptrIiEEEESK_iNS9_4plusIvEENS9_8equal_toIvEEiEE10hipError_tPvRmT2_T3_T4_T5_mT6_T7_P12ihipStream_tbENKUlT_T0_E_clISt17integral_constantIbLb1EES15_EEDaS10_S11_EUlS10_E_NS1_11comp_targetILNS1_3genE10ELNS1_11target_archE1201ELNS1_3gpuE5ELNS1_3repE0EEENS1_30default_config_static_selectorELNS0_4arch9wavefront6targetE0EEEvT1_.uses_flat_scratch, 0
	.set _ZN7rocprim17ROCPRIM_400000_NS6detail17trampoline_kernelINS0_14default_configENS1_27scan_by_key_config_selectorIiiEEZZNS1_16scan_by_key_implILNS1_25lookback_scan_determinismE0ELb0ES3_N6thrust23THRUST_200600_302600_NS18transform_iteratorI9which_rowNS9_17counting_iteratorIiNS9_11use_defaultESD_SD_EESD_SD_EENS9_6detail15normal_iteratorINS9_10device_ptrIiEEEESK_iNS9_4plusIvEENS9_8equal_toIvEEiEE10hipError_tPvRmT2_T3_T4_T5_mT6_T7_P12ihipStream_tbENKUlT_T0_E_clISt17integral_constantIbLb1EES15_EEDaS10_S11_EUlS10_E_NS1_11comp_targetILNS1_3genE10ELNS1_11target_archE1201ELNS1_3gpuE5ELNS1_3repE0EEENS1_30default_config_static_selectorELNS0_4arch9wavefront6targetE0EEEvT1_.has_dyn_sized_stack, 0
	.set _ZN7rocprim17ROCPRIM_400000_NS6detail17trampoline_kernelINS0_14default_configENS1_27scan_by_key_config_selectorIiiEEZZNS1_16scan_by_key_implILNS1_25lookback_scan_determinismE0ELb0ES3_N6thrust23THRUST_200600_302600_NS18transform_iteratorI9which_rowNS9_17counting_iteratorIiNS9_11use_defaultESD_SD_EESD_SD_EENS9_6detail15normal_iteratorINS9_10device_ptrIiEEEESK_iNS9_4plusIvEENS9_8equal_toIvEEiEE10hipError_tPvRmT2_T3_T4_T5_mT6_T7_P12ihipStream_tbENKUlT_T0_E_clISt17integral_constantIbLb1EES15_EEDaS10_S11_EUlS10_E_NS1_11comp_targetILNS1_3genE10ELNS1_11target_archE1201ELNS1_3gpuE5ELNS1_3repE0EEENS1_30default_config_static_selectorELNS0_4arch9wavefront6targetE0EEEvT1_.has_recursion, 0
	.set _ZN7rocprim17ROCPRIM_400000_NS6detail17trampoline_kernelINS0_14default_configENS1_27scan_by_key_config_selectorIiiEEZZNS1_16scan_by_key_implILNS1_25lookback_scan_determinismE0ELb0ES3_N6thrust23THRUST_200600_302600_NS18transform_iteratorI9which_rowNS9_17counting_iteratorIiNS9_11use_defaultESD_SD_EESD_SD_EENS9_6detail15normal_iteratorINS9_10device_ptrIiEEEESK_iNS9_4plusIvEENS9_8equal_toIvEEiEE10hipError_tPvRmT2_T3_T4_T5_mT6_T7_P12ihipStream_tbENKUlT_T0_E_clISt17integral_constantIbLb1EES15_EEDaS10_S11_EUlS10_E_NS1_11comp_targetILNS1_3genE10ELNS1_11target_archE1201ELNS1_3gpuE5ELNS1_3repE0EEENS1_30default_config_static_selectorELNS0_4arch9wavefront6targetE0EEEvT1_.has_indirect_call, 0
	.section	.AMDGPU.csdata,"",@progbits
; Kernel info:
; codeLenInByte = 0
; TotalNumSgprs: 0
; NumVgprs: 0
; ScratchSize: 0
; MemoryBound: 0
; FloatMode: 240
; IeeeMode: 1
; LDSByteSize: 0 bytes/workgroup (compile time only)
; SGPRBlocks: 0
; VGPRBlocks: 0
; NumSGPRsForWavesPerEU: 1
; NumVGPRsForWavesPerEU: 1
; NamedBarCnt: 0
; Occupancy: 16
; WaveLimiterHint : 0
; COMPUTE_PGM_RSRC2:SCRATCH_EN: 0
; COMPUTE_PGM_RSRC2:USER_SGPR: 2
; COMPUTE_PGM_RSRC2:TRAP_HANDLER: 0
; COMPUTE_PGM_RSRC2:TGID_X_EN: 1
; COMPUTE_PGM_RSRC2:TGID_Y_EN: 0
; COMPUTE_PGM_RSRC2:TGID_Z_EN: 0
; COMPUTE_PGM_RSRC2:TIDIG_COMP_CNT: 0
	.section	.text._ZN7rocprim17ROCPRIM_400000_NS6detail17trampoline_kernelINS0_14default_configENS1_27scan_by_key_config_selectorIiiEEZZNS1_16scan_by_key_implILNS1_25lookback_scan_determinismE0ELb0ES3_N6thrust23THRUST_200600_302600_NS18transform_iteratorI9which_rowNS9_17counting_iteratorIiNS9_11use_defaultESD_SD_EESD_SD_EENS9_6detail15normal_iteratorINS9_10device_ptrIiEEEESK_iNS9_4plusIvEENS9_8equal_toIvEEiEE10hipError_tPvRmT2_T3_T4_T5_mT6_T7_P12ihipStream_tbENKUlT_T0_E_clISt17integral_constantIbLb1EES15_EEDaS10_S11_EUlS10_E_NS1_11comp_targetILNS1_3genE5ELNS1_11target_archE942ELNS1_3gpuE9ELNS1_3repE0EEENS1_30default_config_static_selectorELNS0_4arch9wavefront6targetE0EEEvT1_,"axG",@progbits,_ZN7rocprim17ROCPRIM_400000_NS6detail17trampoline_kernelINS0_14default_configENS1_27scan_by_key_config_selectorIiiEEZZNS1_16scan_by_key_implILNS1_25lookback_scan_determinismE0ELb0ES3_N6thrust23THRUST_200600_302600_NS18transform_iteratorI9which_rowNS9_17counting_iteratorIiNS9_11use_defaultESD_SD_EESD_SD_EENS9_6detail15normal_iteratorINS9_10device_ptrIiEEEESK_iNS9_4plusIvEENS9_8equal_toIvEEiEE10hipError_tPvRmT2_T3_T4_T5_mT6_T7_P12ihipStream_tbENKUlT_T0_E_clISt17integral_constantIbLb1EES15_EEDaS10_S11_EUlS10_E_NS1_11comp_targetILNS1_3genE5ELNS1_11target_archE942ELNS1_3gpuE9ELNS1_3repE0EEENS1_30default_config_static_selectorELNS0_4arch9wavefront6targetE0EEEvT1_,comdat
	.protected	_ZN7rocprim17ROCPRIM_400000_NS6detail17trampoline_kernelINS0_14default_configENS1_27scan_by_key_config_selectorIiiEEZZNS1_16scan_by_key_implILNS1_25lookback_scan_determinismE0ELb0ES3_N6thrust23THRUST_200600_302600_NS18transform_iteratorI9which_rowNS9_17counting_iteratorIiNS9_11use_defaultESD_SD_EESD_SD_EENS9_6detail15normal_iteratorINS9_10device_ptrIiEEEESK_iNS9_4plusIvEENS9_8equal_toIvEEiEE10hipError_tPvRmT2_T3_T4_T5_mT6_T7_P12ihipStream_tbENKUlT_T0_E_clISt17integral_constantIbLb1EES15_EEDaS10_S11_EUlS10_E_NS1_11comp_targetILNS1_3genE5ELNS1_11target_archE942ELNS1_3gpuE9ELNS1_3repE0EEENS1_30default_config_static_selectorELNS0_4arch9wavefront6targetE0EEEvT1_ ; -- Begin function _ZN7rocprim17ROCPRIM_400000_NS6detail17trampoline_kernelINS0_14default_configENS1_27scan_by_key_config_selectorIiiEEZZNS1_16scan_by_key_implILNS1_25lookback_scan_determinismE0ELb0ES3_N6thrust23THRUST_200600_302600_NS18transform_iteratorI9which_rowNS9_17counting_iteratorIiNS9_11use_defaultESD_SD_EESD_SD_EENS9_6detail15normal_iteratorINS9_10device_ptrIiEEEESK_iNS9_4plusIvEENS9_8equal_toIvEEiEE10hipError_tPvRmT2_T3_T4_T5_mT6_T7_P12ihipStream_tbENKUlT_T0_E_clISt17integral_constantIbLb1EES15_EEDaS10_S11_EUlS10_E_NS1_11comp_targetILNS1_3genE5ELNS1_11target_archE942ELNS1_3gpuE9ELNS1_3repE0EEENS1_30default_config_static_selectorELNS0_4arch9wavefront6targetE0EEEvT1_
	.globl	_ZN7rocprim17ROCPRIM_400000_NS6detail17trampoline_kernelINS0_14default_configENS1_27scan_by_key_config_selectorIiiEEZZNS1_16scan_by_key_implILNS1_25lookback_scan_determinismE0ELb0ES3_N6thrust23THRUST_200600_302600_NS18transform_iteratorI9which_rowNS9_17counting_iteratorIiNS9_11use_defaultESD_SD_EESD_SD_EENS9_6detail15normal_iteratorINS9_10device_ptrIiEEEESK_iNS9_4plusIvEENS9_8equal_toIvEEiEE10hipError_tPvRmT2_T3_T4_T5_mT6_T7_P12ihipStream_tbENKUlT_T0_E_clISt17integral_constantIbLb1EES15_EEDaS10_S11_EUlS10_E_NS1_11comp_targetILNS1_3genE5ELNS1_11target_archE942ELNS1_3gpuE9ELNS1_3repE0EEENS1_30default_config_static_selectorELNS0_4arch9wavefront6targetE0EEEvT1_
	.p2align	8
	.type	_ZN7rocprim17ROCPRIM_400000_NS6detail17trampoline_kernelINS0_14default_configENS1_27scan_by_key_config_selectorIiiEEZZNS1_16scan_by_key_implILNS1_25lookback_scan_determinismE0ELb0ES3_N6thrust23THRUST_200600_302600_NS18transform_iteratorI9which_rowNS9_17counting_iteratorIiNS9_11use_defaultESD_SD_EESD_SD_EENS9_6detail15normal_iteratorINS9_10device_ptrIiEEEESK_iNS9_4plusIvEENS9_8equal_toIvEEiEE10hipError_tPvRmT2_T3_T4_T5_mT6_T7_P12ihipStream_tbENKUlT_T0_E_clISt17integral_constantIbLb1EES15_EEDaS10_S11_EUlS10_E_NS1_11comp_targetILNS1_3genE5ELNS1_11target_archE942ELNS1_3gpuE9ELNS1_3repE0EEENS1_30default_config_static_selectorELNS0_4arch9wavefront6targetE0EEEvT1_,@function
_ZN7rocprim17ROCPRIM_400000_NS6detail17trampoline_kernelINS0_14default_configENS1_27scan_by_key_config_selectorIiiEEZZNS1_16scan_by_key_implILNS1_25lookback_scan_determinismE0ELb0ES3_N6thrust23THRUST_200600_302600_NS18transform_iteratorI9which_rowNS9_17counting_iteratorIiNS9_11use_defaultESD_SD_EESD_SD_EENS9_6detail15normal_iteratorINS9_10device_ptrIiEEEESK_iNS9_4plusIvEENS9_8equal_toIvEEiEE10hipError_tPvRmT2_T3_T4_T5_mT6_T7_P12ihipStream_tbENKUlT_T0_E_clISt17integral_constantIbLb1EES15_EEDaS10_S11_EUlS10_E_NS1_11comp_targetILNS1_3genE5ELNS1_11target_archE942ELNS1_3gpuE9ELNS1_3repE0EEENS1_30default_config_static_selectorELNS0_4arch9wavefront6targetE0EEEvT1_: ; @_ZN7rocprim17ROCPRIM_400000_NS6detail17trampoline_kernelINS0_14default_configENS1_27scan_by_key_config_selectorIiiEEZZNS1_16scan_by_key_implILNS1_25lookback_scan_determinismE0ELb0ES3_N6thrust23THRUST_200600_302600_NS18transform_iteratorI9which_rowNS9_17counting_iteratorIiNS9_11use_defaultESD_SD_EESD_SD_EENS9_6detail15normal_iteratorINS9_10device_ptrIiEEEESK_iNS9_4plusIvEENS9_8equal_toIvEEiEE10hipError_tPvRmT2_T3_T4_T5_mT6_T7_P12ihipStream_tbENKUlT_T0_E_clISt17integral_constantIbLb1EES15_EEDaS10_S11_EUlS10_E_NS1_11comp_targetILNS1_3genE5ELNS1_11target_archE942ELNS1_3gpuE9ELNS1_3repE0EEENS1_30default_config_static_selectorELNS0_4arch9wavefront6targetE0EEEvT1_
; %bb.0:
	.section	.rodata,"a",@progbits
	.p2align	6, 0x0
	.amdhsa_kernel _ZN7rocprim17ROCPRIM_400000_NS6detail17trampoline_kernelINS0_14default_configENS1_27scan_by_key_config_selectorIiiEEZZNS1_16scan_by_key_implILNS1_25lookback_scan_determinismE0ELb0ES3_N6thrust23THRUST_200600_302600_NS18transform_iteratorI9which_rowNS9_17counting_iteratorIiNS9_11use_defaultESD_SD_EESD_SD_EENS9_6detail15normal_iteratorINS9_10device_ptrIiEEEESK_iNS9_4plusIvEENS9_8equal_toIvEEiEE10hipError_tPvRmT2_T3_T4_T5_mT6_T7_P12ihipStream_tbENKUlT_T0_E_clISt17integral_constantIbLb1EES15_EEDaS10_S11_EUlS10_E_NS1_11comp_targetILNS1_3genE5ELNS1_11target_archE942ELNS1_3gpuE9ELNS1_3repE0EEENS1_30default_config_static_selectorELNS0_4arch9wavefront6targetE0EEEvT1_
		.amdhsa_group_segment_fixed_size 0
		.amdhsa_private_segment_fixed_size 0
		.amdhsa_kernarg_size 112
		.amdhsa_user_sgpr_count 2
		.amdhsa_user_sgpr_dispatch_ptr 0
		.amdhsa_user_sgpr_queue_ptr 0
		.amdhsa_user_sgpr_kernarg_segment_ptr 1
		.amdhsa_user_sgpr_dispatch_id 0
		.amdhsa_user_sgpr_kernarg_preload_length 0
		.amdhsa_user_sgpr_kernarg_preload_offset 0
		.amdhsa_user_sgpr_private_segment_size 0
		.amdhsa_wavefront_size32 1
		.amdhsa_uses_dynamic_stack 0
		.amdhsa_enable_private_segment 0
		.amdhsa_system_sgpr_workgroup_id_x 1
		.amdhsa_system_sgpr_workgroup_id_y 0
		.amdhsa_system_sgpr_workgroup_id_z 0
		.amdhsa_system_sgpr_workgroup_info 0
		.amdhsa_system_vgpr_workitem_id 0
		.amdhsa_next_free_vgpr 1
		.amdhsa_next_free_sgpr 1
		.amdhsa_named_barrier_count 0
		.amdhsa_reserve_vcc 0
		.amdhsa_float_round_mode_32 0
		.amdhsa_float_round_mode_16_64 0
		.amdhsa_float_denorm_mode_32 3
		.amdhsa_float_denorm_mode_16_64 3
		.amdhsa_fp16_overflow 0
		.amdhsa_memory_ordered 1
		.amdhsa_forward_progress 1
		.amdhsa_inst_pref_size 0
		.amdhsa_round_robin_scheduling 0
		.amdhsa_exception_fp_ieee_invalid_op 0
		.amdhsa_exception_fp_denorm_src 0
		.amdhsa_exception_fp_ieee_div_zero 0
		.amdhsa_exception_fp_ieee_overflow 0
		.amdhsa_exception_fp_ieee_underflow 0
		.amdhsa_exception_fp_ieee_inexact 0
		.amdhsa_exception_int_div_zero 0
	.end_amdhsa_kernel
	.section	.text._ZN7rocprim17ROCPRIM_400000_NS6detail17trampoline_kernelINS0_14default_configENS1_27scan_by_key_config_selectorIiiEEZZNS1_16scan_by_key_implILNS1_25lookback_scan_determinismE0ELb0ES3_N6thrust23THRUST_200600_302600_NS18transform_iteratorI9which_rowNS9_17counting_iteratorIiNS9_11use_defaultESD_SD_EESD_SD_EENS9_6detail15normal_iteratorINS9_10device_ptrIiEEEESK_iNS9_4plusIvEENS9_8equal_toIvEEiEE10hipError_tPvRmT2_T3_T4_T5_mT6_T7_P12ihipStream_tbENKUlT_T0_E_clISt17integral_constantIbLb1EES15_EEDaS10_S11_EUlS10_E_NS1_11comp_targetILNS1_3genE5ELNS1_11target_archE942ELNS1_3gpuE9ELNS1_3repE0EEENS1_30default_config_static_selectorELNS0_4arch9wavefront6targetE0EEEvT1_,"axG",@progbits,_ZN7rocprim17ROCPRIM_400000_NS6detail17trampoline_kernelINS0_14default_configENS1_27scan_by_key_config_selectorIiiEEZZNS1_16scan_by_key_implILNS1_25lookback_scan_determinismE0ELb0ES3_N6thrust23THRUST_200600_302600_NS18transform_iteratorI9which_rowNS9_17counting_iteratorIiNS9_11use_defaultESD_SD_EESD_SD_EENS9_6detail15normal_iteratorINS9_10device_ptrIiEEEESK_iNS9_4plusIvEENS9_8equal_toIvEEiEE10hipError_tPvRmT2_T3_T4_T5_mT6_T7_P12ihipStream_tbENKUlT_T0_E_clISt17integral_constantIbLb1EES15_EEDaS10_S11_EUlS10_E_NS1_11comp_targetILNS1_3genE5ELNS1_11target_archE942ELNS1_3gpuE9ELNS1_3repE0EEENS1_30default_config_static_selectorELNS0_4arch9wavefront6targetE0EEEvT1_,comdat
.Lfunc_end99:
	.size	_ZN7rocprim17ROCPRIM_400000_NS6detail17trampoline_kernelINS0_14default_configENS1_27scan_by_key_config_selectorIiiEEZZNS1_16scan_by_key_implILNS1_25lookback_scan_determinismE0ELb0ES3_N6thrust23THRUST_200600_302600_NS18transform_iteratorI9which_rowNS9_17counting_iteratorIiNS9_11use_defaultESD_SD_EESD_SD_EENS9_6detail15normal_iteratorINS9_10device_ptrIiEEEESK_iNS9_4plusIvEENS9_8equal_toIvEEiEE10hipError_tPvRmT2_T3_T4_T5_mT6_T7_P12ihipStream_tbENKUlT_T0_E_clISt17integral_constantIbLb1EES15_EEDaS10_S11_EUlS10_E_NS1_11comp_targetILNS1_3genE5ELNS1_11target_archE942ELNS1_3gpuE9ELNS1_3repE0EEENS1_30default_config_static_selectorELNS0_4arch9wavefront6targetE0EEEvT1_, .Lfunc_end99-_ZN7rocprim17ROCPRIM_400000_NS6detail17trampoline_kernelINS0_14default_configENS1_27scan_by_key_config_selectorIiiEEZZNS1_16scan_by_key_implILNS1_25lookback_scan_determinismE0ELb0ES3_N6thrust23THRUST_200600_302600_NS18transform_iteratorI9which_rowNS9_17counting_iteratorIiNS9_11use_defaultESD_SD_EESD_SD_EENS9_6detail15normal_iteratorINS9_10device_ptrIiEEEESK_iNS9_4plusIvEENS9_8equal_toIvEEiEE10hipError_tPvRmT2_T3_T4_T5_mT6_T7_P12ihipStream_tbENKUlT_T0_E_clISt17integral_constantIbLb1EES15_EEDaS10_S11_EUlS10_E_NS1_11comp_targetILNS1_3genE5ELNS1_11target_archE942ELNS1_3gpuE9ELNS1_3repE0EEENS1_30default_config_static_selectorELNS0_4arch9wavefront6targetE0EEEvT1_
                                        ; -- End function
	.set _ZN7rocprim17ROCPRIM_400000_NS6detail17trampoline_kernelINS0_14default_configENS1_27scan_by_key_config_selectorIiiEEZZNS1_16scan_by_key_implILNS1_25lookback_scan_determinismE0ELb0ES3_N6thrust23THRUST_200600_302600_NS18transform_iteratorI9which_rowNS9_17counting_iteratorIiNS9_11use_defaultESD_SD_EESD_SD_EENS9_6detail15normal_iteratorINS9_10device_ptrIiEEEESK_iNS9_4plusIvEENS9_8equal_toIvEEiEE10hipError_tPvRmT2_T3_T4_T5_mT6_T7_P12ihipStream_tbENKUlT_T0_E_clISt17integral_constantIbLb1EES15_EEDaS10_S11_EUlS10_E_NS1_11comp_targetILNS1_3genE5ELNS1_11target_archE942ELNS1_3gpuE9ELNS1_3repE0EEENS1_30default_config_static_selectorELNS0_4arch9wavefront6targetE0EEEvT1_.num_vgpr, 0
	.set _ZN7rocprim17ROCPRIM_400000_NS6detail17trampoline_kernelINS0_14default_configENS1_27scan_by_key_config_selectorIiiEEZZNS1_16scan_by_key_implILNS1_25lookback_scan_determinismE0ELb0ES3_N6thrust23THRUST_200600_302600_NS18transform_iteratorI9which_rowNS9_17counting_iteratorIiNS9_11use_defaultESD_SD_EESD_SD_EENS9_6detail15normal_iteratorINS9_10device_ptrIiEEEESK_iNS9_4plusIvEENS9_8equal_toIvEEiEE10hipError_tPvRmT2_T3_T4_T5_mT6_T7_P12ihipStream_tbENKUlT_T0_E_clISt17integral_constantIbLb1EES15_EEDaS10_S11_EUlS10_E_NS1_11comp_targetILNS1_3genE5ELNS1_11target_archE942ELNS1_3gpuE9ELNS1_3repE0EEENS1_30default_config_static_selectorELNS0_4arch9wavefront6targetE0EEEvT1_.num_agpr, 0
	.set _ZN7rocprim17ROCPRIM_400000_NS6detail17trampoline_kernelINS0_14default_configENS1_27scan_by_key_config_selectorIiiEEZZNS1_16scan_by_key_implILNS1_25lookback_scan_determinismE0ELb0ES3_N6thrust23THRUST_200600_302600_NS18transform_iteratorI9which_rowNS9_17counting_iteratorIiNS9_11use_defaultESD_SD_EESD_SD_EENS9_6detail15normal_iteratorINS9_10device_ptrIiEEEESK_iNS9_4plusIvEENS9_8equal_toIvEEiEE10hipError_tPvRmT2_T3_T4_T5_mT6_T7_P12ihipStream_tbENKUlT_T0_E_clISt17integral_constantIbLb1EES15_EEDaS10_S11_EUlS10_E_NS1_11comp_targetILNS1_3genE5ELNS1_11target_archE942ELNS1_3gpuE9ELNS1_3repE0EEENS1_30default_config_static_selectorELNS0_4arch9wavefront6targetE0EEEvT1_.numbered_sgpr, 0
	.set _ZN7rocprim17ROCPRIM_400000_NS6detail17trampoline_kernelINS0_14default_configENS1_27scan_by_key_config_selectorIiiEEZZNS1_16scan_by_key_implILNS1_25lookback_scan_determinismE0ELb0ES3_N6thrust23THRUST_200600_302600_NS18transform_iteratorI9which_rowNS9_17counting_iteratorIiNS9_11use_defaultESD_SD_EESD_SD_EENS9_6detail15normal_iteratorINS9_10device_ptrIiEEEESK_iNS9_4plusIvEENS9_8equal_toIvEEiEE10hipError_tPvRmT2_T3_T4_T5_mT6_T7_P12ihipStream_tbENKUlT_T0_E_clISt17integral_constantIbLb1EES15_EEDaS10_S11_EUlS10_E_NS1_11comp_targetILNS1_3genE5ELNS1_11target_archE942ELNS1_3gpuE9ELNS1_3repE0EEENS1_30default_config_static_selectorELNS0_4arch9wavefront6targetE0EEEvT1_.num_named_barrier, 0
	.set _ZN7rocprim17ROCPRIM_400000_NS6detail17trampoline_kernelINS0_14default_configENS1_27scan_by_key_config_selectorIiiEEZZNS1_16scan_by_key_implILNS1_25lookback_scan_determinismE0ELb0ES3_N6thrust23THRUST_200600_302600_NS18transform_iteratorI9which_rowNS9_17counting_iteratorIiNS9_11use_defaultESD_SD_EESD_SD_EENS9_6detail15normal_iteratorINS9_10device_ptrIiEEEESK_iNS9_4plusIvEENS9_8equal_toIvEEiEE10hipError_tPvRmT2_T3_T4_T5_mT6_T7_P12ihipStream_tbENKUlT_T0_E_clISt17integral_constantIbLb1EES15_EEDaS10_S11_EUlS10_E_NS1_11comp_targetILNS1_3genE5ELNS1_11target_archE942ELNS1_3gpuE9ELNS1_3repE0EEENS1_30default_config_static_selectorELNS0_4arch9wavefront6targetE0EEEvT1_.private_seg_size, 0
	.set _ZN7rocprim17ROCPRIM_400000_NS6detail17trampoline_kernelINS0_14default_configENS1_27scan_by_key_config_selectorIiiEEZZNS1_16scan_by_key_implILNS1_25lookback_scan_determinismE0ELb0ES3_N6thrust23THRUST_200600_302600_NS18transform_iteratorI9which_rowNS9_17counting_iteratorIiNS9_11use_defaultESD_SD_EESD_SD_EENS9_6detail15normal_iteratorINS9_10device_ptrIiEEEESK_iNS9_4plusIvEENS9_8equal_toIvEEiEE10hipError_tPvRmT2_T3_T4_T5_mT6_T7_P12ihipStream_tbENKUlT_T0_E_clISt17integral_constantIbLb1EES15_EEDaS10_S11_EUlS10_E_NS1_11comp_targetILNS1_3genE5ELNS1_11target_archE942ELNS1_3gpuE9ELNS1_3repE0EEENS1_30default_config_static_selectorELNS0_4arch9wavefront6targetE0EEEvT1_.uses_vcc, 0
	.set _ZN7rocprim17ROCPRIM_400000_NS6detail17trampoline_kernelINS0_14default_configENS1_27scan_by_key_config_selectorIiiEEZZNS1_16scan_by_key_implILNS1_25lookback_scan_determinismE0ELb0ES3_N6thrust23THRUST_200600_302600_NS18transform_iteratorI9which_rowNS9_17counting_iteratorIiNS9_11use_defaultESD_SD_EESD_SD_EENS9_6detail15normal_iteratorINS9_10device_ptrIiEEEESK_iNS9_4plusIvEENS9_8equal_toIvEEiEE10hipError_tPvRmT2_T3_T4_T5_mT6_T7_P12ihipStream_tbENKUlT_T0_E_clISt17integral_constantIbLb1EES15_EEDaS10_S11_EUlS10_E_NS1_11comp_targetILNS1_3genE5ELNS1_11target_archE942ELNS1_3gpuE9ELNS1_3repE0EEENS1_30default_config_static_selectorELNS0_4arch9wavefront6targetE0EEEvT1_.uses_flat_scratch, 0
	.set _ZN7rocprim17ROCPRIM_400000_NS6detail17trampoline_kernelINS0_14default_configENS1_27scan_by_key_config_selectorIiiEEZZNS1_16scan_by_key_implILNS1_25lookback_scan_determinismE0ELb0ES3_N6thrust23THRUST_200600_302600_NS18transform_iteratorI9which_rowNS9_17counting_iteratorIiNS9_11use_defaultESD_SD_EESD_SD_EENS9_6detail15normal_iteratorINS9_10device_ptrIiEEEESK_iNS9_4plusIvEENS9_8equal_toIvEEiEE10hipError_tPvRmT2_T3_T4_T5_mT6_T7_P12ihipStream_tbENKUlT_T0_E_clISt17integral_constantIbLb1EES15_EEDaS10_S11_EUlS10_E_NS1_11comp_targetILNS1_3genE5ELNS1_11target_archE942ELNS1_3gpuE9ELNS1_3repE0EEENS1_30default_config_static_selectorELNS0_4arch9wavefront6targetE0EEEvT1_.has_dyn_sized_stack, 0
	.set _ZN7rocprim17ROCPRIM_400000_NS6detail17trampoline_kernelINS0_14default_configENS1_27scan_by_key_config_selectorIiiEEZZNS1_16scan_by_key_implILNS1_25lookback_scan_determinismE0ELb0ES3_N6thrust23THRUST_200600_302600_NS18transform_iteratorI9which_rowNS9_17counting_iteratorIiNS9_11use_defaultESD_SD_EESD_SD_EENS9_6detail15normal_iteratorINS9_10device_ptrIiEEEESK_iNS9_4plusIvEENS9_8equal_toIvEEiEE10hipError_tPvRmT2_T3_T4_T5_mT6_T7_P12ihipStream_tbENKUlT_T0_E_clISt17integral_constantIbLb1EES15_EEDaS10_S11_EUlS10_E_NS1_11comp_targetILNS1_3genE5ELNS1_11target_archE942ELNS1_3gpuE9ELNS1_3repE0EEENS1_30default_config_static_selectorELNS0_4arch9wavefront6targetE0EEEvT1_.has_recursion, 0
	.set _ZN7rocprim17ROCPRIM_400000_NS6detail17trampoline_kernelINS0_14default_configENS1_27scan_by_key_config_selectorIiiEEZZNS1_16scan_by_key_implILNS1_25lookback_scan_determinismE0ELb0ES3_N6thrust23THRUST_200600_302600_NS18transform_iteratorI9which_rowNS9_17counting_iteratorIiNS9_11use_defaultESD_SD_EESD_SD_EENS9_6detail15normal_iteratorINS9_10device_ptrIiEEEESK_iNS9_4plusIvEENS9_8equal_toIvEEiEE10hipError_tPvRmT2_T3_T4_T5_mT6_T7_P12ihipStream_tbENKUlT_T0_E_clISt17integral_constantIbLb1EES15_EEDaS10_S11_EUlS10_E_NS1_11comp_targetILNS1_3genE5ELNS1_11target_archE942ELNS1_3gpuE9ELNS1_3repE0EEENS1_30default_config_static_selectorELNS0_4arch9wavefront6targetE0EEEvT1_.has_indirect_call, 0
	.section	.AMDGPU.csdata,"",@progbits
; Kernel info:
; codeLenInByte = 0
; TotalNumSgprs: 0
; NumVgprs: 0
; ScratchSize: 0
; MemoryBound: 0
; FloatMode: 240
; IeeeMode: 1
; LDSByteSize: 0 bytes/workgroup (compile time only)
; SGPRBlocks: 0
; VGPRBlocks: 0
; NumSGPRsForWavesPerEU: 1
; NumVGPRsForWavesPerEU: 1
; NamedBarCnt: 0
; Occupancy: 16
; WaveLimiterHint : 0
; COMPUTE_PGM_RSRC2:SCRATCH_EN: 0
; COMPUTE_PGM_RSRC2:USER_SGPR: 2
; COMPUTE_PGM_RSRC2:TRAP_HANDLER: 0
; COMPUTE_PGM_RSRC2:TGID_X_EN: 1
; COMPUTE_PGM_RSRC2:TGID_Y_EN: 0
; COMPUTE_PGM_RSRC2:TGID_Z_EN: 0
; COMPUTE_PGM_RSRC2:TIDIG_COMP_CNT: 0
	.section	.text._ZN7rocprim17ROCPRIM_400000_NS6detail17trampoline_kernelINS0_14default_configENS1_27scan_by_key_config_selectorIiiEEZZNS1_16scan_by_key_implILNS1_25lookback_scan_determinismE0ELb0ES3_N6thrust23THRUST_200600_302600_NS18transform_iteratorI9which_rowNS9_17counting_iteratorIiNS9_11use_defaultESD_SD_EESD_SD_EENS9_6detail15normal_iteratorINS9_10device_ptrIiEEEESK_iNS9_4plusIvEENS9_8equal_toIvEEiEE10hipError_tPvRmT2_T3_T4_T5_mT6_T7_P12ihipStream_tbENKUlT_T0_E_clISt17integral_constantIbLb1EES15_EEDaS10_S11_EUlS10_E_NS1_11comp_targetILNS1_3genE4ELNS1_11target_archE910ELNS1_3gpuE8ELNS1_3repE0EEENS1_30default_config_static_selectorELNS0_4arch9wavefront6targetE0EEEvT1_,"axG",@progbits,_ZN7rocprim17ROCPRIM_400000_NS6detail17trampoline_kernelINS0_14default_configENS1_27scan_by_key_config_selectorIiiEEZZNS1_16scan_by_key_implILNS1_25lookback_scan_determinismE0ELb0ES3_N6thrust23THRUST_200600_302600_NS18transform_iteratorI9which_rowNS9_17counting_iteratorIiNS9_11use_defaultESD_SD_EESD_SD_EENS9_6detail15normal_iteratorINS9_10device_ptrIiEEEESK_iNS9_4plusIvEENS9_8equal_toIvEEiEE10hipError_tPvRmT2_T3_T4_T5_mT6_T7_P12ihipStream_tbENKUlT_T0_E_clISt17integral_constantIbLb1EES15_EEDaS10_S11_EUlS10_E_NS1_11comp_targetILNS1_3genE4ELNS1_11target_archE910ELNS1_3gpuE8ELNS1_3repE0EEENS1_30default_config_static_selectorELNS0_4arch9wavefront6targetE0EEEvT1_,comdat
	.protected	_ZN7rocprim17ROCPRIM_400000_NS6detail17trampoline_kernelINS0_14default_configENS1_27scan_by_key_config_selectorIiiEEZZNS1_16scan_by_key_implILNS1_25lookback_scan_determinismE0ELb0ES3_N6thrust23THRUST_200600_302600_NS18transform_iteratorI9which_rowNS9_17counting_iteratorIiNS9_11use_defaultESD_SD_EESD_SD_EENS9_6detail15normal_iteratorINS9_10device_ptrIiEEEESK_iNS9_4plusIvEENS9_8equal_toIvEEiEE10hipError_tPvRmT2_T3_T4_T5_mT6_T7_P12ihipStream_tbENKUlT_T0_E_clISt17integral_constantIbLb1EES15_EEDaS10_S11_EUlS10_E_NS1_11comp_targetILNS1_3genE4ELNS1_11target_archE910ELNS1_3gpuE8ELNS1_3repE0EEENS1_30default_config_static_selectorELNS0_4arch9wavefront6targetE0EEEvT1_ ; -- Begin function _ZN7rocprim17ROCPRIM_400000_NS6detail17trampoline_kernelINS0_14default_configENS1_27scan_by_key_config_selectorIiiEEZZNS1_16scan_by_key_implILNS1_25lookback_scan_determinismE0ELb0ES3_N6thrust23THRUST_200600_302600_NS18transform_iteratorI9which_rowNS9_17counting_iteratorIiNS9_11use_defaultESD_SD_EESD_SD_EENS9_6detail15normal_iteratorINS9_10device_ptrIiEEEESK_iNS9_4plusIvEENS9_8equal_toIvEEiEE10hipError_tPvRmT2_T3_T4_T5_mT6_T7_P12ihipStream_tbENKUlT_T0_E_clISt17integral_constantIbLb1EES15_EEDaS10_S11_EUlS10_E_NS1_11comp_targetILNS1_3genE4ELNS1_11target_archE910ELNS1_3gpuE8ELNS1_3repE0EEENS1_30default_config_static_selectorELNS0_4arch9wavefront6targetE0EEEvT1_
	.globl	_ZN7rocprim17ROCPRIM_400000_NS6detail17trampoline_kernelINS0_14default_configENS1_27scan_by_key_config_selectorIiiEEZZNS1_16scan_by_key_implILNS1_25lookback_scan_determinismE0ELb0ES3_N6thrust23THRUST_200600_302600_NS18transform_iteratorI9which_rowNS9_17counting_iteratorIiNS9_11use_defaultESD_SD_EESD_SD_EENS9_6detail15normal_iteratorINS9_10device_ptrIiEEEESK_iNS9_4plusIvEENS9_8equal_toIvEEiEE10hipError_tPvRmT2_T3_T4_T5_mT6_T7_P12ihipStream_tbENKUlT_T0_E_clISt17integral_constantIbLb1EES15_EEDaS10_S11_EUlS10_E_NS1_11comp_targetILNS1_3genE4ELNS1_11target_archE910ELNS1_3gpuE8ELNS1_3repE0EEENS1_30default_config_static_selectorELNS0_4arch9wavefront6targetE0EEEvT1_
	.p2align	8
	.type	_ZN7rocprim17ROCPRIM_400000_NS6detail17trampoline_kernelINS0_14default_configENS1_27scan_by_key_config_selectorIiiEEZZNS1_16scan_by_key_implILNS1_25lookback_scan_determinismE0ELb0ES3_N6thrust23THRUST_200600_302600_NS18transform_iteratorI9which_rowNS9_17counting_iteratorIiNS9_11use_defaultESD_SD_EESD_SD_EENS9_6detail15normal_iteratorINS9_10device_ptrIiEEEESK_iNS9_4plusIvEENS9_8equal_toIvEEiEE10hipError_tPvRmT2_T3_T4_T5_mT6_T7_P12ihipStream_tbENKUlT_T0_E_clISt17integral_constantIbLb1EES15_EEDaS10_S11_EUlS10_E_NS1_11comp_targetILNS1_3genE4ELNS1_11target_archE910ELNS1_3gpuE8ELNS1_3repE0EEENS1_30default_config_static_selectorELNS0_4arch9wavefront6targetE0EEEvT1_,@function
_ZN7rocprim17ROCPRIM_400000_NS6detail17trampoline_kernelINS0_14default_configENS1_27scan_by_key_config_selectorIiiEEZZNS1_16scan_by_key_implILNS1_25lookback_scan_determinismE0ELb0ES3_N6thrust23THRUST_200600_302600_NS18transform_iteratorI9which_rowNS9_17counting_iteratorIiNS9_11use_defaultESD_SD_EESD_SD_EENS9_6detail15normal_iteratorINS9_10device_ptrIiEEEESK_iNS9_4plusIvEENS9_8equal_toIvEEiEE10hipError_tPvRmT2_T3_T4_T5_mT6_T7_P12ihipStream_tbENKUlT_T0_E_clISt17integral_constantIbLb1EES15_EEDaS10_S11_EUlS10_E_NS1_11comp_targetILNS1_3genE4ELNS1_11target_archE910ELNS1_3gpuE8ELNS1_3repE0EEENS1_30default_config_static_selectorELNS0_4arch9wavefront6targetE0EEEvT1_: ; @_ZN7rocprim17ROCPRIM_400000_NS6detail17trampoline_kernelINS0_14default_configENS1_27scan_by_key_config_selectorIiiEEZZNS1_16scan_by_key_implILNS1_25lookback_scan_determinismE0ELb0ES3_N6thrust23THRUST_200600_302600_NS18transform_iteratorI9which_rowNS9_17counting_iteratorIiNS9_11use_defaultESD_SD_EESD_SD_EENS9_6detail15normal_iteratorINS9_10device_ptrIiEEEESK_iNS9_4plusIvEENS9_8equal_toIvEEiEE10hipError_tPvRmT2_T3_T4_T5_mT6_T7_P12ihipStream_tbENKUlT_T0_E_clISt17integral_constantIbLb1EES15_EEDaS10_S11_EUlS10_E_NS1_11comp_targetILNS1_3genE4ELNS1_11target_archE910ELNS1_3gpuE8ELNS1_3repE0EEENS1_30default_config_static_selectorELNS0_4arch9wavefront6targetE0EEEvT1_
; %bb.0:
	.section	.rodata,"a",@progbits
	.p2align	6, 0x0
	.amdhsa_kernel _ZN7rocprim17ROCPRIM_400000_NS6detail17trampoline_kernelINS0_14default_configENS1_27scan_by_key_config_selectorIiiEEZZNS1_16scan_by_key_implILNS1_25lookback_scan_determinismE0ELb0ES3_N6thrust23THRUST_200600_302600_NS18transform_iteratorI9which_rowNS9_17counting_iteratorIiNS9_11use_defaultESD_SD_EESD_SD_EENS9_6detail15normal_iteratorINS9_10device_ptrIiEEEESK_iNS9_4plusIvEENS9_8equal_toIvEEiEE10hipError_tPvRmT2_T3_T4_T5_mT6_T7_P12ihipStream_tbENKUlT_T0_E_clISt17integral_constantIbLb1EES15_EEDaS10_S11_EUlS10_E_NS1_11comp_targetILNS1_3genE4ELNS1_11target_archE910ELNS1_3gpuE8ELNS1_3repE0EEENS1_30default_config_static_selectorELNS0_4arch9wavefront6targetE0EEEvT1_
		.amdhsa_group_segment_fixed_size 0
		.amdhsa_private_segment_fixed_size 0
		.amdhsa_kernarg_size 112
		.amdhsa_user_sgpr_count 2
		.amdhsa_user_sgpr_dispatch_ptr 0
		.amdhsa_user_sgpr_queue_ptr 0
		.amdhsa_user_sgpr_kernarg_segment_ptr 1
		.amdhsa_user_sgpr_dispatch_id 0
		.amdhsa_user_sgpr_kernarg_preload_length 0
		.amdhsa_user_sgpr_kernarg_preload_offset 0
		.amdhsa_user_sgpr_private_segment_size 0
		.amdhsa_wavefront_size32 1
		.amdhsa_uses_dynamic_stack 0
		.amdhsa_enable_private_segment 0
		.amdhsa_system_sgpr_workgroup_id_x 1
		.amdhsa_system_sgpr_workgroup_id_y 0
		.amdhsa_system_sgpr_workgroup_id_z 0
		.amdhsa_system_sgpr_workgroup_info 0
		.amdhsa_system_vgpr_workitem_id 0
		.amdhsa_next_free_vgpr 1
		.amdhsa_next_free_sgpr 1
		.amdhsa_named_barrier_count 0
		.amdhsa_reserve_vcc 0
		.amdhsa_float_round_mode_32 0
		.amdhsa_float_round_mode_16_64 0
		.amdhsa_float_denorm_mode_32 3
		.amdhsa_float_denorm_mode_16_64 3
		.amdhsa_fp16_overflow 0
		.amdhsa_memory_ordered 1
		.amdhsa_forward_progress 1
		.amdhsa_inst_pref_size 0
		.amdhsa_round_robin_scheduling 0
		.amdhsa_exception_fp_ieee_invalid_op 0
		.amdhsa_exception_fp_denorm_src 0
		.amdhsa_exception_fp_ieee_div_zero 0
		.amdhsa_exception_fp_ieee_overflow 0
		.amdhsa_exception_fp_ieee_underflow 0
		.amdhsa_exception_fp_ieee_inexact 0
		.amdhsa_exception_int_div_zero 0
	.end_amdhsa_kernel
	.section	.text._ZN7rocprim17ROCPRIM_400000_NS6detail17trampoline_kernelINS0_14default_configENS1_27scan_by_key_config_selectorIiiEEZZNS1_16scan_by_key_implILNS1_25lookback_scan_determinismE0ELb0ES3_N6thrust23THRUST_200600_302600_NS18transform_iteratorI9which_rowNS9_17counting_iteratorIiNS9_11use_defaultESD_SD_EESD_SD_EENS9_6detail15normal_iteratorINS9_10device_ptrIiEEEESK_iNS9_4plusIvEENS9_8equal_toIvEEiEE10hipError_tPvRmT2_T3_T4_T5_mT6_T7_P12ihipStream_tbENKUlT_T0_E_clISt17integral_constantIbLb1EES15_EEDaS10_S11_EUlS10_E_NS1_11comp_targetILNS1_3genE4ELNS1_11target_archE910ELNS1_3gpuE8ELNS1_3repE0EEENS1_30default_config_static_selectorELNS0_4arch9wavefront6targetE0EEEvT1_,"axG",@progbits,_ZN7rocprim17ROCPRIM_400000_NS6detail17trampoline_kernelINS0_14default_configENS1_27scan_by_key_config_selectorIiiEEZZNS1_16scan_by_key_implILNS1_25lookback_scan_determinismE0ELb0ES3_N6thrust23THRUST_200600_302600_NS18transform_iteratorI9which_rowNS9_17counting_iteratorIiNS9_11use_defaultESD_SD_EESD_SD_EENS9_6detail15normal_iteratorINS9_10device_ptrIiEEEESK_iNS9_4plusIvEENS9_8equal_toIvEEiEE10hipError_tPvRmT2_T3_T4_T5_mT6_T7_P12ihipStream_tbENKUlT_T0_E_clISt17integral_constantIbLb1EES15_EEDaS10_S11_EUlS10_E_NS1_11comp_targetILNS1_3genE4ELNS1_11target_archE910ELNS1_3gpuE8ELNS1_3repE0EEENS1_30default_config_static_selectorELNS0_4arch9wavefront6targetE0EEEvT1_,comdat
.Lfunc_end100:
	.size	_ZN7rocprim17ROCPRIM_400000_NS6detail17trampoline_kernelINS0_14default_configENS1_27scan_by_key_config_selectorIiiEEZZNS1_16scan_by_key_implILNS1_25lookback_scan_determinismE0ELb0ES3_N6thrust23THRUST_200600_302600_NS18transform_iteratorI9which_rowNS9_17counting_iteratorIiNS9_11use_defaultESD_SD_EESD_SD_EENS9_6detail15normal_iteratorINS9_10device_ptrIiEEEESK_iNS9_4plusIvEENS9_8equal_toIvEEiEE10hipError_tPvRmT2_T3_T4_T5_mT6_T7_P12ihipStream_tbENKUlT_T0_E_clISt17integral_constantIbLb1EES15_EEDaS10_S11_EUlS10_E_NS1_11comp_targetILNS1_3genE4ELNS1_11target_archE910ELNS1_3gpuE8ELNS1_3repE0EEENS1_30default_config_static_selectorELNS0_4arch9wavefront6targetE0EEEvT1_, .Lfunc_end100-_ZN7rocprim17ROCPRIM_400000_NS6detail17trampoline_kernelINS0_14default_configENS1_27scan_by_key_config_selectorIiiEEZZNS1_16scan_by_key_implILNS1_25lookback_scan_determinismE0ELb0ES3_N6thrust23THRUST_200600_302600_NS18transform_iteratorI9which_rowNS9_17counting_iteratorIiNS9_11use_defaultESD_SD_EESD_SD_EENS9_6detail15normal_iteratorINS9_10device_ptrIiEEEESK_iNS9_4plusIvEENS9_8equal_toIvEEiEE10hipError_tPvRmT2_T3_T4_T5_mT6_T7_P12ihipStream_tbENKUlT_T0_E_clISt17integral_constantIbLb1EES15_EEDaS10_S11_EUlS10_E_NS1_11comp_targetILNS1_3genE4ELNS1_11target_archE910ELNS1_3gpuE8ELNS1_3repE0EEENS1_30default_config_static_selectorELNS0_4arch9wavefront6targetE0EEEvT1_
                                        ; -- End function
	.set _ZN7rocprim17ROCPRIM_400000_NS6detail17trampoline_kernelINS0_14default_configENS1_27scan_by_key_config_selectorIiiEEZZNS1_16scan_by_key_implILNS1_25lookback_scan_determinismE0ELb0ES3_N6thrust23THRUST_200600_302600_NS18transform_iteratorI9which_rowNS9_17counting_iteratorIiNS9_11use_defaultESD_SD_EESD_SD_EENS9_6detail15normal_iteratorINS9_10device_ptrIiEEEESK_iNS9_4plusIvEENS9_8equal_toIvEEiEE10hipError_tPvRmT2_T3_T4_T5_mT6_T7_P12ihipStream_tbENKUlT_T0_E_clISt17integral_constantIbLb1EES15_EEDaS10_S11_EUlS10_E_NS1_11comp_targetILNS1_3genE4ELNS1_11target_archE910ELNS1_3gpuE8ELNS1_3repE0EEENS1_30default_config_static_selectorELNS0_4arch9wavefront6targetE0EEEvT1_.num_vgpr, 0
	.set _ZN7rocprim17ROCPRIM_400000_NS6detail17trampoline_kernelINS0_14default_configENS1_27scan_by_key_config_selectorIiiEEZZNS1_16scan_by_key_implILNS1_25lookback_scan_determinismE0ELb0ES3_N6thrust23THRUST_200600_302600_NS18transform_iteratorI9which_rowNS9_17counting_iteratorIiNS9_11use_defaultESD_SD_EESD_SD_EENS9_6detail15normal_iteratorINS9_10device_ptrIiEEEESK_iNS9_4plusIvEENS9_8equal_toIvEEiEE10hipError_tPvRmT2_T3_T4_T5_mT6_T7_P12ihipStream_tbENKUlT_T0_E_clISt17integral_constantIbLb1EES15_EEDaS10_S11_EUlS10_E_NS1_11comp_targetILNS1_3genE4ELNS1_11target_archE910ELNS1_3gpuE8ELNS1_3repE0EEENS1_30default_config_static_selectorELNS0_4arch9wavefront6targetE0EEEvT1_.num_agpr, 0
	.set _ZN7rocprim17ROCPRIM_400000_NS6detail17trampoline_kernelINS0_14default_configENS1_27scan_by_key_config_selectorIiiEEZZNS1_16scan_by_key_implILNS1_25lookback_scan_determinismE0ELb0ES3_N6thrust23THRUST_200600_302600_NS18transform_iteratorI9which_rowNS9_17counting_iteratorIiNS9_11use_defaultESD_SD_EESD_SD_EENS9_6detail15normal_iteratorINS9_10device_ptrIiEEEESK_iNS9_4plusIvEENS9_8equal_toIvEEiEE10hipError_tPvRmT2_T3_T4_T5_mT6_T7_P12ihipStream_tbENKUlT_T0_E_clISt17integral_constantIbLb1EES15_EEDaS10_S11_EUlS10_E_NS1_11comp_targetILNS1_3genE4ELNS1_11target_archE910ELNS1_3gpuE8ELNS1_3repE0EEENS1_30default_config_static_selectorELNS0_4arch9wavefront6targetE0EEEvT1_.numbered_sgpr, 0
	.set _ZN7rocprim17ROCPRIM_400000_NS6detail17trampoline_kernelINS0_14default_configENS1_27scan_by_key_config_selectorIiiEEZZNS1_16scan_by_key_implILNS1_25lookback_scan_determinismE0ELb0ES3_N6thrust23THRUST_200600_302600_NS18transform_iteratorI9which_rowNS9_17counting_iteratorIiNS9_11use_defaultESD_SD_EESD_SD_EENS9_6detail15normal_iteratorINS9_10device_ptrIiEEEESK_iNS9_4plusIvEENS9_8equal_toIvEEiEE10hipError_tPvRmT2_T3_T4_T5_mT6_T7_P12ihipStream_tbENKUlT_T0_E_clISt17integral_constantIbLb1EES15_EEDaS10_S11_EUlS10_E_NS1_11comp_targetILNS1_3genE4ELNS1_11target_archE910ELNS1_3gpuE8ELNS1_3repE0EEENS1_30default_config_static_selectorELNS0_4arch9wavefront6targetE0EEEvT1_.num_named_barrier, 0
	.set _ZN7rocprim17ROCPRIM_400000_NS6detail17trampoline_kernelINS0_14default_configENS1_27scan_by_key_config_selectorIiiEEZZNS1_16scan_by_key_implILNS1_25lookback_scan_determinismE0ELb0ES3_N6thrust23THRUST_200600_302600_NS18transform_iteratorI9which_rowNS9_17counting_iteratorIiNS9_11use_defaultESD_SD_EESD_SD_EENS9_6detail15normal_iteratorINS9_10device_ptrIiEEEESK_iNS9_4plusIvEENS9_8equal_toIvEEiEE10hipError_tPvRmT2_T3_T4_T5_mT6_T7_P12ihipStream_tbENKUlT_T0_E_clISt17integral_constantIbLb1EES15_EEDaS10_S11_EUlS10_E_NS1_11comp_targetILNS1_3genE4ELNS1_11target_archE910ELNS1_3gpuE8ELNS1_3repE0EEENS1_30default_config_static_selectorELNS0_4arch9wavefront6targetE0EEEvT1_.private_seg_size, 0
	.set _ZN7rocprim17ROCPRIM_400000_NS6detail17trampoline_kernelINS0_14default_configENS1_27scan_by_key_config_selectorIiiEEZZNS1_16scan_by_key_implILNS1_25lookback_scan_determinismE0ELb0ES3_N6thrust23THRUST_200600_302600_NS18transform_iteratorI9which_rowNS9_17counting_iteratorIiNS9_11use_defaultESD_SD_EESD_SD_EENS9_6detail15normal_iteratorINS9_10device_ptrIiEEEESK_iNS9_4plusIvEENS9_8equal_toIvEEiEE10hipError_tPvRmT2_T3_T4_T5_mT6_T7_P12ihipStream_tbENKUlT_T0_E_clISt17integral_constantIbLb1EES15_EEDaS10_S11_EUlS10_E_NS1_11comp_targetILNS1_3genE4ELNS1_11target_archE910ELNS1_3gpuE8ELNS1_3repE0EEENS1_30default_config_static_selectorELNS0_4arch9wavefront6targetE0EEEvT1_.uses_vcc, 0
	.set _ZN7rocprim17ROCPRIM_400000_NS6detail17trampoline_kernelINS0_14default_configENS1_27scan_by_key_config_selectorIiiEEZZNS1_16scan_by_key_implILNS1_25lookback_scan_determinismE0ELb0ES3_N6thrust23THRUST_200600_302600_NS18transform_iteratorI9which_rowNS9_17counting_iteratorIiNS9_11use_defaultESD_SD_EESD_SD_EENS9_6detail15normal_iteratorINS9_10device_ptrIiEEEESK_iNS9_4plusIvEENS9_8equal_toIvEEiEE10hipError_tPvRmT2_T3_T4_T5_mT6_T7_P12ihipStream_tbENKUlT_T0_E_clISt17integral_constantIbLb1EES15_EEDaS10_S11_EUlS10_E_NS1_11comp_targetILNS1_3genE4ELNS1_11target_archE910ELNS1_3gpuE8ELNS1_3repE0EEENS1_30default_config_static_selectorELNS0_4arch9wavefront6targetE0EEEvT1_.uses_flat_scratch, 0
	.set _ZN7rocprim17ROCPRIM_400000_NS6detail17trampoline_kernelINS0_14default_configENS1_27scan_by_key_config_selectorIiiEEZZNS1_16scan_by_key_implILNS1_25lookback_scan_determinismE0ELb0ES3_N6thrust23THRUST_200600_302600_NS18transform_iteratorI9which_rowNS9_17counting_iteratorIiNS9_11use_defaultESD_SD_EESD_SD_EENS9_6detail15normal_iteratorINS9_10device_ptrIiEEEESK_iNS9_4plusIvEENS9_8equal_toIvEEiEE10hipError_tPvRmT2_T3_T4_T5_mT6_T7_P12ihipStream_tbENKUlT_T0_E_clISt17integral_constantIbLb1EES15_EEDaS10_S11_EUlS10_E_NS1_11comp_targetILNS1_3genE4ELNS1_11target_archE910ELNS1_3gpuE8ELNS1_3repE0EEENS1_30default_config_static_selectorELNS0_4arch9wavefront6targetE0EEEvT1_.has_dyn_sized_stack, 0
	.set _ZN7rocprim17ROCPRIM_400000_NS6detail17trampoline_kernelINS0_14default_configENS1_27scan_by_key_config_selectorIiiEEZZNS1_16scan_by_key_implILNS1_25lookback_scan_determinismE0ELb0ES3_N6thrust23THRUST_200600_302600_NS18transform_iteratorI9which_rowNS9_17counting_iteratorIiNS9_11use_defaultESD_SD_EESD_SD_EENS9_6detail15normal_iteratorINS9_10device_ptrIiEEEESK_iNS9_4plusIvEENS9_8equal_toIvEEiEE10hipError_tPvRmT2_T3_T4_T5_mT6_T7_P12ihipStream_tbENKUlT_T0_E_clISt17integral_constantIbLb1EES15_EEDaS10_S11_EUlS10_E_NS1_11comp_targetILNS1_3genE4ELNS1_11target_archE910ELNS1_3gpuE8ELNS1_3repE0EEENS1_30default_config_static_selectorELNS0_4arch9wavefront6targetE0EEEvT1_.has_recursion, 0
	.set _ZN7rocprim17ROCPRIM_400000_NS6detail17trampoline_kernelINS0_14default_configENS1_27scan_by_key_config_selectorIiiEEZZNS1_16scan_by_key_implILNS1_25lookback_scan_determinismE0ELb0ES3_N6thrust23THRUST_200600_302600_NS18transform_iteratorI9which_rowNS9_17counting_iteratorIiNS9_11use_defaultESD_SD_EESD_SD_EENS9_6detail15normal_iteratorINS9_10device_ptrIiEEEESK_iNS9_4plusIvEENS9_8equal_toIvEEiEE10hipError_tPvRmT2_T3_T4_T5_mT6_T7_P12ihipStream_tbENKUlT_T0_E_clISt17integral_constantIbLb1EES15_EEDaS10_S11_EUlS10_E_NS1_11comp_targetILNS1_3genE4ELNS1_11target_archE910ELNS1_3gpuE8ELNS1_3repE0EEENS1_30default_config_static_selectorELNS0_4arch9wavefront6targetE0EEEvT1_.has_indirect_call, 0
	.section	.AMDGPU.csdata,"",@progbits
; Kernel info:
; codeLenInByte = 0
; TotalNumSgprs: 0
; NumVgprs: 0
; ScratchSize: 0
; MemoryBound: 0
; FloatMode: 240
; IeeeMode: 1
; LDSByteSize: 0 bytes/workgroup (compile time only)
; SGPRBlocks: 0
; VGPRBlocks: 0
; NumSGPRsForWavesPerEU: 1
; NumVGPRsForWavesPerEU: 1
; NamedBarCnt: 0
; Occupancy: 16
; WaveLimiterHint : 0
; COMPUTE_PGM_RSRC2:SCRATCH_EN: 0
; COMPUTE_PGM_RSRC2:USER_SGPR: 2
; COMPUTE_PGM_RSRC2:TRAP_HANDLER: 0
; COMPUTE_PGM_RSRC2:TGID_X_EN: 1
; COMPUTE_PGM_RSRC2:TGID_Y_EN: 0
; COMPUTE_PGM_RSRC2:TGID_Z_EN: 0
; COMPUTE_PGM_RSRC2:TIDIG_COMP_CNT: 0
	.section	.text._ZN7rocprim17ROCPRIM_400000_NS6detail17trampoline_kernelINS0_14default_configENS1_27scan_by_key_config_selectorIiiEEZZNS1_16scan_by_key_implILNS1_25lookback_scan_determinismE0ELb0ES3_N6thrust23THRUST_200600_302600_NS18transform_iteratorI9which_rowNS9_17counting_iteratorIiNS9_11use_defaultESD_SD_EESD_SD_EENS9_6detail15normal_iteratorINS9_10device_ptrIiEEEESK_iNS9_4plusIvEENS9_8equal_toIvEEiEE10hipError_tPvRmT2_T3_T4_T5_mT6_T7_P12ihipStream_tbENKUlT_T0_E_clISt17integral_constantIbLb1EES15_EEDaS10_S11_EUlS10_E_NS1_11comp_targetILNS1_3genE3ELNS1_11target_archE908ELNS1_3gpuE7ELNS1_3repE0EEENS1_30default_config_static_selectorELNS0_4arch9wavefront6targetE0EEEvT1_,"axG",@progbits,_ZN7rocprim17ROCPRIM_400000_NS6detail17trampoline_kernelINS0_14default_configENS1_27scan_by_key_config_selectorIiiEEZZNS1_16scan_by_key_implILNS1_25lookback_scan_determinismE0ELb0ES3_N6thrust23THRUST_200600_302600_NS18transform_iteratorI9which_rowNS9_17counting_iteratorIiNS9_11use_defaultESD_SD_EESD_SD_EENS9_6detail15normal_iteratorINS9_10device_ptrIiEEEESK_iNS9_4plusIvEENS9_8equal_toIvEEiEE10hipError_tPvRmT2_T3_T4_T5_mT6_T7_P12ihipStream_tbENKUlT_T0_E_clISt17integral_constantIbLb1EES15_EEDaS10_S11_EUlS10_E_NS1_11comp_targetILNS1_3genE3ELNS1_11target_archE908ELNS1_3gpuE7ELNS1_3repE0EEENS1_30default_config_static_selectorELNS0_4arch9wavefront6targetE0EEEvT1_,comdat
	.protected	_ZN7rocprim17ROCPRIM_400000_NS6detail17trampoline_kernelINS0_14default_configENS1_27scan_by_key_config_selectorIiiEEZZNS1_16scan_by_key_implILNS1_25lookback_scan_determinismE0ELb0ES3_N6thrust23THRUST_200600_302600_NS18transform_iteratorI9which_rowNS9_17counting_iteratorIiNS9_11use_defaultESD_SD_EESD_SD_EENS9_6detail15normal_iteratorINS9_10device_ptrIiEEEESK_iNS9_4plusIvEENS9_8equal_toIvEEiEE10hipError_tPvRmT2_T3_T4_T5_mT6_T7_P12ihipStream_tbENKUlT_T0_E_clISt17integral_constantIbLb1EES15_EEDaS10_S11_EUlS10_E_NS1_11comp_targetILNS1_3genE3ELNS1_11target_archE908ELNS1_3gpuE7ELNS1_3repE0EEENS1_30default_config_static_selectorELNS0_4arch9wavefront6targetE0EEEvT1_ ; -- Begin function _ZN7rocprim17ROCPRIM_400000_NS6detail17trampoline_kernelINS0_14default_configENS1_27scan_by_key_config_selectorIiiEEZZNS1_16scan_by_key_implILNS1_25lookback_scan_determinismE0ELb0ES3_N6thrust23THRUST_200600_302600_NS18transform_iteratorI9which_rowNS9_17counting_iteratorIiNS9_11use_defaultESD_SD_EESD_SD_EENS9_6detail15normal_iteratorINS9_10device_ptrIiEEEESK_iNS9_4plusIvEENS9_8equal_toIvEEiEE10hipError_tPvRmT2_T3_T4_T5_mT6_T7_P12ihipStream_tbENKUlT_T0_E_clISt17integral_constantIbLb1EES15_EEDaS10_S11_EUlS10_E_NS1_11comp_targetILNS1_3genE3ELNS1_11target_archE908ELNS1_3gpuE7ELNS1_3repE0EEENS1_30default_config_static_selectorELNS0_4arch9wavefront6targetE0EEEvT1_
	.globl	_ZN7rocprim17ROCPRIM_400000_NS6detail17trampoline_kernelINS0_14default_configENS1_27scan_by_key_config_selectorIiiEEZZNS1_16scan_by_key_implILNS1_25lookback_scan_determinismE0ELb0ES3_N6thrust23THRUST_200600_302600_NS18transform_iteratorI9which_rowNS9_17counting_iteratorIiNS9_11use_defaultESD_SD_EESD_SD_EENS9_6detail15normal_iteratorINS9_10device_ptrIiEEEESK_iNS9_4plusIvEENS9_8equal_toIvEEiEE10hipError_tPvRmT2_T3_T4_T5_mT6_T7_P12ihipStream_tbENKUlT_T0_E_clISt17integral_constantIbLb1EES15_EEDaS10_S11_EUlS10_E_NS1_11comp_targetILNS1_3genE3ELNS1_11target_archE908ELNS1_3gpuE7ELNS1_3repE0EEENS1_30default_config_static_selectorELNS0_4arch9wavefront6targetE0EEEvT1_
	.p2align	8
	.type	_ZN7rocprim17ROCPRIM_400000_NS6detail17trampoline_kernelINS0_14default_configENS1_27scan_by_key_config_selectorIiiEEZZNS1_16scan_by_key_implILNS1_25lookback_scan_determinismE0ELb0ES3_N6thrust23THRUST_200600_302600_NS18transform_iteratorI9which_rowNS9_17counting_iteratorIiNS9_11use_defaultESD_SD_EESD_SD_EENS9_6detail15normal_iteratorINS9_10device_ptrIiEEEESK_iNS9_4plusIvEENS9_8equal_toIvEEiEE10hipError_tPvRmT2_T3_T4_T5_mT6_T7_P12ihipStream_tbENKUlT_T0_E_clISt17integral_constantIbLb1EES15_EEDaS10_S11_EUlS10_E_NS1_11comp_targetILNS1_3genE3ELNS1_11target_archE908ELNS1_3gpuE7ELNS1_3repE0EEENS1_30default_config_static_selectorELNS0_4arch9wavefront6targetE0EEEvT1_,@function
_ZN7rocprim17ROCPRIM_400000_NS6detail17trampoline_kernelINS0_14default_configENS1_27scan_by_key_config_selectorIiiEEZZNS1_16scan_by_key_implILNS1_25lookback_scan_determinismE0ELb0ES3_N6thrust23THRUST_200600_302600_NS18transform_iteratorI9which_rowNS9_17counting_iteratorIiNS9_11use_defaultESD_SD_EESD_SD_EENS9_6detail15normal_iteratorINS9_10device_ptrIiEEEESK_iNS9_4plusIvEENS9_8equal_toIvEEiEE10hipError_tPvRmT2_T3_T4_T5_mT6_T7_P12ihipStream_tbENKUlT_T0_E_clISt17integral_constantIbLb1EES15_EEDaS10_S11_EUlS10_E_NS1_11comp_targetILNS1_3genE3ELNS1_11target_archE908ELNS1_3gpuE7ELNS1_3repE0EEENS1_30default_config_static_selectorELNS0_4arch9wavefront6targetE0EEEvT1_: ; @_ZN7rocprim17ROCPRIM_400000_NS6detail17trampoline_kernelINS0_14default_configENS1_27scan_by_key_config_selectorIiiEEZZNS1_16scan_by_key_implILNS1_25lookback_scan_determinismE0ELb0ES3_N6thrust23THRUST_200600_302600_NS18transform_iteratorI9which_rowNS9_17counting_iteratorIiNS9_11use_defaultESD_SD_EESD_SD_EENS9_6detail15normal_iteratorINS9_10device_ptrIiEEEESK_iNS9_4plusIvEENS9_8equal_toIvEEiEE10hipError_tPvRmT2_T3_T4_T5_mT6_T7_P12ihipStream_tbENKUlT_T0_E_clISt17integral_constantIbLb1EES15_EEDaS10_S11_EUlS10_E_NS1_11comp_targetILNS1_3genE3ELNS1_11target_archE908ELNS1_3gpuE7ELNS1_3repE0EEENS1_30default_config_static_selectorELNS0_4arch9wavefront6targetE0EEEvT1_
; %bb.0:
	.section	.rodata,"a",@progbits
	.p2align	6, 0x0
	.amdhsa_kernel _ZN7rocprim17ROCPRIM_400000_NS6detail17trampoline_kernelINS0_14default_configENS1_27scan_by_key_config_selectorIiiEEZZNS1_16scan_by_key_implILNS1_25lookback_scan_determinismE0ELb0ES3_N6thrust23THRUST_200600_302600_NS18transform_iteratorI9which_rowNS9_17counting_iteratorIiNS9_11use_defaultESD_SD_EESD_SD_EENS9_6detail15normal_iteratorINS9_10device_ptrIiEEEESK_iNS9_4plusIvEENS9_8equal_toIvEEiEE10hipError_tPvRmT2_T3_T4_T5_mT6_T7_P12ihipStream_tbENKUlT_T0_E_clISt17integral_constantIbLb1EES15_EEDaS10_S11_EUlS10_E_NS1_11comp_targetILNS1_3genE3ELNS1_11target_archE908ELNS1_3gpuE7ELNS1_3repE0EEENS1_30default_config_static_selectorELNS0_4arch9wavefront6targetE0EEEvT1_
		.amdhsa_group_segment_fixed_size 0
		.amdhsa_private_segment_fixed_size 0
		.amdhsa_kernarg_size 112
		.amdhsa_user_sgpr_count 2
		.amdhsa_user_sgpr_dispatch_ptr 0
		.amdhsa_user_sgpr_queue_ptr 0
		.amdhsa_user_sgpr_kernarg_segment_ptr 1
		.amdhsa_user_sgpr_dispatch_id 0
		.amdhsa_user_sgpr_kernarg_preload_length 0
		.amdhsa_user_sgpr_kernarg_preload_offset 0
		.amdhsa_user_sgpr_private_segment_size 0
		.amdhsa_wavefront_size32 1
		.amdhsa_uses_dynamic_stack 0
		.amdhsa_enable_private_segment 0
		.amdhsa_system_sgpr_workgroup_id_x 1
		.amdhsa_system_sgpr_workgroup_id_y 0
		.amdhsa_system_sgpr_workgroup_id_z 0
		.amdhsa_system_sgpr_workgroup_info 0
		.amdhsa_system_vgpr_workitem_id 0
		.amdhsa_next_free_vgpr 1
		.amdhsa_next_free_sgpr 1
		.amdhsa_named_barrier_count 0
		.amdhsa_reserve_vcc 0
		.amdhsa_float_round_mode_32 0
		.amdhsa_float_round_mode_16_64 0
		.amdhsa_float_denorm_mode_32 3
		.amdhsa_float_denorm_mode_16_64 3
		.amdhsa_fp16_overflow 0
		.amdhsa_memory_ordered 1
		.amdhsa_forward_progress 1
		.amdhsa_inst_pref_size 0
		.amdhsa_round_robin_scheduling 0
		.amdhsa_exception_fp_ieee_invalid_op 0
		.amdhsa_exception_fp_denorm_src 0
		.amdhsa_exception_fp_ieee_div_zero 0
		.amdhsa_exception_fp_ieee_overflow 0
		.amdhsa_exception_fp_ieee_underflow 0
		.amdhsa_exception_fp_ieee_inexact 0
		.amdhsa_exception_int_div_zero 0
	.end_amdhsa_kernel
	.section	.text._ZN7rocprim17ROCPRIM_400000_NS6detail17trampoline_kernelINS0_14default_configENS1_27scan_by_key_config_selectorIiiEEZZNS1_16scan_by_key_implILNS1_25lookback_scan_determinismE0ELb0ES3_N6thrust23THRUST_200600_302600_NS18transform_iteratorI9which_rowNS9_17counting_iteratorIiNS9_11use_defaultESD_SD_EESD_SD_EENS9_6detail15normal_iteratorINS9_10device_ptrIiEEEESK_iNS9_4plusIvEENS9_8equal_toIvEEiEE10hipError_tPvRmT2_T3_T4_T5_mT6_T7_P12ihipStream_tbENKUlT_T0_E_clISt17integral_constantIbLb1EES15_EEDaS10_S11_EUlS10_E_NS1_11comp_targetILNS1_3genE3ELNS1_11target_archE908ELNS1_3gpuE7ELNS1_3repE0EEENS1_30default_config_static_selectorELNS0_4arch9wavefront6targetE0EEEvT1_,"axG",@progbits,_ZN7rocprim17ROCPRIM_400000_NS6detail17trampoline_kernelINS0_14default_configENS1_27scan_by_key_config_selectorIiiEEZZNS1_16scan_by_key_implILNS1_25lookback_scan_determinismE0ELb0ES3_N6thrust23THRUST_200600_302600_NS18transform_iteratorI9which_rowNS9_17counting_iteratorIiNS9_11use_defaultESD_SD_EESD_SD_EENS9_6detail15normal_iteratorINS9_10device_ptrIiEEEESK_iNS9_4plusIvEENS9_8equal_toIvEEiEE10hipError_tPvRmT2_T3_T4_T5_mT6_T7_P12ihipStream_tbENKUlT_T0_E_clISt17integral_constantIbLb1EES15_EEDaS10_S11_EUlS10_E_NS1_11comp_targetILNS1_3genE3ELNS1_11target_archE908ELNS1_3gpuE7ELNS1_3repE0EEENS1_30default_config_static_selectorELNS0_4arch9wavefront6targetE0EEEvT1_,comdat
.Lfunc_end101:
	.size	_ZN7rocprim17ROCPRIM_400000_NS6detail17trampoline_kernelINS0_14default_configENS1_27scan_by_key_config_selectorIiiEEZZNS1_16scan_by_key_implILNS1_25lookback_scan_determinismE0ELb0ES3_N6thrust23THRUST_200600_302600_NS18transform_iteratorI9which_rowNS9_17counting_iteratorIiNS9_11use_defaultESD_SD_EESD_SD_EENS9_6detail15normal_iteratorINS9_10device_ptrIiEEEESK_iNS9_4plusIvEENS9_8equal_toIvEEiEE10hipError_tPvRmT2_T3_T4_T5_mT6_T7_P12ihipStream_tbENKUlT_T0_E_clISt17integral_constantIbLb1EES15_EEDaS10_S11_EUlS10_E_NS1_11comp_targetILNS1_3genE3ELNS1_11target_archE908ELNS1_3gpuE7ELNS1_3repE0EEENS1_30default_config_static_selectorELNS0_4arch9wavefront6targetE0EEEvT1_, .Lfunc_end101-_ZN7rocprim17ROCPRIM_400000_NS6detail17trampoline_kernelINS0_14default_configENS1_27scan_by_key_config_selectorIiiEEZZNS1_16scan_by_key_implILNS1_25lookback_scan_determinismE0ELb0ES3_N6thrust23THRUST_200600_302600_NS18transform_iteratorI9which_rowNS9_17counting_iteratorIiNS9_11use_defaultESD_SD_EESD_SD_EENS9_6detail15normal_iteratorINS9_10device_ptrIiEEEESK_iNS9_4plusIvEENS9_8equal_toIvEEiEE10hipError_tPvRmT2_T3_T4_T5_mT6_T7_P12ihipStream_tbENKUlT_T0_E_clISt17integral_constantIbLb1EES15_EEDaS10_S11_EUlS10_E_NS1_11comp_targetILNS1_3genE3ELNS1_11target_archE908ELNS1_3gpuE7ELNS1_3repE0EEENS1_30default_config_static_selectorELNS0_4arch9wavefront6targetE0EEEvT1_
                                        ; -- End function
	.set _ZN7rocprim17ROCPRIM_400000_NS6detail17trampoline_kernelINS0_14default_configENS1_27scan_by_key_config_selectorIiiEEZZNS1_16scan_by_key_implILNS1_25lookback_scan_determinismE0ELb0ES3_N6thrust23THRUST_200600_302600_NS18transform_iteratorI9which_rowNS9_17counting_iteratorIiNS9_11use_defaultESD_SD_EESD_SD_EENS9_6detail15normal_iteratorINS9_10device_ptrIiEEEESK_iNS9_4plusIvEENS9_8equal_toIvEEiEE10hipError_tPvRmT2_T3_T4_T5_mT6_T7_P12ihipStream_tbENKUlT_T0_E_clISt17integral_constantIbLb1EES15_EEDaS10_S11_EUlS10_E_NS1_11comp_targetILNS1_3genE3ELNS1_11target_archE908ELNS1_3gpuE7ELNS1_3repE0EEENS1_30default_config_static_selectorELNS0_4arch9wavefront6targetE0EEEvT1_.num_vgpr, 0
	.set _ZN7rocprim17ROCPRIM_400000_NS6detail17trampoline_kernelINS0_14default_configENS1_27scan_by_key_config_selectorIiiEEZZNS1_16scan_by_key_implILNS1_25lookback_scan_determinismE0ELb0ES3_N6thrust23THRUST_200600_302600_NS18transform_iteratorI9which_rowNS9_17counting_iteratorIiNS9_11use_defaultESD_SD_EESD_SD_EENS9_6detail15normal_iteratorINS9_10device_ptrIiEEEESK_iNS9_4plusIvEENS9_8equal_toIvEEiEE10hipError_tPvRmT2_T3_T4_T5_mT6_T7_P12ihipStream_tbENKUlT_T0_E_clISt17integral_constantIbLb1EES15_EEDaS10_S11_EUlS10_E_NS1_11comp_targetILNS1_3genE3ELNS1_11target_archE908ELNS1_3gpuE7ELNS1_3repE0EEENS1_30default_config_static_selectorELNS0_4arch9wavefront6targetE0EEEvT1_.num_agpr, 0
	.set _ZN7rocprim17ROCPRIM_400000_NS6detail17trampoline_kernelINS0_14default_configENS1_27scan_by_key_config_selectorIiiEEZZNS1_16scan_by_key_implILNS1_25lookback_scan_determinismE0ELb0ES3_N6thrust23THRUST_200600_302600_NS18transform_iteratorI9which_rowNS9_17counting_iteratorIiNS9_11use_defaultESD_SD_EESD_SD_EENS9_6detail15normal_iteratorINS9_10device_ptrIiEEEESK_iNS9_4plusIvEENS9_8equal_toIvEEiEE10hipError_tPvRmT2_T3_T4_T5_mT6_T7_P12ihipStream_tbENKUlT_T0_E_clISt17integral_constantIbLb1EES15_EEDaS10_S11_EUlS10_E_NS1_11comp_targetILNS1_3genE3ELNS1_11target_archE908ELNS1_3gpuE7ELNS1_3repE0EEENS1_30default_config_static_selectorELNS0_4arch9wavefront6targetE0EEEvT1_.numbered_sgpr, 0
	.set _ZN7rocprim17ROCPRIM_400000_NS6detail17trampoline_kernelINS0_14default_configENS1_27scan_by_key_config_selectorIiiEEZZNS1_16scan_by_key_implILNS1_25lookback_scan_determinismE0ELb0ES3_N6thrust23THRUST_200600_302600_NS18transform_iteratorI9which_rowNS9_17counting_iteratorIiNS9_11use_defaultESD_SD_EESD_SD_EENS9_6detail15normal_iteratorINS9_10device_ptrIiEEEESK_iNS9_4plusIvEENS9_8equal_toIvEEiEE10hipError_tPvRmT2_T3_T4_T5_mT6_T7_P12ihipStream_tbENKUlT_T0_E_clISt17integral_constantIbLb1EES15_EEDaS10_S11_EUlS10_E_NS1_11comp_targetILNS1_3genE3ELNS1_11target_archE908ELNS1_3gpuE7ELNS1_3repE0EEENS1_30default_config_static_selectorELNS0_4arch9wavefront6targetE0EEEvT1_.num_named_barrier, 0
	.set _ZN7rocprim17ROCPRIM_400000_NS6detail17trampoline_kernelINS0_14default_configENS1_27scan_by_key_config_selectorIiiEEZZNS1_16scan_by_key_implILNS1_25lookback_scan_determinismE0ELb0ES3_N6thrust23THRUST_200600_302600_NS18transform_iteratorI9which_rowNS9_17counting_iteratorIiNS9_11use_defaultESD_SD_EESD_SD_EENS9_6detail15normal_iteratorINS9_10device_ptrIiEEEESK_iNS9_4plusIvEENS9_8equal_toIvEEiEE10hipError_tPvRmT2_T3_T4_T5_mT6_T7_P12ihipStream_tbENKUlT_T0_E_clISt17integral_constantIbLb1EES15_EEDaS10_S11_EUlS10_E_NS1_11comp_targetILNS1_3genE3ELNS1_11target_archE908ELNS1_3gpuE7ELNS1_3repE0EEENS1_30default_config_static_selectorELNS0_4arch9wavefront6targetE0EEEvT1_.private_seg_size, 0
	.set _ZN7rocprim17ROCPRIM_400000_NS6detail17trampoline_kernelINS0_14default_configENS1_27scan_by_key_config_selectorIiiEEZZNS1_16scan_by_key_implILNS1_25lookback_scan_determinismE0ELb0ES3_N6thrust23THRUST_200600_302600_NS18transform_iteratorI9which_rowNS9_17counting_iteratorIiNS9_11use_defaultESD_SD_EESD_SD_EENS9_6detail15normal_iteratorINS9_10device_ptrIiEEEESK_iNS9_4plusIvEENS9_8equal_toIvEEiEE10hipError_tPvRmT2_T3_T4_T5_mT6_T7_P12ihipStream_tbENKUlT_T0_E_clISt17integral_constantIbLb1EES15_EEDaS10_S11_EUlS10_E_NS1_11comp_targetILNS1_3genE3ELNS1_11target_archE908ELNS1_3gpuE7ELNS1_3repE0EEENS1_30default_config_static_selectorELNS0_4arch9wavefront6targetE0EEEvT1_.uses_vcc, 0
	.set _ZN7rocprim17ROCPRIM_400000_NS6detail17trampoline_kernelINS0_14default_configENS1_27scan_by_key_config_selectorIiiEEZZNS1_16scan_by_key_implILNS1_25lookback_scan_determinismE0ELb0ES3_N6thrust23THRUST_200600_302600_NS18transform_iteratorI9which_rowNS9_17counting_iteratorIiNS9_11use_defaultESD_SD_EESD_SD_EENS9_6detail15normal_iteratorINS9_10device_ptrIiEEEESK_iNS9_4plusIvEENS9_8equal_toIvEEiEE10hipError_tPvRmT2_T3_T4_T5_mT6_T7_P12ihipStream_tbENKUlT_T0_E_clISt17integral_constantIbLb1EES15_EEDaS10_S11_EUlS10_E_NS1_11comp_targetILNS1_3genE3ELNS1_11target_archE908ELNS1_3gpuE7ELNS1_3repE0EEENS1_30default_config_static_selectorELNS0_4arch9wavefront6targetE0EEEvT1_.uses_flat_scratch, 0
	.set _ZN7rocprim17ROCPRIM_400000_NS6detail17trampoline_kernelINS0_14default_configENS1_27scan_by_key_config_selectorIiiEEZZNS1_16scan_by_key_implILNS1_25lookback_scan_determinismE0ELb0ES3_N6thrust23THRUST_200600_302600_NS18transform_iteratorI9which_rowNS9_17counting_iteratorIiNS9_11use_defaultESD_SD_EESD_SD_EENS9_6detail15normal_iteratorINS9_10device_ptrIiEEEESK_iNS9_4plusIvEENS9_8equal_toIvEEiEE10hipError_tPvRmT2_T3_T4_T5_mT6_T7_P12ihipStream_tbENKUlT_T0_E_clISt17integral_constantIbLb1EES15_EEDaS10_S11_EUlS10_E_NS1_11comp_targetILNS1_3genE3ELNS1_11target_archE908ELNS1_3gpuE7ELNS1_3repE0EEENS1_30default_config_static_selectorELNS0_4arch9wavefront6targetE0EEEvT1_.has_dyn_sized_stack, 0
	.set _ZN7rocprim17ROCPRIM_400000_NS6detail17trampoline_kernelINS0_14default_configENS1_27scan_by_key_config_selectorIiiEEZZNS1_16scan_by_key_implILNS1_25lookback_scan_determinismE0ELb0ES3_N6thrust23THRUST_200600_302600_NS18transform_iteratorI9which_rowNS9_17counting_iteratorIiNS9_11use_defaultESD_SD_EESD_SD_EENS9_6detail15normal_iteratorINS9_10device_ptrIiEEEESK_iNS9_4plusIvEENS9_8equal_toIvEEiEE10hipError_tPvRmT2_T3_T4_T5_mT6_T7_P12ihipStream_tbENKUlT_T0_E_clISt17integral_constantIbLb1EES15_EEDaS10_S11_EUlS10_E_NS1_11comp_targetILNS1_3genE3ELNS1_11target_archE908ELNS1_3gpuE7ELNS1_3repE0EEENS1_30default_config_static_selectorELNS0_4arch9wavefront6targetE0EEEvT1_.has_recursion, 0
	.set _ZN7rocprim17ROCPRIM_400000_NS6detail17trampoline_kernelINS0_14default_configENS1_27scan_by_key_config_selectorIiiEEZZNS1_16scan_by_key_implILNS1_25lookback_scan_determinismE0ELb0ES3_N6thrust23THRUST_200600_302600_NS18transform_iteratorI9which_rowNS9_17counting_iteratorIiNS9_11use_defaultESD_SD_EESD_SD_EENS9_6detail15normal_iteratorINS9_10device_ptrIiEEEESK_iNS9_4plusIvEENS9_8equal_toIvEEiEE10hipError_tPvRmT2_T3_T4_T5_mT6_T7_P12ihipStream_tbENKUlT_T0_E_clISt17integral_constantIbLb1EES15_EEDaS10_S11_EUlS10_E_NS1_11comp_targetILNS1_3genE3ELNS1_11target_archE908ELNS1_3gpuE7ELNS1_3repE0EEENS1_30default_config_static_selectorELNS0_4arch9wavefront6targetE0EEEvT1_.has_indirect_call, 0
	.section	.AMDGPU.csdata,"",@progbits
; Kernel info:
; codeLenInByte = 0
; TotalNumSgprs: 0
; NumVgprs: 0
; ScratchSize: 0
; MemoryBound: 0
; FloatMode: 240
; IeeeMode: 1
; LDSByteSize: 0 bytes/workgroup (compile time only)
; SGPRBlocks: 0
; VGPRBlocks: 0
; NumSGPRsForWavesPerEU: 1
; NumVGPRsForWavesPerEU: 1
; NamedBarCnt: 0
; Occupancy: 16
; WaveLimiterHint : 0
; COMPUTE_PGM_RSRC2:SCRATCH_EN: 0
; COMPUTE_PGM_RSRC2:USER_SGPR: 2
; COMPUTE_PGM_RSRC2:TRAP_HANDLER: 0
; COMPUTE_PGM_RSRC2:TGID_X_EN: 1
; COMPUTE_PGM_RSRC2:TGID_Y_EN: 0
; COMPUTE_PGM_RSRC2:TGID_Z_EN: 0
; COMPUTE_PGM_RSRC2:TIDIG_COMP_CNT: 0
	.section	.text._ZN7rocprim17ROCPRIM_400000_NS6detail17trampoline_kernelINS0_14default_configENS1_27scan_by_key_config_selectorIiiEEZZNS1_16scan_by_key_implILNS1_25lookback_scan_determinismE0ELb0ES3_N6thrust23THRUST_200600_302600_NS18transform_iteratorI9which_rowNS9_17counting_iteratorIiNS9_11use_defaultESD_SD_EESD_SD_EENS9_6detail15normal_iteratorINS9_10device_ptrIiEEEESK_iNS9_4plusIvEENS9_8equal_toIvEEiEE10hipError_tPvRmT2_T3_T4_T5_mT6_T7_P12ihipStream_tbENKUlT_T0_E_clISt17integral_constantIbLb1EES15_EEDaS10_S11_EUlS10_E_NS1_11comp_targetILNS1_3genE2ELNS1_11target_archE906ELNS1_3gpuE6ELNS1_3repE0EEENS1_30default_config_static_selectorELNS0_4arch9wavefront6targetE0EEEvT1_,"axG",@progbits,_ZN7rocprim17ROCPRIM_400000_NS6detail17trampoline_kernelINS0_14default_configENS1_27scan_by_key_config_selectorIiiEEZZNS1_16scan_by_key_implILNS1_25lookback_scan_determinismE0ELb0ES3_N6thrust23THRUST_200600_302600_NS18transform_iteratorI9which_rowNS9_17counting_iteratorIiNS9_11use_defaultESD_SD_EESD_SD_EENS9_6detail15normal_iteratorINS9_10device_ptrIiEEEESK_iNS9_4plusIvEENS9_8equal_toIvEEiEE10hipError_tPvRmT2_T3_T4_T5_mT6_T7_P12ihipStream_tbENKUlT_T0_E_clISt17integral_constantIbLb1EES15_EEDaS10_S11_EUlS10_E_NS1_11comp_targetILNS1_3genE2ELNS1_11target_archE906ELNS1_3gpuE6ELNS1_3repE0EEENS1_30default_config_static_selectorELNS0_4arch9wavefront6targetE0EEEvT1_,comdat
	.protected	_ZN7rocprim17ROCPRIM_400000_NS6detail17trampoline_kernelINS0_14default_configENS1_27scan_by_key_config_selectorIiiEEZZNS1_16scan_by_key_implILNS1_25lookback_scan_determinismE0ELb0ES3_N6thrust23THRUST_200600_302600_NS18transform_iteratorI9which_rowNS9_17counting_iteratorIiNS9_11use_defaultESD_SD_EESD_SD_EENS9_6detail15normal_iteratorINS9_10device_ptrIiEEEESK_iNS9_4plusIvEENS9_8equal_toIvEEiEE10hipError_tPvRmT2_T3_T4_T5_mT6_T7_P12ihipStream_tbENKUlT_T0_E_clISt17integral_constantIbLb1EES15_EEDaS10_S11_EUlS10_E_NS1_11comp_targetILNS1_3genE2ELNS1_11target_archE906ELNS1_3gpuE6ELNS1_3repE0EEENS1_30default_config_static_selectorELNS0_4arch9wavefront6targetE0EEEvT1_ ; -- Begin function _ZN7rocprim17ROCPRIM_400000_NS6detail17trampoline_kernelINS0_14default_configENS1_27scan_by_key_config_selectorIiiEEZZNS1_16scan_by_key_implILNS1_25lookback_scan_determinismE0ELb0ES3_N6thrust23THRUST_200600_302600_NS18transform_iteratorI9which_rowNS9_17counting_iteratorIiNS9_11use_defaultESD_SD_EESD_SD_EENS9_6detail15normal_iteratorINS9_10device_ptrIiEEEESK_iNS9_4plusIvEENS9_8equal_toIvEEiEE10hipError_tPvRmT2_T3_T4_T5_mT6_T7_P12ihipStream_tbENKUlT_T0_E_clISt17integral_constantIbLb1EES15_EEDaS10_S11_EUlS10_E_NS1_11comp_targetILNS1_3genE2ELNS1_11target_archE906ELNS1_3gpuE6ELNS1_3repE0EEENS1_30default_config_static_selectorELNS0_4arch9wavefront6targetE0EEEvT1_
	.globl	_ZN7rocprim17ROCPRIM_400000_NS6detail17trampoline_kernelINS0_14default_configENS1_27scan_by_key_config_selectorIiiEEZZNS1_16scan_by_key_implILNS1_25lookback_scan_determinismE0ELb0ES3_N6thrust23THRUST_200600_302600_NS18transform_iteratorI9which_rowNS9_17counting_iteratorIiNS9_11use_defaultESD_SD_EESD_SD_EENS9_6detail15normal_iteratorINS9_10device_ptrIiEEEESK_iNS9_4plusIvEENS9_8equal_toIvEEiEE10hipError_tPvRmT2_T3_T4_T5_mT6_T7_P12ihipStream_tbENKUlT_T0_E_clISt17integral_constantIbLb1EES15_EEDaS10_S11_EUlS10_E_NS1_11comp_targetILNS1_3genE2ELNS1_11target_archE906ELNS1_3gpuE6ELNS1_3repE0EEENS1_30default_config_static_selectorELNS0_4arch9wavefront6targetE0EEEvT1_
	.p2align	8
	.type	_ZN7rocprim17ROCPRIM_400000_NS6detail17trampoline_kernelINS0_14default_configENS1_27scan_by_key_config_selectorIiiEEZZNS1_16scan_by_key_implILNS1_25lookback_scan_determinismE0ELb0ES3_N6thrust23THRUST_200600_302600_NS18transform_iteratorI9which_rowNS9_17counting_iteratorIiNS9_11use_defaultESD_SD_EESD_SD_EENS9_6detail15normal_iteratorINS9_10device_ptrIiEEEESK_iNS9_4plusIvEENS9_8equal_toIvEEiEE10hipError_tPvRmT2_T3_T4_T5_mT6_T7_P12ihipStream_tbENKUlT_T0_E_clISt17integral_constantIbLb1EES15_EEDaS10_S11_EUlS10_E_NS1_11comp_targetILNS1_3genE2ELNS1_11target_archE906ELNS1_3gpuE6ELNS1_3repE0EEENS1_30default_config_static_selectorELNS0_4arch9wavefront6targetE0EEEvT1_,@function
_ZN7rocprim17ROCPRIM_400000_NS6detail17trampoline_kernelINS0_14default_configENS1_27scan_by_key_config_selectorIiiEEZZNS1_16scan_by_key_implILNS1_25lookback_scan_determinismE0ELb0ES3_N6thrust23THRUST_200600_302600_NS18transform_iteratorI9which_rowNS9_17counting_iteratorIiNS9_11use_defaultESD_SD_EESD_SD_EENS9_6detail15normal_iteratorINS9_10device_ptrIiEEEESK_iNS9_4plusIvEENS9_8equal_toIvEEiEE10hipError_tPvRmT2_T3_T4_T5_mT6_T7_P12ihipStream_tbENKUlT_T0_E_clISt17integral_constantIbLb1EES15_EEDaS10_S11_EUlS10_E_NS1_11comp_targetILNS1_3genE2ELNS1_11target_archE906ELNS1_3gpuE6ELNS1_3repE0EEENS1_30default_config_static_selectorELNS0_4arch9wavefront6targetE0EEEvT1_: ; @_ZN7rocprim17ROCPRIM_400000_NS6detail17trampoline_kernelINS0_14default_configENS1_27scan_by_key_config_selectorIiiEEZZNS1_16scan_by_key_implILNS1_25lookback_scan_determinismE0ELb0ES3_N6thrust23THRUST_200600_302600_NS18transform_iteratorI9which_rowNS9_17counting_iteratorIiNS9_11use_defaultESD_SD_EESD_SD_EENS9_6detail15normal_iteratorINS9_10device_ptrIiEEEESK_iNS9_4plusIvEENS9_8equal_toIvEEiEE10hipError_tPvRmT2_T3_T4_T5_mT6_T7_P12ihipStream_tbENKUlT_T0_E_clISt17integral_constantIbLb1EES15_EEDaS10_S11_EUlS10_E_NS1_11comp_targetILNS1_3genE2ELNS1_11target_archE906ELNS1_3gpuE6ELNS1_3repE0EEENS1_30default_config_static_selectorELNS0_4arch9wavefront6targetE0EEEvT1_
; %bb.0:
	.section	.rodata,"a",@progbits
	.p2align	6, 0x0
	.amdhsa_kernel _ZN7rocprim17ROCPRIM_400000_NS6detail17trampoline_kernelINS0_14default_configENS1_27scan_by_key_config_selectorIiiEEZZNS1_16scan_by_key_implILNS1_25lookback_scan_determinismE0ELb0ES3_N6thrust23THRUST_200600_302600_NS18transform_iteratorI9which_rowNS9_17counting_iteratorIiNS9_11use_defaultESD_SD_EESD_SD_EENS9_6detail15normal_iteratorINS9_10device_ptrIiEEEESK_iNS9_4plusIvEENS9_8equal_toIvEEiEE10hipError_tPvRmT2_T3_T4_T5_mT6_T7_P12ihipStream_tbENKUlT_T0_E_clISt17integral_constantIbLb1EES15_EEDaS10_S11_EUlS10_E_NS1_11comp_targetILNS1_3genE2ELNS1_11target_archE906ELNS1_3gpuE6ELNS1_3repE0EEENS1_30default_config_static_selectorELNS0_4arch9wavefront6targetE0EEEvT1_
		.amdhsa_group_segment_fixed_size 0
		.amdhsa_private_segment_fixed_size 0
		.amdhsa_kernarg_size 112
		.amdhsa_user_sgpr_count 2
		.amdhsa_user_sgpr_dispatch_ptr 0
		.amdhsa_user_sgpr_queue_ptr 0
		.amdhsa_user_sgpr_kernarg_segment_ptr 1
		.amdhsa_user_sgpr_dispatch_id 0
		.amdhsa_user_sgpr_kernarg_preload_length 0
		.amdhsa_user_sgpr_kernarg_preload_offset 0
		.amdhsa_user_sgpr_private_segment_size 0
		.amdhsa_wavefront_size32 1
		.amdhsa_uses_dynamic_stack 0
		.amdhsa_enable_private_segment 0
		.amdhsa_system_sgpr_workgroup_id_x 1
		.amdhsa_system_sgpr_workgroup_id_y 0
		.amdhsa_system_sgpr_workgroup_id_z 0
		.amdhsa_system_sgpr_workgroup_info 0
		.amdhsa_system_vgpr_workitem_id 0
		.amdhsa_next_free_vgpr 1
		.amdhsa_next_free_sgpr 1
		.amdhsa_named_barrier_count 0
		.amdhsa_reserve_vcc 0
		.amdhsa_float_round_mode_32 0
		.amdhsa_float_round_mode_16_64 0
		.amdhsa_float_denorm_mode_32 3
		.amdhsa_float_denorm_mode_16_64 3
		.amdhsa_fp16_overflow 0
		.amdhsa_memory_ordered 1
		.amdhsa_forward_progress 1
		.amdhsa_inst_pref_size 0
		.amdhsa_round_robin_scheduling 0
		.amdhsa_exception_fp_ieee_invalid_op 0
		.amdhsa_exception_fp_denorm_src 0
		.amdhsa_exception_fp_ieee_div_zero 0
		.amdhsa_exception_fp_ieee_overflow 0
		.amdhsa_exception_fp_ieee_underflow 0
		.amdhsa_exception_fp_ieee_inexact 0
		.amdhsa_exception_int_div_zero 0
	.end_amdhsa_kernel
	.section	.text._ZN7rocprim17ROCPRIM_400000_NS6detail17trampoline_kernelINS0_14default_configENS1_27scan_by_key_config_selectorIiiEEZZNS1_16scan_by_key_implILNS1_25lookback_scan_determinismE0ELb0ES3_N6thrust23THRUST_200600_302600_NS18transform_iteratorI9which_rowNS9_17counting_iteratorIiNS9_11use_defaultESD_SD_EESD_SD_EENS9_6detail15normal_iteratorINS9_10device_ptrIiEEEESK_iNS9_4plusIvEENS9_8equal_toIvEEiEE10hipError_tPvRmT2_T3_T4_T5_mT6_T7_P12ihipStream_tbENKUlT_T0_E_clISt17integral_constantIbLb1EES15_EEDaS10_S11_EUlS10_E_NS1_11comp_targetILNS1_3genE2ELNS1_11target_archE906ELNS1_3gpuE6ELNS1_3repE0EEENS1_30default_config_static_selectorELNS0_4arch9wavefront6targetE0EEEvT1_,"axG",@progbits,_ZN7rocprim17ROCPRIM_400000_NS6detail17trampoline_kernelINS0_14default_configENS1_27scan_by_key_config_selectorIiiEEZZNS1_16scan_by_key_implILNS1_25lookback_scan_determinismE0ELb0ES3_N6thrust23THRUST_200600_302600_NS18transform_iteratorI9which_rowNS9_17counting_iteratorIiNS9_11use_defaultESD_SD_EESD_SD_EENS9_6detail15normal_iteratorINS9_10device_ptrIiEEEESK_iNS9_4plusIvEENS9_8equal_toIvEEiEE10hipError_tPvRmT2_T3_T4_T5_mT6_T7_P12ihipStream_tbENKUlT_T0_E_clISt17integral_constantIbLb1EES15_EEDaS10_S11_EUlS10_E_NS1_11comp_targetILNS1_3genE2ELNS1_11target_archE906ELNS1_3gpuE6ELNS1_3repE0EEENS1_30default_config_static_selectorELNS0_4arch9wavefront6targetE0EEEvT1_,comdat
.Lfunc_end102:
	.size	_ZN7rocprim17ROCPRIM_400000_NS6detail17trampoline_kernelINS0_14default_configENS1_27scan_by_key_config_selectorIiiEEZZNS1_16scan_by_key_implILNS1_25lookback_scan_determinismE0ELb0ES3_N6thrust23THRUST_200600_302600_NS18transform_iteratorI9which_rowNS9_17counting_iteratorIiNS9_11use_defaultESD_SD_EESD_SD_EENS9_6detail15normal_iteratorINS9_10device_ptrIiEEEESK_iNS9_4plusIvEENS9_8equal_toIvEEiEE10hipError_tPvRmT2_T3_T4_T5_mT6_T7_P12ihipStream_tbENKUlT_T0_E_clISt17integral_constantIbLb1EES15_EEDaS10_S11_EUlS10_E_NS1_11comp_targetILNS1_3genE2ELNS1_11target_archE906ELNS1_3gpuE6ELNS1_3repE0EEENS1_30default_config_static_selectorELNS0_4arch9wavefront6targetE0EEEvT1_, .Lfunc_end102-_ZN7rocprim17ROCPRIM_400000_NS6detail17trampoline_kernelINS0_14default_configENS1_27scan_by_key_config_selectorIiiEEZZNS1_16scan_by_key_implILNS1_25lookback_scan_determinismE0ELb0ES3_N6thrust23THRUST_200600_302600_NS18transform_iteratorI9which_rowNS9_17counting_iteratorIiNS9_11use_defaultESD_SD_EESD_SD_EENS9_6detail15normal_iteratorINS9_10device_ptrIiEEEESK_iNS9_4plusIvEENS9_8equal_toIvEEiEE10hipError_tPvRmT2_T3_T4_T5_mT6_T7_P12ihipStream_tbENKUlT_T0_E_clISt17integral_constantIbLb1EES15_EEDaS10_S11_EUlS10_E_NS1_11comp_targetILNS1_3genE2ELNS1_11target_archE906ELNS1_3gpuE6ELNS1_3repE0EEENS1_30default_config_static_selectorELNS0_4arch9wavefront6targetE0EEEvT1_
                                        ; -- End function
	.set _ZN7rocprim17ROCPRIM_400000_NS6detail17trampoline_kernelINS0_14default_configENS1_27scan_by_key_config_selectorIiiEEZZNS1_16scan_by_key_implILNS1_25lookback_scan_determinismE0ELb0ES3_N6thrust23THRUST_200600_302600_NS18transform_iteratorI9which_rowNS9_17counting_iteratorIiNS9_11use_defaultESD_SD_EESD_SD_EENS9_6detail15normal_iteratorINS9_10device_ptrIiEEEESK_iNS9_4plusIvEENS9_8equal_toIvEEiEE10hipError_tPvRmT2_T3_T4_T5_mT6_T7_P12ihipStream_tbENKUlT_T0_E_clISt17integral_constantIbLb1EES15_EEDaS10_S11_EUlS10_E_NS1_11comp_targetILNS1_3genE2ELNS1_11target_archE906ELNS1_3gpuE6ELNS1_3repE0EEENS1_30default_config_static_selectorELNS0_4arch9wavefront6targetE0EEEvT1_.num_vgpr, 0
	.set _ZN7rocprim17ROCPRIM_400000_NS6detail17trampoline_kernelINS0_14default_configENS1_27scan_by_key_config_selectorIiiEEZZNS1_16scan_by_key_implILNS1_25lookback_scan_determinismE0ELb0ES3_N6thrust23THRUST_200600_302600_NS18transform_iteratorI9which_rowNS9_17counting_iteratorIiNS9_11use_defaultESD_SD_EESD_SD_EENS9_6detail15normal_iteratorINS9_10device_ptrIiEEEESK_iNS9_4plusIvEENS9_8equal_toIvEEiEE10hipError_tPvRmT2_T3_T4_T5_mT6_T7_P12ihipStream_tbENKUlT_T0_E_clISt17integral_constantIbLb1EES15_EEDaS10_S11_EUlS10_E_NS1_11comp_targetILNS1_3genE2ELNS1_11target_archE906ELNS1_3gpuE6ELNS1_3repE0EEENS1_30default_config_static_selectorELNS0_4arch9wavefront6targetE0EEEvT1_.num_agpr, 0
	.set _ZN7rocprim17ROCPRIM_400000_NS6detail17trampoline_kernelINS0_14default_configENS1_27scan_by_key_config_selectorIiiEEZZNS1_16scan_by_key_implILNS1_25lookback_scan_determinismE0ELb0ES3_N6thrust23THRUST_200600_302600_NS18transform_iteratorI9which_rowNS9_17counting_iteratorIiNS9_11use_defaultESD_SD_EESD_SD_EENS9_6detail15normal_iteratorINS9_10device_ptrIiEEEESK_iNS9_4plusIvEENS9_8equal_toIvEEiEE10hipError_tPvRmT2_T3_T4_T5_mT6_T7_P12ihipStream_tbENKUlT_T0_E_clISt17integral_constantIbLb1EES15_EEDaS10_S11_EUlS10_E_NS1_11comp_targetILNS1_3genE2ELNS1_11target_archE906ELNS1_3gpuE6ELNS1_3repE0EEENS1_30default_config_static_selectorELNS0_4arch9wavefront6targetE0EEEvT1_.numbered_sgpr, 0
	.set _ZN7rocprim17ROCPRIM_400000_NS6detail17trampoline_kernelINS0_14default_configENS1_27scan_by_key_config_selectorIiiEEZZNS1_16scan_by_key_implILNS1_25lookback_scan_determinismE0ELb0ES3_N6thrust23THRUST_200600_302600_NS18transform_iteratorI9which_rowNS9_17counting_iteratorIiNS9_11use_defaultESD_SD_EESD_SD_EENS9_6detail15normal_iteratorINS9_10device_ptrIiEEEESK_iNS9_4plusIvEENS9_8equal_toIvEEiEE10hipError_tPvRmT2_T3_T4_T5_mT6_T7_P12ihipStream_tbENKUlT_T0_E_clISt17integral_constantIbLb1EES15_EEDaS10_S11_EUlS10_E_NS1_11comp_targetILNS1_3genE2ELNS1_11target_archE906ELNS1_3gpuE6ELNS1_3repE0EEENS1_30default_config_static_selectorELNS0_4arch9wavefront6targetE0EEEvT1_.num_named_barrier, 0
	.set _ZN7rocprim17ROCPRIM_400000_NS6detail17trampoline_kernelINS0_14default_configENS1_27scan_by_key_config_selectorIiiEEZZNS1_16scan_by_key_implILNS1_25lookback_scan_determinismE0ELb0ES3_N6thrust23THRUST_200600_302600_NS18transform_iteratorI9which_rowNS9_17counting_iteratorIiNS9_11use_defaultESD_SD_EESD_SD_EENS9_6detail15normal_iteratorINS9_10device_ptrIiEEEESK_iNS9_4plusIvEENS9_8equal_toIvEEiEE10hipError_tPvRmT2_T3_T4_T5_mT6_T7_P12ihipStream_tbENKUlT_T0_E_clISt17integral_constantIbLb1EES15_EEDaS10_S11_EUlS10_E_NS1_11comp_targetILNS1_3genE2ELNS1_11target_archE906ELNS1_3gpuE6ELNS1_3repE0EEENS1_30default_config_static_selectorELNS0_4arch9wavefront6targetE0EEEvT1_.private_seg_size, 0
	.set _ZN7rocprim17ROCPRIM_400000_NS6detail17trampoline_kernelINS0_14default_configENS1_27scan_by_key_config_selectorIiiEEZZNS1_16scan_by_key_implILNS1_25lookback_scan_determinismE0ELb0ES3_N6thrust23THRUST_200600_302600_NS18transform_iteratorI9which_rowNS9_17counting_iteratorIiNS9_11use_defaultESD_SD_EESD_SD_EENS9_6detail15normal_iteratorINS9_10device_ptrIiEEEESK_iNS9_4plusIvEENS9_8equal_toIvEEiEE10hipError_tPvRmT2_T3_T4_T5_mT6_T7_P12ihipStream_tbENKUlT_T0_E_clISt17integral_constantIbLb1EES15_EEDaS10_S11_EUlS10_E_NS1_11comp_targetILNS1_3genE2ELNS1_11target_archE906ELNS1_3gpuE6ELNS1_3repE0EEENS1_30default_config_static_selectorELNS0_4arch9wavefront6targetE0EEEvT1_.uses_vcc, 0
	.set _ZN7rocprim17ROCPRIM_400000_NS6detail17trampoline_kernelINS0_14default_configENS1_27scan_by_key_config_selectorIiiEEZZNS1_16scan_by_key_implILNS1_25lookback_scan_determinismE0ELb0ES3_N6thrust23THRUST_200600_302600_NS18transform_iteratorI9which_rowNS9_17counting_iteratorIiNS9_11use_defaultESD_SD_EESD_SD_EENS9_6detail15normal_iteratorINS9_10device_ptrIiEEEESK_iNS9_4plusIvEENS9_8equal_toIvEEiEE10hipError_tPvRmT2_T3_T4_T5_mT6_T7_P12ihipStream_tbENKUlT_T0_E_clISt17integral_constantIbLb1EES15_EEDaS10_S11_EUlS10_E_NS1_11comp_targetILNS1_3genE2ELNS1_11target_archE906ELNS1_3gpuE6ELNS1_3repE0EEENS1_30default_config_static_selectorELNS0_4arch9wavefront6targetE0EEEvT1_.uses_flat_scratch, 0
	.set _ZN7rocprim17ROCPRIM_400000_NS6detail17trampoline_kernelINS0_14default_configENS1_27scan_by_key_config_selectorIiiEEZZNS1_16scan_by_key_implILNS1_25lookback_scan_determinismE0ELb0ES3_N6thrust23THRUST_200600_302600_NS18transform_iteratorI9which_rowNS9_17counting_iteratorIiNS9_11use_defaultESD_SD_EESD_SD_EENS9_6detail15normal_iteratorINS9_10device_ptrIiEEEESK_iNS9_4plusIvEENS9_8equal_toIvEEiEE10hipError_tPvRmT2_T3_T4_T5_mT6_T7_P12ihipStream_tbENKUlT_T0_E_clISt17integral_constantIbLb1EES15_EEDaS10_S11_EUlS10_E_NS1_11comp_targetILNS1_3genE2ELNS1_11target_archE906ELNS1_3gpuE6ELNS1_3repE0EEENS1_30default_config_static_selectorELNS0_4arch9wavefront6targetE0EEEvT1_.has_dyn_sized_stack, 0
	.set _ZN7rocprim17ROCPRIM_400000_NS6detail17trampoline_kernelINS0_14default_configENS1_27scan_by_key_config_selectorIiiEEZZNS1_16scan_by_key_implILNS1_25lookback_scan_determinismE0ELb0ES3_N6thrust23THRUST_200600_302600_NS18transform_iteratorI9which_rowNS9_17counting_iteratorIiNS9_11use_defaultESD_SD_EESD_SD_EENS9_6detail15normal_iteratorINS9_10device_ptrIiEEEESK_iNS9_4plusIvEENS9_8equal_toIvEEiEE10hipError_tPvRmT2_T3_T4_T5_mT6_T7_P12ihipStream_tbENKUlT_T0_E_clISt17integral_constantIbLb1EES15_EEDaS10_S11_EUlS10_E_NS1_11comp_targetILNS1_3genE2ELNS1_11target_archE906ELNS1_3gpuE6ELNS1_3repE0EEENS1_30default_config_static_selectorELNS0_4arch9wavefront6targetE0EEEvT1_.has_recursion, 0
	.set _ZN7rocprim17ROCPRIM_400000_NS6detail17trampoline_kernelINS0_14default_configENS1_27scan_by_key_config_selectorIiiEEZZNS1_16scan_by_key_implILNS1_25lookback_scan_determinismE0ELb0ES3_N6thrust23THRUST_200600_302600_NS18transform_iteratorI9which_rowNS9_17counting_iteratorIiNS9_11use_defaultESD_SD_EESD_SD_EENS9_6detail15normal_iteratorINS9_10device_ptrIiEEEESK_iNS9_4plusIvEENS9_8equal_toIvEEiEE10hipError_tPvRmT2_T3_T4_T5_mT6_T7_P12ihipStream_tbENKUlT_T0_E_clISt17integral_constantIbLb1EES15_EEDaS10_S11_EUlS10_E_NS1_11comp_targetILNS1_3genE2ELNS1_11target_archE906ELNS1_3gpuE6ELNS1_3repE0EEENS1_30default_config_static_selectorELNS0_4arch9wavefront6targetE0EEEvT1_.has_indirect_call, 0
	.section	.AMDGPU.csdata,"",@progbits
; Kernel info:
; codeLenInByte = 0
; TotalNumSgprs: 0
; NumVgprs: 0
; ScratchSize: 0
; MemoryBound: 0
; FloatMode: 240
; IeeeMode: 1
; LDSByteSize: 0 bytes/workgroup (compile time only)
; SGPRBlocks: 0
; VGPRBlocks: 0
; NumSGPRsForWavesPerEU: 1
; NumVGPRsForWavesPerEU: 1
; NamedBarCnt: 0
; Occupancy: 16
; WaveLimiterHint : 0
; COMPUTE_PGM_RSRC2:SCRATCH_EN: 0
; COMPUTE_PGM_RSRC2:USER_SGPR: 2
; COMPUTE_PGM_RSRC2:TRAP_HANDLER: 0
; COMPUTE_PGM_RSRC2:TGID_X_EN: 1
; COMPUTE_PGM_RSRC2:TGID_Y_EN: 0
; COMPUTE_PGM_RSRC2:TGID_Z_EN: 0
; COMPUTE_PGM_RSRC2:TIDIG_COMP_CNT: 0
	.section	.text._ZN7rocprim17ROCPRIM_400000_NS6detail17trampoline_kernelINS0_14default_configENS1_27scan_by_key_config_selectorIiiEEZZNS1_16scan_by_key_implILNS1_25lookback_scan_determinismE0ELb0ES3_N6thrust23THRUST_200600_302600_NS18transform_iteratorI9which_rowNS9_17counting_iteratorIiNS9_11use_defaultESD_SD_EESD_SD_EENS9_6detail15normal_iteratorINS9_10device_ptrIiEEEESK_iNS9_4plusIvEENS9_8equal_toIvEEiEE10hipError_tPvRmT2_T3_T4_T5_mT6_T7_P12ihipStream_tbENKUlT_T0_E_clISt17integral_constantIbLb1EES15_EEDaS10_S11_EUlS10_E_NS1_11comp_targetILNS1_3genE10ELNS1_11target_archE1200ELNS1_3gpuE4ELNS1_3repE0EEENS1_30default_config_static_selectorELNS0_4arch9wavefront6targetE0EEEvT1_,"axG",@progbits,_ZN7rocprim17ROCPRIM_400000_NS6detail17trampoline_kernelINS0_14default_configENS1_27scan_by_key_config_selectorIiiEEZZNS1_16scan_by_key_implILNS1_25lookback_scan_determinismE0ELb0ES3_N6thrust23THRUST_200600_302600_NS18transform_iteratorI9which_rowNS9_17counting_iteratorIiNS9_11use_defaultESD_SD_EESD_SD_EENS9_6detail15normal_iteratorINS9_10device_ptrIiEEEESK_iNS9_4plusIvEENS9_8equal_toIvEEiEE10hipError_tPvRmT2_T3_T4_T5_mT6_T7_P12ihipStream_tbENKUlT_T0_E_clISt17integral_constantIbLb1EES15_EEDaS10_S11_EUlS10_E_NS1_11comp_targetILNS1_3genE10ELNS1_11target_archE1200ELNS1_3gpuE4ELNS1_3repE0EEENS1_30default_config_static_selectorELNS0_4arch9wavefront6targetE0EEEvT1_,comdat
	.protected	_ZN7rocprim17ROCPRIM_400000_NS6detail17trampoline_kernelINS0_14default_configENS1_27scan_by_key_config_selectorIiiEEZZNS1_16scan_by_key_implILNS1_25lookback_scan_determinismE0ELb0ES3_N6thrust23THRUST_200600_302600_NS18transform_iteratorI9which_rowNS9_17counting_iteratorIiNS9_11use_defaultESD_SD_EESD_SD_EENS9_6detail15normal_iteratorINS9_10device_ptrIiEEEESK_iNS9_4plusIvEENS9_8equal_toIvEEiEE10hipError_tPvRmT2_T3_T4_T5_mT6_T7_P12ihipStream_tbENKUlT_T0_E_clISt17integral_constantIbLb1EES15_EEDaS10_S11_EUlS10_E_NS1_11comp_targetILNS1_3genE10ELNS1_11target_archE1200ELNS1_3gpuE4ELNS1_3repE0EEENS1_30default_config_static_selectorELNS0_4arch9wavefront6targetE0EEEvT1_ ; -- Begin function _ZN7rocprim17ROCPRIM_400000_NS6detail17trampoline_kernelINS0_14default_configENS1_27scan_by_key_config_selectorIiiEEZZNS1_16scan_by_key_implILNS1_25lookback_scan_determinismE0ELb0ES3_N6thrust23THRUST_200600_302600_NS18transform_iteratorI9which_rowNS9_17counting_iteratorIiNS9_11use_defaultESD_SD_EESD_SD_EENS9_6detail15normal_iteratorINS9_10device_ptrIiEEEESK_iNS9_4plusIvEENS9_8equal_toIvEEiEE10hipError_tPvRmT2_T3_T4_T5_mT6_T7_P12ihipStream_tbENKUlT_T0_E_clISt17integral_constantIbLb1EES15_EEDaS10_S11_EUlS10_E_NS1_11comp_targetILNS1_3genE10ELNS1_11target_archE1200ELNS1_3gpuE4ELNS1_3repE0EEENS1_30default_config_static_selectorELNS0_4arch9wavefront6targetE0EEEvT1_
	.globl	_ZN7rocprim17ROCPRIM_400000_NS6detail17trampoline_kernelINS0_14default_configENS1_27scan_by_key_config_selectorIiiEEZZNS1_16scan_by_key_implILNS1_25lookback_scan_determinismE0ELb0ES3_N6thrust23THRUST_200600_302600_NS18transform_iteratorI9which_rowNS9_17counting_iteratorIiNS9_11use_defaultESD_SD_EESD_SD_EENS9_6detail15normal_iteratorINS9_10device_ptrIiEEEESK_iNS9_4plusIvEENS9_8equal_toIvEEiEE10hipError_tPvRmT2_T3_T4_T5_mT6_T7_P12ihipStream_tbENKUlT_T0_E_clISt17integral_constantIbLb1EES15_EEDaS10_S11_EUlS10_E_NS1_11comp_targetILNS1_3genE10ELNS1_11target_archE1200ELNS1_3gpuE4ELNS1_3repE0EEENS1_30default_config_static_selectorELNS0_4arch9wavefront6targetE0EEEvT1_
	.p2align	8
	.type	_ZN7rocprim17ROCPRIM_400000_NS6detail17trampoline_kernelINS0_14default_configENS1_27scan_by_key_config_selectorIiiEEZZNS1_16scan_by_key_implILNS1_25lookback_scan_determinismE0ELb0ES3_N6thrust23THRUST_200600_302600_NS18transform_iteratorI9which_rowNS9_17counting_iteratorIiNS9_11use_defaultESD_SD_EESD_SD_EENS9_6detail15normal_iteratorINS9_10device_ptrIiEEEESK_iNS9_4plusIvEENS9_8equal_toIvEEiEE10hipError_tPvRmT2_T3_T4_T5_mT6_T7_P12ihipStream_tbENKUlT_T0_E_clISt17integral_constantIbLb1EES15_EEDaS10_S11_EUlS10_E_NS1_11comp_targetILNS1_3genE10ELNS1_11target_archE1200ELNS1_3gpuE4ELNS1_3repE0EEENS1_30default_config_static_selectorELNS0_4arch9wavefront6targetE0EEEvT1_,@function
_ZN7rocprim17ROCPRIM_400000_NS6detail17trampoline_kernelINS0_14default_configENS1_27scan_by_key_config_selectorIiiEEZZNS1_16scan_by_key_implILNS1_25lookback_scan_determinismE0ELb0ES3_N6thrust23THRUST_200600_302600_NS18transform_iteratorI9which_rowNS9_17counting_iteratorIiNS9_11use_defaultESD_SD_EESD_SD_EENS9_6detail15normal_iteratorINS9_10device_ptrIiEEEESK_iNS9_4plusIvEENS9_8equal_toIvEEiEE10hipError_tPvRmT2_T3_T4_T5_mT6_T7_P12ihipStream_tbENKUlT_T0_E_clISt17integral_constantIbLb1EES15_EEDaS10_S11_EUlS10_E_NS1_11comp_targetILNS1_3genE10ELNS1_11target_archE1200ELNS1_3gpuE4ELNS1_3repE0EEENS1_30default_config_static_selectorELNS0_4arch9wavefront6targetE0EEEvT1_: ; @_ZN7rocprim17ROCPRIM_400000_NS6detail17trampoline_kernelINS0_14default_configENS1_27scan_by_key_config_selectorIiiEEZZNS1_16scan_by_key_implILNS1_25lookback_scan_determinismE0ELb0ES3_N6thrust23THRUST_200600_302600_NS18transform_iteratorI9which_rowNS9_17counting_iteratorIiNS9_11use_defaultESD_SD_EESD_SD_EENS9_6detail15normal_iteratorINS9_10device_ptrIiEEEESK_iNS9_4plusIvEENS9_8equal_toIvEEiEE10hipError_tPvRmT2_T3_T4_T5_mT6_T7_P12ihipStream_tbENKUlT_T0_E_clISt17integral_constantIbLb1EES15_EEDaS10_S11_EUlS10_E_NS1_11comp_targetILNS1_3genE10ELNS1_11target_archE1200ELNS1_3gpuE4ELNS1_3repE0EEENS1_30default_config_static_selectorELNS0_4arch9wavefront6targetE0EEEvT1_
; %bb.0:
	.section	.rodata,"a",@progbits
	.p2align	6, 0x0
	.amdhsa_kernel _ZN7rocprim17ROCPRIM_400000_NS6detail17trampoline_kernelINS0_14default_configENS1_27scan_by_key_config_selectorIiiEEZZNS1_16scan_by_key_implILNS1_25lookback_scan_determinismE0ELb0ES3_N6thrust23THRUST_200600_302600_NS18transform_iteratorI9which_rowNS9_17counting_iteratorIiNS9_11use_defaultESD_SD_EESD_SD_EENS9_6detail15normal_iteratorINS9_10device_ptrIiEEEESK_iNS9_4plusIvEENS9_8equal_toIvEEiEE10hipError_tPvRmT2_T3_T4_T5_mT6_T7_P12ihipStream_tbENKUlT_T0_E_clISt17integral_constantIbLb1EES15_EEDaS10_S11_EUlS10_E_NS1_11comp_targetILNS1_3genE10ELNS1_11target_archE1200ELNS1_3gpuE4ELNS1_3repE0EEENS1_30default_config_static_selectorELNS0_4arch9wavefront6targetE0EEEvT1_
		.amdhsa_group_segment_fixed_size 0
		.amdhsa_private_segment_fixed_size 0
		.amdhsa_kernarg_size 112
		.amdhsa_user_sgpr_count 2
		.amdhsa_user_sgpr_dispatch_ptr 0
		.amdhsa_user_sgpr_queue_ptr 0
		.amdhsa_user_sgpr_kernarg_segment_ptr 1
		.amdhsa_user_sgpr_dispatch_id 0
		.amdhsa_user_sgpr_kernarg_preload_length 0
		.amdhsa_user_sgpr_kernarg_preload_offset 0
		.amdhsa_user_sgpr_private_segment_size 0
		.amdhsa_wavefront_size32 1
		.amdhsa_uses_dynamic_stack 0
		.amdhsa_enable_private_segment 0
		.amdhsa_system_sgpr_workgroup_id_x 1
		.amdhsa_system_sgpr_workgroup_id_y 0
		.amdhsa_system_sgpr_workgroup_id_z 0
		.amdhsa_system_sgpr_workgroup_info 0
		.amdhsa_system_vgpr_workitem_id 0
		.amdhsa_next_free_vgpr 1
		.amdhsa_next_free_sgpr 1
		.amdhsa_named_barrier_count 0
		.amdhsa_reserve_vcc 0
		.amdhsa_float_round_mode_32 0
		.amdhsa_float_round_mode_16_64 0
		.amdhsa_float_denorm_mode_32 3
		.amdhsa_float_denorm_mode_16_64 3
		.amdhsa_fp16_overflow 0
		.amdhsa_memory_ordered 1
		.amdhsa_forward_progress 1
		.amdhsa_inst_pref_size 0
		.amdhsa_round_robin_scheduling 0
		.amdhsa_exception_fp_ieee_invalid_op 0
		.amdhsa_exception_fp_denorm_src 0
		.amdhsa_exception_fp_ieee_div_zero 0
		.amdhsa_exception_fp_ieee_overflow 0
		.amdhsa_exception_fp_ieee_underflow 0
		.amdhsa_exception_fp_ieee_inexact 0
		.amdhsa_exception_int_div_zero 0
	.end_amdhsa_kernel
	.section	.text._ZN7rocprim17ROCPRIM_400000_NS6detail17trampoline_kernelINS0_14default_configENS1_27scan_by_key_config_selectorIiiEEZZNS1_16scan_by_key_implILNS1_25lookback_scan_determinismE0ELb0ES3_N6thrust23THRUST_200600_302600_NS18transform_iteratorI9which_rowNS9_17counting_iteratorIiNS9_11use_defaultESD_SD_EESD_SD_EENS9_6detail15normal_iteratorINS9_10device_ptrIiEEEESK_iNS9_4plusIvEENS9_8equal_toIvEEiEE10hipError_tPvRmT2_T3_T4_T5_mT6_T7_P12ihipStream_tbENKUlT_T0_E_clISt17integral_constantIbLb1EES15_EEDaS10_S11_EUlS10_E_NS1_11comp_targetILNS1_3genE10ELNS1_11target_archE1200ELNS1_3gpuE4ELNS1_3repE0EEENS1_30default_config_static_selectorELNS0_4arch9wavefront6targetE0EEEvT1_,"axG",@progbits,_ZN7rocprim17ROCPRIM_400000_NS6detail17trampoline_kernelINS0_14default_configENS1_27scan_by_key_config_selectorIiiEEZZNS1_16scan_by_key_implILNS1_25lookback_scan_determinismE0ELb0ES3_N6thrust23THRUST_200600_302600_NS18transform_iteratorI9which_rowNS9_17counting_iteratorIiNS9_11use_defaultESD_SD_EESD_SD_EENS9_6detail15normal_iteratorINS9_10device_ptrIiEEEESK_iNS9_4plusIvEENS9_8equal_toIvEEiEE10hipError_tPvRmT2_T3_T4_T5_mT6_T7_P12ihipStream_tbENKUlT_T0_E_clISt17integral_constantIbLb1EES15_EEDaS10_S11_EUlS10_E_NS1_11comp_targetILNS1_3genE10ELNS1_11target_archE1200ELNS1_3gpuE4ELNS1_3repE0EEENS1_30default_config_static_selectorELNS0_4arch9wavefront6targetE0EEEvT1_,comdat
.Lfunc_end103:
	.size	_ZN7rocprim17ROCPRIM_400000_NS6detail17trampoline_kernelINS0_14default_configENS1_27scan_by_key_config_selectorIiiEEZZNS1_16scan_by_key_implILNS1_25lookback_scan_determinismE0ELb0ES3_N6thrust23THRUST_200600_302600_NS18transform_iteratorI9which_rowNS9_17counting_iteratorIiNS9_11use_defaultESD_SD_EESD_SD_EENS9_6detail15normal_iteratorINS9_10device_ptrIiEEEESK_iNS9_4plusIvEENS9_8equal_toIvEEiEE10hipError_tPvRmT2_T3_T4_T5_mT6_T7_P12ihipStream_tbENKUlT_T0_E_clISt17integral_constantIbLb1EES15_EEDaS10_S11_EUlS10_E_NS1_11comp_targetILNS1_3genE10ELNS1_11target_archE1200ELNS1_3gpuE4ELNS1_3repE0EEENS1_30default_config_static_selectorELNS0_4arch9wavefront6targetE0EEEvT1_, .Lfunc_end103-_ZN7rocprim17ROCPRIM_400000_NS6detail17trampoline_kernelINS0_14default_configENS1_27scan_by_key_config_selectorIiiEEZZNS1_16scan_by_key_implILNS1_25lookback_scan_determinismE0ELb0ES3_N6thrust23THRUST_200600_302600_NS18transform_iteratorI9which_rowNS9_17counting_iteratorIiNS9_11use_defaultESD_SD_EESD_SD_EENS9_6detail15normal_iteratorINS9_10device_ptrIiEEEESK_iNS9_4plusIvEENS9_8equal_toIvEEiEE10hipError_tPvRmT2_T3_T4_T5_mT6_T7_P12ihipStream_tbENKUlT_T0_E_clISt17integral_constantIbLb1EES15_EEDaS10_S11_EUlS10_E_NS1_11comp_targetILNS1_3genE10ELNS1_11target_archE1200ELNS1_3gpuE4ELNS1_3repE0EEENS1_30default_config_static_selectorELNS0_4arch9wavefront6targetE0EEEvT1_
                                        ; -- End function
	.set _ZN7rocprim17ROCPRIM_400000_NS6detail17trampoline_kernelINS0_14default_configENS1_27scan_by_key_config_selectorIiiEEZZNS1_16scan_by_key_implILNS1_25lookback_scan_determinismE0ELb0ES3_N6thrust23THRUST_200600_302600_NS18transform_iteratorI9which_rowNS9_17counting_iteratorIiNS9_11use_defaultESD_SD_EESD_SD_EENS9_6detail15normal_iteratorINS9_10device_ptrIiEEEESK_iNS9_4plusIvEENS9_8equal_toIvEEiEE10hipError_tPvRmT2_T3_T4_T5_mT6_T7_P12ihipStream_tbENKUlT_T0_E_clISt17integral_constantIbLb1EES15_EEDaS10_S11_EUlS10_E_NS1_11comp_targetILNS1_3genE10ELNS1_11target_archE1200ELNS1_3gpuE4ELNS1_3repE0EEENS1_30default_config_static_selectorELNS0_4arch9wavefront6targetE0EEEvT1_.num_vgpr, 0
	.set _ZN7rocprim17ROCPRIM_400000_NS6detail17trampoline_kernelINS0_14default_configENS1_27scan_by_key_config_selectorIiiEEZZNS1_16scan_by_key_implILNS1_25lookback_scan_determinismE0ELb0ES3_N6thrust23THRUST_200600_302600_NS18transform_iteratorI9which_rowNS9_17counting_iteratorIiNS9_11use_defaultESD_SD_EESD_SD_EENS9_6detail15normal_iteratorINS9_10device_ptrIiEEEESK_iNS9_4plusIvEENS9_8equal_toIvEEiEE10hipError_tPvRmT2_T3_T4_T5_mT6_T7_P12ihipStream_tbENKUlT_T0_E_clISt17integral_constantIbLb1EES15_EEDaS10_S11_EUlS10_E_NS1_11comp_targetILNS1_3genE10ELNS1_11target_archE1200ELNS1_3gpuE4ELNS1_3repE0EEENS1_30default_config_static_selectorELNS0_4arch9wavefront6targetE0EEEvT1_.num_agpr, 0
	.set _ZN7rocprim17ROCPRIM_400000_NS6detail17trampoline_kernelINS0_14default_configENS1_27scan_by_key_config_selectorIiiEEZZNS1_16scan_by_key_implILNS1_25lookback_scan_determinismE0ELb0ES3_N6thrust23THRUST_200600_302600_NS18transform_iteratorI9which_rowNS9_17counting_iteratorIiNS9_11use_defaultESD_SD_EESD_SD_EENS9_6detail15normal_iteratorINS9_10device_ptrIiEEEESK_iNS9_4plusIvEENS9_8equal_toIvEEiEE10hipError_tPvRmT2_T3_T4_T5_mT6_T7_P12ihipStream_tbENKUlT_T0_E_clISt17integral_constantIbLb1EES15_EEDaS10_S11_EUlS10_E_NS1_11comp_targetILNS1_3genE10ELNS1_11target_archE1200ELNS1_3gpuE4ELNS1_3repE0EEENS1_30default_config_static_selectorELNS0_4arch9wavefront6targetE0EEEvT1_.numbered_sgpr, 0
	.set _ZN7rocprim17ROCPRIM_400000_NS6detail17trampoline_kernelINS0_14default_configENS1_27scan_by_key_config_selectorIiiEEZZNS1_16scan_by_key_implILNS1_25lookback_scan_determinismE0ELb0ES3_N6thrust23THRUST_200600_302600_NS18transform_iteratorI9which_rowNS9_17counting_iteratorIiNS9_11use_defaultESD_SD_EESD_SD_EENS9_6detail15normal_iteratorINS9_10device_ptrIiEEEESK_iNS9_4plusIvEENS9_8equal_toIvEEiEE10hipError_tPvRmT2_T3_T4_T5_mT6_T7_P12ihipStream_tbENKUlT_T0_E_clISt17integral_constantIbLb1EES15_EEDaS10_S11_EUlS10_E_NS1_11comp_targetILNS1_3genE10ELNS1_11target_archE1200ELNS1_3gpuE4ELNS1_3repE0EEENS1_30default_config_static_selectorELNS0_4arch9wavefront6targetE0EEEvT1_.num_named_barrier, 0
	.set _ZN7rocprim17ROCPRIM_400000_NS6detail17trampoline_kernelINS0_14default_configENS1_27scan_by_key_config_selectorIiiEEZZNS1_16scan_by_key_implILNS1_25lookback_scan_determinismE0ELb0ES3_N6thrust23THRUST_200600_302600_NS18transform_iteratorI9which_rowNS9_17counting_iteratorIiNS9_11use_defaultESD_SD_EESD_SD_EENS9_6detail15normal_iteratorINS9_10device_ptrIiEEEESK_iNS9_4plusIvEENS9_8equal_toIvEEiEE10hipError_tPvRmT2_T3_T4_T5_mT6_T7_P12ihipStream_tbENKUlT_T0_E_clISt17integral_constantIbLb1EES15_EEDaS10_S11_EUlS10_E_NS1_11comp_targetILNS1_3genE10ELNS1_11target_archE1200ELNS1_3gpuE4ELNS1_3repE0EEENS1_30default_config_static_selectorELNS0_4arch9wavefront6targetE0EEEvT1_.private_seg_size, 0
	.set _ZN7rocprim17ROCPRIM_400000_NS6detail17trampoline_kernelINS0_14default_configENS1_27scan_by_key_config_selectorIiiEEZZNS1_16scan_by_key_implILNS1_25lookback_scan_determinismE0ELb0ES3_N6thrust23THRUST_200600_302600_NS18transform_iteratorI9which_rowNS9_17counting_iteratorIiNS9_11use_defaultESD_SD_EESD_SD_EENS9_6detail15normal_iteratorINS9_10device_ptrIiEEEESK_iNS9_4plusIvEENS9_8equal_toIvEEiEE10hipError_tPvRmT2_T3_T4_T5_mT6_T7_P12ihipStream_tbENKUlT_T0_E_clISt17integral_constantIbLb1EES15_EEDaS10_S11_EUlS10_E_NS1_11comp_targetILNS1_3genE10ELNS1_11target_archE1200ELNS1_3gpuE4ELNS1_3repE0EEENS1_30default_config_static_selectorELNS0_4arch9wavefront6targetE0EEEvT1_.uses_vcc, 0
	.set _ZN7rocprim17ROCPRIM_400000_NS6detail17trampoline_kernelINS0_14default_configENS1_27scan_by_key_config_selectorIiiEEZZNS1_16scan_by_key_implILNS1_25lookback_scan_determinismE0ELb0ES3_N6thrust23THRUST_200600_302600_NS18transform_iteratorI9which_rowNS9_17counting_iteratorIiNS9_11use_defaultESD_SD_EESD_SD_EENS9_6detail15normal_iteratorINS9_10device_ptrIiEEEESK_iNS9_4plusIvEENS9_8equal_toIvEEiEE10hipError_tPvRmT2_T3_T4_T5_mT6_T7_P12ihipStream_tbENKUlT_T0_E_clISt17integral_constantIbLb1EES15_EEDaS10_S11_EUlS10_E_NS1_11comp_targetILNS1_3genE10ELNS1_11target_archE1200ELNS1_3gpuE4ELNS1_3repE0EEENS1_30default_config_static_selectorELNS0_4arch9wavefront6targetE0EEEvT1_.uses_flat_scratch, 0
	.set _ZN7rocprim17ROCPRIM_400000_NS6detail17trampoline_kernelINS0_14default_configENS1_27scan_by_key_config_selectorIiiEEZZNS1_16scan_by_key_implILNS1_25lookback_scan_determinismE0ELb0ES3_N6thrust23THRUST_200600_302600_NS18transform_iteratorI9which_rowNS9_17counting_iteratorIiNS9_11use_defaultESD_SD_EESD_SD_EENS9_6detail15normal_iteratorINS9_10device_ptrIiEEEESK_iNS9_4plusIvEENS9_8equal_toIvEEiEE10hipError_tPvRmT2_T3_T4_T5_mT6_T7_P12ihipStream_tbENKUlT_T0_E_clISt17integral_constantIbLb1EES15_EEDaS10_S11_EUlS10_E_NS1_11comp_targetILNS1_3genE10ELNS1_11target_archE1200ELNS1_3gpuE4ELNS1_3repE0EEENS1_30default_config_static_selectorELNS0_4arch9wavefront6targetE0EEEvT1_.has_dyn_sized_stack, 0
	.set _ZN7rocprim17ROCPRIM_400000_NS6detail17trampoline_kernelINS0_14default_configENS1_27scan_by_key_config_selectorIiiEEZZNS1_16scan_by_key_implILNS1_25lookback_scan_determinismE0ELb0ES3_N6thrust23THRUST_200600_302600_NS18transform_iteratorI9which_rowNS9_17counting_iteratorIiNS9_11use_defaultESD_SD_EESD_SD_EENS9_6detail15normal_iteratorINS9_10device_ptrIiEEEESK_iNS9_4plusIvEENS9_8equal_toIvEEiEE10hipError_tPvRmT2_T3_T4_T5_mT6_T7_P12ihipStream_tbENKUlT_T0_E_clISt17integral_constantIbLb1EES15_EEDaS10_S11_EUlS10_E_NS1_11comp_targetILNS1_3genE10ELNS1_11target_archE1200ELNS1_3gpuE4ELNS1_3repE0EEENS1_30default_config_static_selectorELNS0_4arch9wavefront6targetE0EEEvT1_.has_recursion, 0
	.set _ZN7rocprim17ROCPRIM_400000_NS6detail17trampoline_kernelINS0_14default_configENS1_27scan_by_key_config_selectorIiiEEZZNS1_16scan_by_key_implILNS1_25lookback_scan_determinismE0ELb0ES3_N6thrust23THRUST_200600_302600_NS18transform_iteratorI9which_rowNS9_17counting_iteratorIiNS9_11use_defaultESD_SD_EESD_SD_EENS9_6detail15normal_iteratorINS9_10device_ptrIiEEEESK_iNS9_4plusIvEENS9_8equal_toIvEEiEE10hipError_tPvRmT2_T3_T4_T5_mT6_T7_P12ihipStream_tbENKUlT_T0_E_clISt17integral_constantIbLb1EES15_EEDaS10_S11_EUlS10_E_NS1_11comp_targetILNS1_3genE10ELNS1_11target_archE1200ELNS1_3gpuE4ELNS1_3repE0EEENS1_30default_config_static_selectorELNS0_4arch9wavefront6targetE0EEEvT1_.has_indirect_call, 0
	.section	.AMDGPU.csdata,"",@progbits
; Kernel info:
; codeLenInByte = 0
; TotalNumSgprs: 0
; NumVgprs: 0
; ScratchSize: 0
; MemoryBound: 0
; FloatMode: 240
; IeeeMode: 1
; LDSByteSize: 0 bytes/workgroup (compile time only)
; SGPRBlocks: 0
; VGPRBlocks: 0
; NumSGPRsForWavesPerEU: 1
; NumVGPRsForWavesPerEU: 1
; NamedBarCnt: 0
; Occupancy: 16
; WaveLimiterHint : 0
; COMPUTE_PGM_RSRC2:SCRATCH_EN: 0
; COMPUTE_PGM_RSRC2:USER_SGPR: 2
; COMPUTE_PGM_RSRC2:TRAP_HANDLER: 0
; COMPUTE_PGM_RSRC2:TGID_X_EN: 1
; COMPUTE_PGM_RSRC2:TGID_Y_EN: 0
; COMPUTE_PGM_RSRC2:TGID_Z_EN: 0
; COMPUTE_PGM_RSRC2:TIDIG_COMP_CNT: 0
	.section	.text._ZN7rocprim17ROCPRIM_400000_NS6detail17trampoline_kernelINS0_14default_configENS1_27scan_by_key_config_selectorIiiEEZZNS1_16scan_by_key_implILNS1_25lookback_scan_determinismE0ELb0ES3_N6thrust23THRUST_200600_302600_NS18transform_iteratorI9which_rowNS9_17counting_iteratorIiNS9_11use_defaultESD_SD_EESD_SD_EENS9_6detail15normal_iteratorINS9_10device_ptrIiEEEESK_iNS9_4plusIvEENS9_8equal_toIvEEiEE10hipError_tPvRmT2_T3_T4_T5_mT6_T7_P12ihipStream_tbENKUlT_T0_E_clISt17integral_constantIbLb1EES15_EEDaS10_S11_EUlS10_E_NS1_11comp_targetILNS1_3genE9ELNS1_11target_archE1100ELNS1_3gpuE3ELNS1_3repE0EEENS1_30default_config_static_selectorELNS0_4arch9wavefront6targetE0EEEvT1_,"axG",@progbits,_ZN7rocprim17ROCPRIM_400000_NS6detail17trampoline_kernelINS0_14default_configENS1_27scan_by_key_config_selectorIiiEEZZNS1_16scan_by_key_implILNS1_25lookback_scan_determinismE0ELb0ES3_N6thrust23THRUST_200600_302600_NS18transform_iteratorI9which_rowNS9_17counting_iteratorIiNS9_11use_defaultESD_SD_EESD_SD_EENS9_6detail15normal_iteratorINS9_10device_ptrIiEEEESK_iNS9_4plusIvEENS9_8equal_toIvEEiEE10hipError_tPvRmT2_T3_T4_T5_mT6_T7_P12ihipStream_tbENKUlT_T0_E_clISt17integral_constantIbLb1EES15_EEDaS10_S11_EUlS10_E_NS1_11comp_targetILNS1_3genE9ELNS1_11target_archE1100ELNS1_3gpuE3ELNS1_3repE0EEENS1_30default_config_static_selectorELNS0_4arch9wavefront6targetE0EEEvT1_,comdat
	.protected	_ZN7rocprim17ROCPRIM_400000_NS6detail17trampoline_kernelINS0_14default_configENS1_27scan_by_key_config_selectorIiiEEZZNS1_16scan_by_key_implILNS1_25lookback_scan_determinismE0ELb0ES3_N6thrust23THRUST_200600_302600_NS18transform_iteratorI9which_rowNS9_17counting_iteratorIiNS9_11use_defaultESD_SD_EESD_SD_EENS9_6detail15normal_iteratorINS9_10device_ptrIiEEEESK_iNS9_4plusIvEENS9_8equal_toIvEEiEE10hipError_tPvRmT2_T3_T4_T5_mT6_T7_P12ihipStream_tbENKUlT_T0_E_clISt17integral_constantIbLb1EES15_EEDaS10_S11_EUlS10_E_NS1_11comp_targetILNS1_3genE9ELNS1_11target_archE1100ELNS1_3gpuE3ELNS1_3repE0EEENS1_30default_config_static_selectorELNS0_4arch9wavefront6targetE0EEEvT1_ ; -- Begin function _ZN7rocprim17ROCPRIM_400000_NS6detail17trampoline_kernelINS0_14default_configENS1_27scan_by_key_config_selectorIiiEEZZNS1_16scan_by_key_implILNS1_25lookback_scan_determinismE0ELb0ES3_N6thrust23THRUST_200600_302600_NS18transform_iteratorI9which_rowNS9_17counting_iteratorIiNS9_11use_defaultESD_SD_EESD_SD_EENS9_6detail15normal_iteratorINS9_10device_ptrIiEEEESK_iNS9_4plusIvEENS9_8equal_toIvEEiEE10hipError_tPvRmT2_T3_T4_T5_mT6_T7_P12ihipStream_tbENKUlT_T0_E_clISt17integral_constantIbLb1EES15_EEDaS10_S11_EUlS10_E_NS1_11comp_targetILNS1_3genE9ELNS1_11target_archE1100ELNS1_3gpuE3ELNS1_3repE0EEENS1_30default_config_static_selectorELNS0_4arch9wavefront6targetE0EEEvT1_
	.globl	_ZN7rocprim17ROCPRIM_400000_NS6detail17trampoline_kernelINS0_14default_configENS1_27scan_by_key_config_selectorIiiEEZZNS1_16scan_by_key_implILNS1_25lookback_scan_determinismE0ELb0ES3_N6thrust23THRUST_200600_302600_NS18transform_iteratorI9which_rowNS9_17counting_iteratorIiNS9_11use_defaultESD_SD_EESD_SD_EENS9_6detail15normal_iteratorINS9_10device_ptrIiEEEESK_iNS9_4plusIvEENS9_8equal_toIvEEiEE10hipError_tPvRmT2_T3_T4_T5_mT6_T7_P12ihipStream_tbENKUlT_T0_E_clISt17integral_constantIbLb1EES15_EEDaS10_S11_EUlS10_E_NS1_11comp_targetILNS1_3genE9ELNS1_11target_archE1100ELNS1_3gpuE3ELNS1_3repE0EEENS1_30default_config_static_selectorELNS0_4arch9wavefront6targetE0EEEvT1_
	.p2align	8
	.type	_ZN7rocprim17ROCPRIM_400000_NS6detail17trampoline_kernelINS0_14default_configENS1_27scan_by_key_config_selectorIiiEEZZNS1_16scan_by_key_implILNS1_25lookback_scan_determinismE0ELb0ES3_N6thrust23THRUST_200600_302600_NS18transform_iteratorI9which_rowNS9_17counting_iteratorIiNS9_11use_defaultESD_SD_EESD_SD_EENS9_6detail15normal_iteratorINS9_10device_ptrIiEEEESK_iNS9_4plusIvEENS9_8equal_toIvEEiEE10hipError_tPvRmT2_T3_T4_T5_mT6_T7_P12ihipStream_tbENKUlT_T0_E_clISt17integral_constantIbLb1EES15_EEDaS10_S11_EUlS10_E_NS1_11comp_targetILNS1_3genE9ELNS1_11target_archE1100ELNS1_3gpuE3ELNS1_3repE0EEENS1_30default_config_static_selectorELNS0_4arch9wavefront6targetE0EEEvT1_,@function
_ZN7rocprim17ROCPRIM_400000_NS6detail17trampoline_kernelINS0_14default_configENS1_27scan_by_key_config_selectorIiiEEZZNS1_16scan_by_key_implILNS1_25lookback_scan_determinismE0ELb0ES3_N6thrust23THRUST_200600_302600_NS18transform_iteratorI9which_rowNS9_17counting_iteratorIiNS9_11use_defaultESD_SD_EESD_SD_EENS9_6detail15normal_iteratorINS9_10device_ptrIiEEEESK_iNS9_4plusIvEENS9_8equal_toIvEEiEE10hipError_tPvRmT2_T3_T4_T5_mT6_T7_P12ihipStream_tbENKUlT_T0_E_clISt17integral_constantIbLb1EES15_EEDaS10_S11_EUlS10_E_NS1_11comp_targetILNS1_3genE9ELNS1_11target_archE1100ELNS1_3gpuE3ELNS1_3repE0EEENS1_30default_config_static_selectorELNS0_4arch9wavefront6targetE0EEEvT1_: ; @_ZN7rocprim17ROCPRIM_400000_NS6detail17trampoline_kernelINS0_14default_configENS1_27scan_by_key_config_selectorIiiEEZZNS1_16scan_by_key_implILNS1_25lookback_scan_determinismE0ELb0ES3_N6thrust23THRUST_200600_302600_NS18transform_iteratorI9which_rowNS9_17counting_iteratorIiNS9_11use_defaultESD_SD_EESD_SD_EENS9_6detail15normal_iteratorINS9_10device_ptrIiEEEESK_iNS9_4plusIvEENS9_8equal_toIvEEiEE10hipError_tPvRmT2_T3_T4_T5_mT6_T7_P12ihipStream_tbENKUlT_T0_E_clISt17integral_constantIbLb1EES15_EEDaS10_S11_EUlS10_E_NS1_11comp_targetILNS1_3genE9ELNS1_11target_archE1100ELNS1_3gpuE3ELNS1_3repE0EEENS1_30default_config_static_selectorELNS0_4arch9wavefront6targetE0EEEvT1_
; %bb.0:
	.section	.rodata,"a",@progbits
	.p2align	6, 0x0
	.amdhsa_kernel _ZN7rocprim17ROCPRIM_400000_NS6detail17trampoline_kernelINS0_14default_configENS1_27scan_by_key_config_selectorIiiEEZZNS1_16scan_by_key_implILNS1_25lookback_scan_determinismE0ELb0ES3_N6thrust23THRUST_200600_302600_NS18transform_iteratorI9which_rowNS9_17counting_iteratorIiNS9_11use_defaultESD_SD_EESD_SD_EENS9_6detail15normal_iteratorINS9_10device_ptrIiEEEESK_iNS9_4plusIvEENS9_8equal_toIvEEiEE10hipError_tPvRmT2_T3_T4_T5_mT6_T7_P12ihipStream_tbENKUlT_T0_E_clISt17integral_constantIbLb1EES15_EEDaS10_S11_EUlS10_E_NS1_11comp_targetILNS1_3genE9ELNS1_11target_archE1100ELNS1_3gpuE3ELNS1_3repE0EEENS1_30default_config_static_selectorELNS0_4arch9wavefront6targetE0EEEvT1_
		.amdhsa_group_segment_fixed_size 0
		.amdhsa_private_segment_fixed_size 0
		.amdhsa_kernarg_size 112
		.amdhsa_user_sgpr_count 2
		.amdhsa_user_sgpr_dispatch_ptr 0
		.amdhsa_user_sgpr_queue_ptr 0
		.amdhsa_user_sgpr_kernarg_segment_ptr 1
		.amdhsa_user_sgpr_dispatch_id 0
		.amdhsa_user_sgpr_kernarg_preload_length 0
		.amdhsa_user_sgpr_kernarg_preload_offset 0
		.amdhsa_user_sgpr_private_segment_size 0
		.amdhsa_wavefront_size32 1
		.amdhsa_uses_dynamic_stack 0
		.amdhsa_enable_private_segment 0
		.amdhsa_system_sgpr_workgroup_id_x 1
		.amdhsa_system_sgpr_workgroup_id_y 0
		.amdhsa_system_sgpr_workgroup_id_z 0
		.amdhsa_system_sgpr_workgroup_info 0
		.amdhsa_system_vgpr_workitem_id 0
		.amdhsa_next_free_vgpr 1
		.amdhsa_next_free_sgpr 1
		.amdhsa_named_barrier_count 0
		.amdhsa_reserve_vcc 0
		.amdhsa_float_round_mode_32 0
		.amdhsa_float_round_mode_16_64 0
		.amdhsa_float_denorm_mode_32 3
		.amdhsa_float_denorm_mode_16_64 3
		.amdhsa_fp16_overflow 0
		.amdhsa_memory_ordered 1
		.amdhsa_forward_progress 1
		.amdhsa_inst_pref_size 0
		.amdhsa_round_robin_scheduling 0
		.amdhsa_exception_fp_ieee_invalid_op 0
		.amdhsa_exception_fp_denorm_src 0
		.amdhsa_exception_fp_ieee_div_zero 0
		.amdhsa_exception_fp_ieee_overflow 0
		.amdhsa_exception_fp_ieee_underflow 0
		.amdhsa_exception_fp_ieee_inexact 0
		.amdhsa_exception_int_div_zero 0
	.end_amdhsa_kernel
	.section	.text._ZN7rocprim17ROCPRIM_400000_NS6detail17trampoline_kernelINS0_14default_configENS1_27scan_by_key_config_selectorIiiEEZZNS1_16scan_by_key_implILNS1_25lookback_scan_determinismE0ELb0ES3_N6thrust23THRUST_200600_302600_NS18transform_iteratorI9which_rowNS9_17counting_iteratorIiNS9_11use_defaultESD_SD_EESD_SD_EENS9_6detail15normal_iteratorINS9_10device_ptrIiEEEESK_iNS9_4plusIvEENS9_8equal_toIvEEiEE10hipError_tPvRmT2_T3_T4_T5_mT6_T7_P12ihipStream_tbENKUlT_T0_E_clISt17integral_constantIbLb1EES15_EEDaS10_S11_EUlS10_E_NS1_11comp_targetILNS1_3genE9ELNS1_11target_archE1100ELNS1_3gpuE3ELNS1_3repE0EEENS1_30default_config_static_selectorELNS0_4arch9wavefront6targetE0EEEvT1_,"axG",@progbits,_ZN7rocprim17ROCPRIM_400000_NS6detail17trampoline_kernelINS0_14default_configENS1_27scan_by_key_config_selectorIiiEEZZNS1_16scan_by_key_implILNS1_25lookback_scan_determinismE0ELb0ES3_N6thrust23THRUST_200600_302600_NS18transform_iteratorI9which_rowNS9_17counting_iteratorIiNS9_11use_defaultESD_SD_EESD_SD_EENS9_6detail15normal_iteratorINS9_10device_ptrIiEEEESK_iNS9_4plusIvEENS9_8equal_toIvEEiEE10hipError_tPvRmT2_T3_T4_T5_mT6_T7_P12ihipStream_tbENKUlT_T0_E_clISt17integral_constantIbLb1EES15_EEDaS10_S11_EUlS10_E_NS1_11comp_targetILNS1_3genE9ELNS1_11target_archE1100ELNS1_3gpuE3ELNS1_3repE0EEENS1_30default_config_static_selectorELNS0_4arch9wavefront6targetE0EEEvT1_,comdat
.Lfunc_end104:
	.size	_ZN7rocprim17ROCPRIM_400000_NS6detail17trampoline_kernelINS0_14default_configENS1_27scan_by_key_config_selectorIiiEEZZNS1_16scan_by_key_implILNS1_25lookback_scan_determinismE0ELb0ES3_N6thrust23THRUST_200600_302600_NS18transform_iteratorI9which_rowNS9_17counting_iteratorIiNS9_11use_defaultESD_SD_EESD_SD_EENS9_6detail15normal_iteratorINS9_10device_ptrIiEEEESK_iNS9_4plusIvEENS9_8equal_toIvEEiEE10hipError_tPvRmT2_T3_T4_T5_mT6_T7_P12ihipStream_tbENKUlT_T0_E_clISt17integral_constantIbLb1EES15_EEDaS10_S11_EUlS10_E_NS1_11comp_targetILNS1_3genE9ELNS1_11target_archE1100ELNS1_3gpuE3ELNS1_3repE0EEENS1_30default_config_static_selectorELNS0_4arch9wavefront6targetE0EEEvT1_, .Lfunc_end104-_ZN7rocprim17ROCPRIM_400000_NS6detail17trampoline_kernelINS0_14default_configENS1_27scan_by_key_config_selectorIiiEEZZNS1_16scan_by_key_implILNS1_25lookback_scan_determinismE0ELb0ES3_N6thrust23THRUST_200600_302600_NS18transform_iteratorI9which_rowNS9_17counting_iteratorIiNS9_11use_defaultESD_SD_EESD_SD_EENS9_6detail15normal_iteratorINS9_10device_ptrIiEEEESK_iNS9_4plusIvEENS9_8equal_toIvEEiEE10hipError_tPvRmT2_T3_T4_T5_mT6_T7_P12ihipStream_tbENKUlT_T0_E_clISt17integral_constantIbLb1EES15_EEDaS10_S11_EUlS10_E_NS1_11comp_targetILNS1_3genE9ELNS1_11target_archE1100ELNS1_3gpuE3ELNS1_3repE0EEENS1_30default_config_static_selectorELNS0_4arch9wavefront6targetE0EEEvT1_
                                        ; -- End function
	.set _ZN7rocprim17ROCPRIM_400000_NS6detail17trampoline_kernelINS0_14default_configENS1_27scan_by_key_config_selectorIiiEEZZNS1_16scan_by_key_implILNS1_25lookback_scan_determinismE0ELb0ES3_N6thrust23THRUST_200600_302600_NS18transform_iteratorI9which_rowNS9_17counting_iteratorIiNS9_11use_defaultESD_SD_EESD_SD_EENS9_6detail15normal_iteratorINS9_10device_ptrIiEEEESK_iNS9_4plusIvEENS9_8equal_toIvEEiEE10hipError_tPvRmT2_T3_T4_T5_mT6_T7_P12ihipStream_tbENKUlT_T0_E_clISt17integral_constantIbLb1EES15_EEDaS10_S11_EUlS10_E_NS1_11comp_targetILNS1_3genE9ELNS1_11target_archE1100ELNS1_3gpuE3ELNS1_3repE0EEENS1_30default_config_static_selectorELNS0_4arch9wavefront6targetE0EEEvT1_.num_vgpr, 0
	.set _ZN7rocprim17ROCPRIM_400000_NS6detail17trampoline_kernelINS0_14default_configENS1_27scan_by_key_config_selectorIiiEEZZNS1_16scan_by_key_implILNS1_25lookback_scan_determinismE0ELb0ES3_N6thrust23THRUST_200600_302600_NS18transform_iteratorI9which_rowNS9_17counting_iteratorIiNS9_11use_defaultESD_SD_EESD_SD_EENS9_6detail15normal_iteratorINS9_10device_ptrIiEEEESK_iNS9_4plusIvEENS9_8equal_toIvEEiEE10hipError_tPvRmT2_T3_T4_T5_mT6_T7_P12ihipStream_tbENKUlT_T0_E_clISt17integral_constantIbLb1EES15_EEDaS10_S11_EUlS10_E_NS1_11comp_targetILNS1_3genE9ELNS1_11target_archE1100ELNS1_3gpuE3ELNS1_3repE0EEENS1_30default_config_static_selectorELNS0_4arch9wavefront6targetE0EEEvT1_.num_agpr, 0
	.set _ZN7rocprim17ROCPRIM_400000_NS6detail17trampoline_kernelINS0_14default_configENS1_27scan_by_key_config_selectorIiiEEZZNS1_16scan_by_key_implILNS1_25lookback_scan_determinismE0ELb0ES3_N6thrust23THRUST_200600_302600_NS18transform_iteratorI9which_rowNS9_17counting_iteratorIiNS9_11use_defaultESD_SD_EESD_SD_EENS9_6detail15normal_iteratorINS9_10device_ptrIiEEEESK_iNS9_4plusIvEENS9_8equal_toIvEEiEE10hipError_tPvRmT2_T3_T4_T5_mT6_T7_P12ihipStream_tbENKUlT_T0_E_clISt17integral_constantIbLb1EES15_EEDaS10_S11_EUlS10_E_NS1_11comp_targetILNS1_3genE9ELNS1_11target_archE1100ELNS1_3gpuE3ELNS1_3repE0EEENS1_30default_config_static_selectorELNS0_4arch9wavefront6targetE0EEEvT1_.numbered_sgpr, 0
	.set _ZN7rocprim17ROCPRIM_400000_NS6detail17trampoline_kernelINS0_14default_configENS1_27scan_by_key_config_selectorIiiEEZZNS1_16scan_by_key_implILNS1_25lookback_scan_determinismE0ELb0ES3_N6thrust23THRUST_200600_302600_NS18transform_iteratorI9which_rowNS9_17counting_iteratorIiNS9_11use_defaultESD_SD_EESD_SD_EENS9_6detail15normal_iteratorINS9_10device_ptrIiEEEESK_iNS9_4plusIvEENS9_8equal_toIvEEiEE10hipError_tPvRmT2_T3_T4_T5_mT6_T7_P12ihipStream_tbENKUlT_T0_E_clISt17integral_constantIbLb1EES15_EEDaS10_S11_EUlS10_E_NS1_11comp_targetILNS1_3genE9ELNS1_11target_archE1100ELNS1_3gpuE3ELNS1_3repE0EEENS1_30default_config_static_selectorELNS0_4arch9wavefront6targetE0EEEvT1_.num_named_barrier, 0
	.set _ZN7rocprim17ROCPRIM_400000_NS6detail17trampoline_kernelINS0_14default_configENS1_27scan_by_key_config_selectorIiiEEZZNS1_16scan_by_key_implILNS1_25lookback_scan_determinismE0ELb0ES3_N6thrust23THRUST_200600_302600_NS18transform_iteratorI9which_rowNS9_17counting_iteratorIiNS9_11use_defaultESD_SD_EESD_SD_EENS9_6detail15normal_iteratorINS9_10device_ptrIiEEEESK_iNS9_4plusIvEENS9_8equal_toIvEEiEE10hipError_tPvRmT2_T3_T4_T5_mT6_T7_P12ihipStream_tbENKUlT_T0_E_clISt17integral_constantIbLb1EES15_EEDaS10_S11_EUlS10_E_NS1_11comp_targetILNS1_3genE9ELNS1_11target_archE1100ELNS1_3gpuE3ELNS1_3repE0EEENS1_30default_config_static_selectorELNS0_4arch9wavefront6targetE0EEEvT1_.private_seg_size, 0
	.set _ZN7rocprim17ROCPRIM_400000_NS6detail17trampoline_kernelINS0_14default_configENS1_27scan_by_key_config_selectorIiiEEZZNS1_16scan_by_key_implILNS1_25lookback_scan_determinismE0ELb0ES3_N6thrust23THRUST_200600_302600_NS18transform_iteratorI9which_rowNS9_17counting_iteratorIiNS9_11use_defaultESD_SD_EESD_SD_EENS9_6detail15normal_iteratorINS9_10device_ptrIiEEEESK_iNS9_4plusIvEENS9_8equal_toIvEEiEE10hipError_tPvRmT2_T3_T4_T5_mT6_T7_P12ihipStream_tbENKUlT_T0_E_clISt17integral_constantIbLb1EES15_EEDaS10_S11_EUlS10_E_NS1_11comp_targetILNS1_3genE9ELNS1_11target_archE1100ELNS1_3gpuE3ELNS1_3repE0EEENS1_30default_config_static_selectorELNS0_4arch9wavefront6targetE0EEEvT1_.uses_vcc, 0
	.set _ZN7rocprim17ROCPRIM_400000_NS6detail17trampoline_kernelINS0_14default_configENS1_27scan_by_key_config_selectorIiiEEZZNS1_16scan_by_key_implILNS1_25lookback_scan_determinismE0ELb0ES3_N6thrust23THRUST_200600_302600_NS18transform_iteratorI9which_rowNS9_17counting_iteratorIiNS9_11use_defaultESD_SD_EESD_SD_EENS9_6detail15normal_iteratorINS9_10device_ptrIiEEEESK_iNS9_4plusIvEENS9_8equal_toIvEEiEE10hipError_tPvRmT2_T3_T4_T5_mT6_T7_P12ihipStream_tbENKUlT_T0_E_clISt17integral_constantIbLb1EES15_EEDaS10_S11_EUlS10_E_NS1_11comp_targetILNS1_3genE9ELNS1_11target_archE1100ELNS1_3gpuE3ELNS1_3repE0EEENS1_30default_config_static_selectorELNS0_4arch9wavefront6targetE0EEEvT1_.uses_flat_scratch, 0
	.set _ZN7rocprim17ROCPRIM_400000_NS6detail17trampoline_kernelINS0_14default_configENS1_27scan_by_key_config_selectorIiiEEZZNS1_16scan_by_key_implILNS1_25lookback_scan_determinismE0ELb0ES3_N6thrust23THRUST_200600_302600_NS18transform_iteratorI9which_rowNS9_17counting_iteratorIiNS9_11use_defaultESD_SD_EESD_SD_EENS9_6detail15normal_iteratorINS9_10device_ptrIiEEEESK_iNS9_4plusIvEENS9_8equal_toIvEEiEE10hipError_tPvRmT2_T3_T4_T5_mT6_T7_P12ihipStream_tbENKUlT_T0_E_clISt17integral_constantIbLb1EES15_EEDaS10_S11_EUlS10_E_NS1_11comp_targetILNS1_3genE9ELNS1_11target_archE1100ELNS1_3gpuE3ELNS1_3repE0EEENS1_30default_config_static_selectorELNS0_4arch9wavefront6targetE0EEEvT1_.has_dyn_sized_stack, 0
	.set _ZN7rocprim17ROCPRIM_400000_NS6detail17trampoline_kernelINS0_14default_configENS1_27scan_by_key_config_selectorIiiEEZZNS1_16scan_by_key_implILNS1_25lookback_scan_determinismE0ELb0ES3_N6thrust23THRUST_200600_302600_NS18transform_iteratorI9which_rowNS9_17counting_iteratorIiNS9_11use_defaultESD_SD_EESD_SD_EENS9_6detail15normal_iteratorINS9_10device_ptrIiEEEESK_iNS9_4plusIvEENS9_8equal_toIvEEiEE10hipError_tPvRmT2_T3_T4_T5_mT6_T7_P12ihipStream_tbENKUlT_T0_E_clISt17integral_constantIbLb1EES15_EEDaS10_S11_EUlS10_E_NS1_11comp_targetILNS1_3genE9ELNS1_11target_archE1100ELNS1_3gpuE3ELNS1_3repE0EEENS1_30default_config_static_selectorELNS0_4arch9wavefront6targetE0EEEvT1_.has_recursion, 0
	.set _ZN7rocprim17ROCPRIM_400000_NS6detail17trampoline_kernelINS0_14default_configENS1_27scan_by_key_config_selectorIiiEEZZNS1_16scan_by_key_implILNS1_25lookback_scan_determinismE0ELb0ES3_N6thrust23THRUST_200600_302600_NS18transform_iteratorI9which_rowNS9_17counting_iteratorIiNS9_11use_defaultESD_SD_EESD_SD_EENS9_6detail15normal_iteratorINS9_10device_ptrIiEEEESK_iNS9_4plusIvEENS9_8equal_toIvEEiEE10hipError_tPvRmT2_T3_T4_T5_mT6_T7_P12ihipStream_tbENKUlT_T0_E_clISt17integral_constantIbLb1EES15_EEDaS10_S11_EUlS10_E_NS1_11comp_targetILNS1_3genE9ELNS1_11target_archE1100ELNS1_3gpuE3ELNS1_3repE0EEENS1_30default_config_static_selectorELNS0_4arch9wavefront6targetE0EEEvT1_.has_indirect_call, 0
	.section	.AMDGPU.csdata,"",@progbits
; Kernel info:
; codeLenInByte = 0
; TotalNumSgprs: 0
; NumVgprs: 0
; ScratchSize: 0
; MemoryBound: 0
; FloatMode: 240
; IeeeMode: 1
; LDSByteSize: 0 bytes/workgroup (compile time only)
; SGPRBlocks: 0
; VGPRBlocks: 0
; NumSGPRsForWavesPerEU: 1
; NumVGPRsForWavesPerEU: 1
; NamedBarCnt: 0
; Occupancy: 16
; WaveLimiterHint : 0
; COMPUTE_PGM_RSRC2:SCRATCH_EN: 0
; COMPUTE_PGM_RSRC2:USER_SGPR: 2
; COMPUTE_PGM_RSRC2:TRAP_HANDLER: 0
; COMPUTE_PGM_RSRC2:TGID_X_EN: 1
; COMPUTE_PGM_RSRC2:TGID_Y_EN: 0
; COMPUTE_PGM_RSRC2:TGID_Z_EN: 0
; COMPUTE_PGM_RSRC2:TIDIG_COMP_CNT: 0
	.section	.text._ZN7rocprim17ROCPRIM_400000_NS6detail17trampoline_kernelINS0_14default_configENS1_27scan_by_key_config_selectorIiiEEZZNS1_16scan_by_key_implILNS1_25lookback_scan_determinismE0ELb0ES3_N6thrust23THRUST_200600_302600_NS18transform_iteratorI9which_rowNS9_17counting_iteratorIiNS9_11use_defaultESD_SD_EESD_SD_EENS9_6detail15normal_iteratorINS9_10device_ptrIiEEEESK_iNS9_4plusIvEENS9_8equal_toIvEEiEE10hipError_tPvRmT2_T3_T4_T5_mT6_T7_P12ihipStream_tbENKUlT_T0_E_clISt17integral_constantIbLb1EES15_EEDaS10_S11_EUlS10_E_NS1_11comp_targetILNS1_3genE8ELNS1_11target_archE1030ELNS1_3gpuE2ELNS1_3repE0EEENS1_30default_config_static_selectorELNS0_4arch9wavefront6targetE0EEEvT1_,"axG",@progbits,_ZN7rocprim17ROCPRIM_400000_NS6detail17trampoline_kernelINS0_14default_configENS1_27scan_by_key_config_selectorIiiEEZZNS1_16scan_by_key_implILNS1_25lookback_scan_determinismE0ELb0ES3_N6thrust23THRUST_200600_302600_NS18transform_iteratorI9which_rowNS9_17counting_iteratorIiNS9_11use_defaultESD_SD_EESD_SD_EENS9_6detail15normal_iteratorINS9_10device_ptrIiEEEESK_iNS9_4plusIvEENS9_8equal_toIvEEiEE10hipError_tPvRmT2_T3_T4_T5_mT6_T7_P12ihipStream_tbENKUlT_T0_E_clISt17integral_constantIbLb1EES15_EEDaS10_S11_EUlS10_E_NS1_11comp_targetILNS1_3genE8ELNS1_11target_archE1030ELNS1_3gpuE2ELNS1_3repE0EEENS1_30default_config_static_selectorELNS0_4arch9wavefront6targetE0EEEvT1_,comdat
	.protected	_ZN7rocprim17ROCPRIM_400000_NS6detail17trampoline_kernelINS0_14default_configENS1_27scan_by_key_config_selectorIiiEEZZNS1_16scan_by_key_implILNS1_25lookback_scan_determinismE0ELb0ES3_N6thrust23THRUST_200600_302600_NS18transform_iteratorI9which_rowNS9_17counting_iteratorIiNS9_11use_defaultESD_SD_EESD_SD_EENS9_6detail15normal_iteratorINS9_10device_ptrIiEEEESK_iNS9_4plusIvEENS9_8equal_toIvEEiEE10hipError_tPvRmT2_T3_T4_T5_mT6_T7_P12ihipStream_tbENKUlT_T0_E_clISt17integral_constantIbLb1EES15_EEDaS10_S11_EUlS10_E_NS1_11comp_targetILNS1_3genE8ELNS1_11target_archE1030ELNS1_3gpuE2ELNS1_3repE0EEENS1_30default_config_static_selectorELNS0_4arch9wavefront6targetE0EEEvT1_ ; -- Begin function _ZN7rocprim17ROCPRIM_400000_NS6detail17trampoline_kernelINS0_14default_configENS1_27scan_by_key_config_selectorIiiEEZZNS1_16scan_by_key_implILNS1_25lookback_scan_determinismE0ELb0ES3_N6thrust23THRUST_200600_302600_NS18transform_iteratorI9which_rowNS9_17counting_iteratorIiNS9_11use_defaultESD_SD_EESD_SD_EENS9_6detail15normal_iteratorINS9_10device_ptrIiEEEESK_iNS9_4plusIvEENS9_8equal_toIvEEiEE10hipError_tPvRmT2_T3_T4_T5_mT6_T7_P12ihipStream_tbENKUlT_T0_E_clISt17integral_constantIbLb1EES15_EEDaS10_S11_EUlS10_E_NS1_11comp_targetILNS1_3genE8ELNS1_11target_archE1030ELNS1_3gpuE2ELNS1_3repE0EEENS1_30default_config_static_selectorELNS0_4arch9wavefront6targetE0EEEvT1_
	.globl	_ZN7rocprim17ROCPRIM_400000_NS6detail17trampoline_kernelINS0_14default_configENS1_27scan_by_key_config_selectorIiiEEZZNS1_16scan_by_key_implILNS1_25lookback_scan_determinismE0ELb0ES3_N6thrust23THRUST_200600_302600_NS18transform_iteratorI9which_rowNS9_17counting_iteratorIiNS9_11use_defaultESD_SD_EESD_SD_EENS9_6detail15normal_iteratorINS9_10device_ptrIiEEEESK_iNS9_4plusIvEENS9_8equal_toIvEEiEE10hipError_tPvRmT2_T3_T4_T5_mT6_T7_P12ihipStream_tbENKUlT_T0_E_clISt17integral_constantIbLb1EES15_EEDaS10_S11_EUlS10_E_NS1_11comp_targetILNS1_3genE8ELNS1_11target_archE1030ELNS1_3gpuE2ELNS1_3repE0EEENS1_30default_config_static_selectorELNS0_4arch9wavefront6targetE0EEEvT1_
	.p2align	8
	.type	_ZN7rocprim17ROCPRIM_400000_NS6detail17trampoline_kernelINS0_14default_configENS1_27scan_by_key_config_selectorIiiEEZZNS1_16scan_by_key_implILNS1_25lookback_scan_determinismE0ELb0ES3_N6thrust23THRUST_200600_302600_NS18transform_iteratorI9which_rowNS9_17counting_iteratorIiNS9_11use_defaultESD_SD_EESD_SD_EENS9_6detail15normal_iteratorINS9_10device_ptrIiEEEESK_iNS9_4plusIvEENS9_8equal_toIvEEiEE10hipError_tPvRmT2_T3_T4_T5_mT6_T7_P12ihipStream_tbENKUlT_T0_E_clISt17integral_constantIbLb1EES15_EEDaS10_S11_EUlS10_E_NS1_11comp_targetILNS1_3genE8ELNS1_11target_archE1030ELNS1_3gpuE2ELNS1_3repE0EEENS1_30default_config_static_selectorELNS0_4arch9wavefront6targetE0EEEvT1_,@function
_ZN7rocprim17ROCPRIM_400000_NS6detail17trampoline_kernelINS0_14default_configENS1_27scan_by_key_config_selectorIiiEEZZNS1_16scan_by_key_implILNS1_25lookback_scan_determinismE0ELb0ES3_N6thrust23THRUST_200600_302600_NS18transform_iteratorI9which_rowNS9_17counting_iteratorIiNS9_11use_defaultESD_SD_EESD_SD_EENS9_6detail15normal_iteratorINS9_10device_ptrIiEEEESK_iNS9_4plusIvEENS9_8equal_toIvEEiEE10hipError_tPvRmT2_T3_T4_T5_mT6_T7_P12ihipStream_tbENKUlT_T0_E_clISt17integral_constantIbLb1EES15_EEDaS10_S11_EUlS10_E_NS1_11comp_targetILNS1_3genE8ELNS1_11target_archE1030ELNS1_3gpuE2ELNS1_3repE0EEENS1_30default_config_static_selectorELNS0_4arch9wavefront6targetE0EEEvT1_: ; @_ZN7rocprim17ROCPRIM_400000_NS6detail17trampoline_kernelINS0_14default_configENS1_27scan_by_key_config_selectorIiiEEZZNS1_16scan_by_key_implILNS1_25lookback_scan_determinismE0ELb0ES3_N6thrust23THRUST_200600_302600_NS18transform_iteratorI9which_rowNS9_17counting_iteratorIiNS9_11use_defaultESD_SD_EESD_SD_EENS9_6detail15normal_iteratorINS9_10device_ptrIiEEEESK_iNS9_4plusIvEENS9_8equal_toIvEEiEE10hipError_tPvRmT2_T3_T4_T5_mT6_T7_P12ihipStream_tbENKUlT_T0_E_clISt17integral_constantIbLb1EES15_EEDaS10_S11_EUlS10_E_NS1_11comp_targetILNS1_3genE8ELNS1_11target_archE1030ELNS1_3gpuE2ELNS1_3repE0EEENS1_30default_config_static_selectorELNS0_4arch9wavefront6targetE0EEEvT1_
; %bb.0:
	.section	.rodata,"a",@progbits
	.p2align	6, 0x0
	.amdhsa_kernel _ZN7rocprim17ROCPRIM_400000_NS6detail17trampoline_kernelINS0_14default_configENS1_27scan_by_key_config_selectorIiiEEZZNS1_16scan_by_key_implILNS1_25lookback_scan_determinismE0ELb0ES3_N6thrust23THRUST_200600_302600_NS18transform_iteratorI9which_rowNS9_17counting_iteratorIiNS9_11use_defaultESD_SD_EESD_SD_EENS9_6detail15normal_iteratorINS9_10device_ptrIiEEEESK_iNS9_4plusIvEENS9_8equal_toIvEEiEE10hipError_tPvRmT2_T3_T4_T5_mT6_T7_P12ihipStream_tbENKUlT_T0_E_clISt17integral_constantIbLb1EES15_EEDaS10_S11_EUlS10_E_NS1_11comp_targetILNS1_3genE8ELNS1_11target_archE1030ELNS1_3gpuE2ELNS1_3repE0EEENS1_30default_config_static_selectorELNS0_4arch9wavefront6targetE0EEEvT1_
		.amdhsa_group_segment_fixed_size 0
		.amdhsa_private_segment_fixed_size 0
		.amdhsa_kernarg_size 112
		.amdhsa_user_sgpr_count 2
		.amdhsa_user_sgpr_dispatch_ptr 0
		.amdhsa_user_sgpr_queue_ptr 0
		.amdhsa_user_sgpr_kernarg_segment_ptr 1
		.amdhsa_user_sgpr_dispatch_id 0
		.amdhsa_user_sgpr_kernarg_preload_length 0
		.amdhsa_user_sgpr_kernarg_preload_offset 0
		.amdhsa_user_sgpr_private_segment_size 0
		.amdhsa_wavefront_size32 1
		.amdhsa_uses_dynamic_stack 0
		.amdhsa_enable_private_segment 0
		.amdhsa_system_sgpr_workgroup_id_x 1
		.amdhsa_system_sgpr_workgroup_id_y 0
		.amdhsa_system_sgpr_workgroup_id_z 0
		.amdhsa_system_sgpr_workgroup_info 0
		.amdhsa_system_vgpr_workitem_id 0
		.amdhsa_next_free_vgpr 1
		.amdhsa_next_free_sgpr 1
		.amdhsa_named_barrier_count 0
		.amdhsa_reserve_vcc 0
		.amdhsa_float_round_mode_32 0
		.amdhsa_float_round_mode_16_64 0
		.amdhsa_float_denorm_mode_32 3
		.amdhsa_float_denorm_mode_16_64 3
		.amdhsa_fp16_overflow 0
		.amdhsa_memory_ordered 1
		.amdhsa_forward_progress 1
		.amdhsa_inst_pref_size 0
		.amdhsa_round_robin_scheduling 0
		.amdhsa_exception_fp_ieee_invalid_op 0
		.amdhsa_exception_fp_denorm_src 0
		.amdhsa_exception_fp_ieee_div_zero 0
		.amdhsa_exception_fp_ieee_overflow 0
		.amdhsa_exception_fp_ieee_underflow 0
		.amdhsa_exception_fp_ieee_inexact 0
		.amdhsa_exception_int_div_zero 0
	.end_amdhsa_kernel
	.section	.text._ZN7rocprim17ROCPRIM_400000_NS6detail17trampoline_kernelINS0_14default_configENS1_27scan_by_key_config_selectorIiiEEZZNS1_16scan_by_key_implILNS1_25lookback_scan_determinismE0ELb0ES3_N6thrust23THRUST_200600_302600_NS18transform_iteratorI9which_rowNS9_17counting_iteratorIiNS9_11use_defaultESD_SD_EESD_SD_EENS9_6detail15normal_iteratorINS9_10device_ptrIiEEEESK_iNS9_4plusIvEENS9_8equal_toIvEEiEE10hipError_tPvRmT2_T3_T4_T5_mT6_T7_P12ihipStream_tbENKUlT_T0_E_clISt17integral_constantIbLb1EES15_EEDaS10_S11_EUlS10_E_NS1_11comp_targetILNS1_3genE8ELNS1_11target_archE1030ELNS1_3gpuE2ELNS1_3repE0EEENS1_30default_config_static_selectorELNS0_4arch9wavefront6targetE0EEEvT1_,"axG",@progbits,_ZN7rocprim17ROCPRIM_400000_NS6detail17trampoline_kernelINS0_14default_configENS1_27scan_by_key_config_selectorIiiEEZZNS1_16scan_by_key_implILNS1_25lookback_scan_determinismE0ELb0ES3_N6thrust23THRUST_200600_302600_NS18transform_iteratorI9which_rowNS9_17counting_iteratorIiNS9_11use_defaultESD_SD_EESD_SD_EENS9_6detail15normal_iteratorINS9_10device_ptrIiEEEESK_iNS9_4plusIvEENS9_8equal_toIvEEiEE10hipError_tPvRmT2_T3_T4_T5_mT6_T7_P12ihipStream_tbENKUlT_T0_E_clISt17integral_constantIbLb1EES15_EEDaS10_S11_EUlS10_E_NS1_11comp_targetILNS1_3genE8ELNS1_11target_archE1030ELNS1_3gpuE2ELNS1_3repE0EEENS1_30default_config_static_selectorELNS0_4arch9wavefront6targetE0EEEvT1_,comdat
.Lfunc_end105:
	.size	_ZN7rocprim17ROCPRIM_400000_NS6detail17trampoline_kernelINS0_14default_configENS1_27scan_by_key_config_selectorIiiEEZZNS1_16scan_by_key_implILNS1_25lookback_scan_determinismE0ELb0ES3_N6thrust23THRUST_200600_302600_NS18transform_iteratorI9which_rowNS9_17counting_iteratorIiNS9_11use_defaultESD_SD_EESD_SD_EENS9_6detail15normal_iteratorINS9_10device_ptrIiEEEESK_iNS9_4plusIvEENS9_8equal_toIvEEiEE10hipError_tPvRmT2_T3_T4_T5_mT6_T7_P12ihipStream_tbENKUlT_T0_E_clISt17integral_constantIbLb1EES15_EEDaS10_S11_EUlS10_E_NS1_11comp_targetILNS1_3genE8ELNS1_11target_archE1030ELNS1_3gpuE2ELNS1_3repE0EEENS1_30default_config_static_selectorELNS0_4arch9wavefront6targetE0EEEvT1_, .Lfunc_end105-_ZN7rocprim17ROCPRIM_400000_NS6detail17trampoline_kernelINS0_14default_configENS1_27scan_by_key_config_selectorIiiEEZZNS1_16scan_by_key_implILNS1_25lookback_scan_determinismE0ELb0ES3_N6thrust23THRUST_200600_302600_NS18transform_iteratorI9which_rowNS9_17counting_iteratorIiNS9_11use_defaultESD_SD_EESD_SD_EENS9_6detail15normal_iteratorINS9_10device_ptrIiEEEESK_iNS9_4plusIvEENS9_8equal_toIvEEiEE10hipError_tPvRmT2_T3_T4_T5_mT6_T7_P12ihipStream_tbENKUlT_T0_E_clISt17integral_constantIbLb1EES15_EEDaS10_S11_EUlS10_E_NS1_11comp_targetILNS1_3genE8ELNS1_11target_archE1030ELNS1_3gpuE2ELNS1_3repE0EEENS1_30default_config_static_selectorELNS0_4arch9wavefront6targetE0EEEvT1_
                                        ; -- End function
	.set _ZN7rocprim17ROCPRIM_400000_NS6detail17trampoline_kernelINS0_14default_configENS1_27scan_by_key_config_selectorIiiEEZZNS1_16scan_by_key_implILNS1_25lookback_scan_determinismE0ELb0ES3_N6thrust23THRUST_200600_302600_NS18transform_iteratorI9which_rowNS9_17counting_iteratorIiNS9_11use_defaultESD_SD_EESD_SD_EENS9_6detail15normal_iteratorINS9_10device_ptrIiEEEESK_iNS9_4plusIvEENS9_8equal_toIvEEiEE10hipError_tPvRmT2_T3_T4_T5_mT6_T7_P12ihipStream_tbENKUlT_T0_E_clISt17integral_constantIbLb1EES15_EEDaS10_S11_EUlS10_E_NS1_11comp_targetILNS1_3genE8ELNS1_11target_archE1030ELNS1_3gpuE2ELNS1_3repE0EEENS1_30default_config_static_selectorELNS0_4arch9wavefront6targetE0EEEvT1_.num_vgpr, 0
	.set _ZN7rocprim17ROCPRIM_400000_NS6detail17trampoline_kernelINS0_14default_configENS1_27scan_by_key_config_selectorIiiEEZZNS1_16scan_by_key_implILNS1_25lookback_scan_determinismE0ELb0ES3_N6thrust23THRUST_200600_302600_NS18transform_iteratorI9which_rowNS9_17counting_iteratorIiNS9_11use_defaultESD_SD_EESD_SD_EENS9_6detail15normal_iteratorINS9_10device_ptrIiEEEESK_iNS9_4plusIvEENS9_8equal_toIvEEiEE10hipError_tPvRmT2_T3_T4_T5_mT6_T7_P12ihipStream_tbENKUlT_T0_E_clISt17integral_constantIbLb1EES15_EEDaS10_S11_EUlS10_E_NS1_11comp_targetILNS1_3genE8ELNS1_11target_archE1030ELNS1_3gpuE2ELNS1_3repE0EEENS1_30default_config_static_selectorELNS0_4arch9wavefront6targetE0EEEvT1_.num_agpr, 0
	.set _ZN7rocprim17ROCPRIM_400000_NS6detail17trampoline_kernelINS0_14default_configENS1_27scan_by_key_config_selectorIiiEEZZNS1_16scan_by_key_implILNS1_25lookback_scan_determinismE0ELb0ES3_N6thrust23THRUST_200600_302600_NS18transform_iteratorI9which_rowNS9_17counting_iteratorIiNS9_11use_defaultESD_SD_EESD_SD_EENS9_6detail15normal_iteratorINS9_10device_ptrIiEEEESK_iNS9_4plusIvEENS9_8equal_toIvEEiEE10hipError_tPvRmT2_T3_T4_T5_mT6_T7_P12ihipStream_tbENKUlT_T0_E_clISt17integral_constantIbLb1EES15_EEDaS10_S11_EUlS10_E_NS1_11comp_targetILNS1_3genE8ELNS1_11target_archE1030ELNS1_3gpuE2ELNS1_3repE0EEENS1_30default_config_static_selectorELNS0_4arch9wavefront6targetE0EEEvT1_.numbered_sgpr, 0
	.set _ZN7rocprim17ROCPRIM_400000_NS6detail17trampoline_kernelINS0_14default_configENS1_27scan_by_key_config_selectorIiiEEZZNS1_16scan_by_key_implILNS1_25lookback_scan_determinismE0ELb0ES3_N6thrust23THRUST_200600_302600_NS18transform_iteratorI9which_rowNS9_17counting_iteratorIiNS9_11use_defaultESD_SD_EESD_SD_EENS9_6detail15normal_iteratorINS9_10device_ptrIiEEEESK_iNS9_4plusIvEENS9_8equal_toIvEEiEE10hipError_tPvRmT2_T3_T4_T5_mT6_T7_P12ihipStream_tbENKUlT_T0_E_clISt17integral_constantIbLb1EES15_EEDaS10_S11_EUlS10_E_NS1_11comp_targetILNS1_3genE8ELNS1_11target_archE1030ELNS1_3gpuE2ELNS1_3repE0EEENS1_30default_config_static_selectorELNS0_4arch9wavefront6targetE0EEEvT1_.num_named_barrier, 0
	.set _ZN7rocprim17ROCPRIM_400000_NS6detail17trampoline_kernelINS0_14default_configENS1_27scan_by_key_config_selectorIiiEEZZNS1_16scan_by_key_implILNS1_25lookback_scan_determinismE0ELb0ES3_N6thrust23THRUST_200600_302600_NS18transform_iteratorI9which_rowNS9_17counting_iteratorIiNS9_11use_defaultESD_SD_EESD_SD_EENS9_6detail15normal_iteratorINS9_10device_ptrIiEEEESK_iNS9_4plusIvEENS9_8equal_toIvEEiEE10hipError_tPvRmT2_T3_T4_T5_mT6_T7_P12ihipStream_tbENKUlT_T0_E_clISt17integral_constantIbLb1EES15_EEDaS10_S11_EUlS10_E_NS1_11comp_targetILNS1_3genE8ELNS1_11target_archE1030ELNS1_3gpuE2ELNS1_3repE0EEENS1_30default_config_static_selectorELNS0_4arch9wavefront6targetE0EEEvT1_.private_seg_size, 0
	.set _ZN7rocprim17ROCPRIM_400000_NS6detail17trampoline_kernelINS0_14default_configENS1_27scan_by_key_config_selectorIiiEEZZNS1_16scan_by_key_implILNS1_25lookback_scan_determinismE0ELb0ES3_N6thrust23THRUST_200600_302600_NS18transform_iteratorI9which_rowNS9_17counting_iteratorIiNS9_11use_defaultESD_SD_EESD_SD_EENS9_6detail15normal_iteratorINS9_10device_ptrIiEEEESK_iNS9_4plusIvEENS9_8equal_toIvEEiEE10hipError_tPvRmT2_T3_T4_T5_mT6_T7_P12ihipStream_tbENKUlT_T0_E_clISt17integral_constantIbLb1EES15_EEDaS10_S11_EUlS10_E_NS1_11comp_targetILNS1_3genE8ELNS1_11target_archE1030ELNS1_3gpuE2ELNS1_3repE0EEENS1_30default_config_static_selectorELNS0_4arch9wavefront6targetE0EEEvT1_.uses_vcc, 0
	.set _ZN7rocprim17ROCPRIM_400000_NS6detail17trampoline_kernelINS0_14default_configENS1_27scan_by_key_config_selectorIiiEEZZNS1_16scan_by_key_implILNS1_25lookback_scan_determinismE0ELb0ES3_N6thrust23THRUST_200600_302600_NS18transform_iteratorI9which_rowNS9_17counting_iteratorIiNS9_11use_defaultESD_SD_EESD_SD_EENS9_6detail15normal_iteratorINS9_10device_ptrIiEEEESK_iNS9_4plusIvEENS9_8equal_toIvEEiEE10hipError_tPvRmT2_T3_T4_T5_mT6_T7_P12ihipStream_tbENKUlT_T0_E_clISt17integral_constantIbLb1EES15_EEDaS10_S11_EUlS10_E_NS1_11comp_targetILNS1_3genE8ELNS1_11target_archE1030ELNS1_3gpuE2ELNS1_3repE0EEENS1_30default_config_static_selectorELNS0_4arch9wavefront6targetE0EEEvT1_.uses_flat_scratch, 0
	.set _ZN7rocprim17ROCPRIM_400000_NS6detail17trampoline_kernelINS0_14default_configENS1_27scan_by_key_config_selectorIiiEEZZNS1_16scan_by_key_implILNS1_25lookback_scan_determinismE0ELb0ES3_N6thrust23THRUST_200600_302600_NS18transform_iteratorI9which_rowNS9_17counting_iteratorIiNS9_11use_defaultESD_SD_EESD_SD_EENS9_6detail15normal_iteratorINS9_10device_ptrIiEEEESK_iNS9_4plusIvEENS9_8equal_toIvEEiEE10hipError_tPvRmT2_T3_T4_T5_mT6_T7_P12ihipStream_tbENKUlT_T0_E_clISt17integral_constantIbLb1EES15_EEDaS10_S11_EUlS10_E_NS1_11comp_targetILNS1_3genE8ELNS1_11target_archE1030ELNS1_3gpuE2ELNS1_3repE0EEENS1_30default_config_static_selectorELNS0_4arch9wavefront6targetE0EEEvT1_.has_dyn_sized_stack, 0
	.set _ZN7rocprim17ROCPRIM_400000_NS6detail17trampoline_kernelINS0_14default_configENS1_27scan_by_key_config_selectorIiiEEZZNS1_16scan_by_key_implILNS1_25lookback_scan_determinismE0ELb0ES3_N6thrust23THRUST_200600_302600_NS18transform_iteratorI9which_rowNS9_17counting_iteratorIiNS9_11use_defaultESD_SD_EESD_SD_EENS9_6detail15normal_iteratorINS9_10device_ptrIiEEEESK_iNS9_4plusIvEENS9_8equal_toIvEEiEE10hipError_tPvRmT2_T3_T4_T5_mT6_T7_P12ihipStream_tbENKUlT_T0_E_clISt17integral_constantIbLb1EES15_EEDaS10_S11_EUlS10_E_NS1_11comp_targetILNS1_3genE8ELNS1_11target_archE1030ELNS1_3gpuE2ELNS1_3repE0EEENS1_30default_config_static_selectorELNS0_4arch9wavefront6targetE0EEEvT1_.has_recursion, 0
	.set _ZN7rocprim17ROCPRIM_400000_NS6detail17trampoline_kernelINS0_14default_configENS1_27scan_by_key_config_selectorIiiEEZZNS1_16scan_by_key_implILNS1_25lookback_scan_determinismE0ELb0ES3_N6thrust23THRUST_200600_302600_NS18transform_iteratorI9which_rowNS9_17counting_iteratorIiNS9_11use_defaultESD_SD_EESD_SD_EENS9_6detail15normal_iteratorINS9_10device_ptrIiEEEESK_iNS9_4plusIvEENS9_8equal_toIvEEiEE10hipError_tPvRmT2_T3_T4_T5_mT6_T7_P12ihipStream_tbENKUlT_T0_E_clISt17integral_constantIbLb1EES15_EEDaS10_S11_EUlS10_E_NS1_11comp_targetILNS1_3genE8ELNS1_11target_archE1030ELNS1_3gpuE2ELNS1_3repE0EEENS1_30default_config_static_selectorELNS0_4arch9wavefront6targetE0EEEvT1_.has_indirect_call, 0
	.section	.AMDGPU.csdata,"",@progbits
; Kernel info:
; codeLenInByte = 0
; TotalNumSgprs: 0
; NumVgprs: 0
; ScratchSize: 0
; MemoryBound: 0
; FloatMode: 240
; IeeeMode: 1
; LDSByteSize: 0 bytes/workgroup (compile time only)
; SGPRBlocks: 0
; VGPRBlocks: 0
; NumSGPRsForWavesPerEU: 1
; NumVGPRsForWavesPerEU: 1
; NamedBarCnt: 0
; Occupancy: 16
; WaveLimiterHint : 0
; COMPUTE_PGM_RSRC2:SCRATCH_EN: 0
; COMPUTE_PGM_RSRC2:USER_SGPR: 2
; COMPUTE_PGM_RSRC2:TRAP_HANDLER: 0
; COMPUTE_PGM_RSRC2:TGID_X_EN: 1
; COMPUTE_PGM_RSRC2:TGID_Y_EN: 0
; COMPUTE_PGM_RSRC2:TGID_Z_EN: 0
; COMPUTE_PGM_RSRC2:TIDIG_COMP_CNT: 0
	.section	.text._ZN7rocprim17ROCPRIM_400000_NS6detail30init_device_scan_by_key_kernelINS1_19lookback_scan_stateINS0_5tupleIJibEEELb1ELb1EEEN6thrust23THRUST_200600_302600_NS18transform_iteratorI9which_rowNS8_17counting_iteratorIiNS8_11use_defaultESC_SC_EESC_SC_EEjNS1_16block_id_wrapperIjLb0EEEEEvT_jjPNSH_10value_typeET0_PNSt15iterator_traitsISK_E10value_typeEmT1_T2_,"axG",@progbits,_ZN7rocprim17ROCPRIM_400000_NS6detail30init_device_scan_by_key_kernelINS1_19lookback_scan_stateINS0_5tupleIJibEEELb1ELb1EEEN6thrust23THRUST_200600_302600_NS18transform_iteratorI9which_rowNS8_17counting_iteratorIiNS8_11use_defaultESC_SC_EESC_SC_EEjNS1_16block_id_wrapperIjLb0EEEEEvT_jjPNSH_10value_typeET0_PNSt15iterator_traitsISK_E10value_typeEmT1_T2_,comdat
	.protected	_ZN7rocprim17ROCPRIM_400000_NS6detail30init_device_scan_by_key_kernelINS1_19lookback_scan_stateINS0_5tupleIJibEEELb1ELb1EEEN6thrust23THRUST_200600_302600_NS18transform_iteratorI9which_rowNS8_17counting_iteratorIiNS8_11use_defaultESC_SC_EESC_SC_EEjNS1_16block_id_wrapperIjLb0EEEEEvT_jjPNSH_10value_typeET0_PNSt15iterator_traitsISK_E10value_typeEmT1_T2_ ; -- Begin function _ZN7rocprim17ROCPRIM_400000_NS6detail30init_device_scan_by_key_kernelINS1_19lookback_scan_stateINS0_5tupleIJibEEELb1ELb1EEEN6thrust23THRUST_200600_302600_NS18transform_iteratorI9which_rowNS8_17counting_iteratorIiNS8_11use_defaultESC_SC_EESC_SC_EEjNS1_16block_id_wrapperIjLb0EEEEEvT_jjPNSH_10value_typeET0_PNSt15iterator_traitsISK_E10value_typeEmT1_T2_
	.globl	_ZN7rocprim17ROCPRIM_400000_NS6detail30init_device_scan_by_key_kernelINS1_19lookback_scan_stateINS0_5tupleIJibEEELb1ELb1EEEN6thrust23THRUST_200600_302600_NS18transform_iteratorI9which_rowNS8_17counting_iteratorIiNS8_11use_defaultESC_SC_EESC_SC_EEjNS1_16block_id_wrapperIjLb0EEEEEvT_jjPNSH_10value_typeET0_PNSt15iterator_traitsISK_E10value_typeEmT1_T2_
	.p2align	8
	.type	_ZN7rocprim17ROCPRIM_400000_NS6detail30init_device_scan_by_key_kernelINS1_19lookback_scan_stateINS0_5tupleIJibEEELb1ELb1EEEN6thrust23THRUST_200600_302600_NS18transform_iteratorI9which_rowNS8_17counting_iteratorIiNS8_11use_defaultESC_SC_EESC_SC_EEjNS1_16block_id_wrapperIjLb0EEEEEvT_jjPNSH_10value_typeET0_PNSt15iterator_traitsISK_E10value_typeEmT1_T2_,@function
_ZN7rocprim17ROCPRIM_400000_NS6detail30init_device_scan_by_key_kernelINS1_19lookback_scan_stateINS0_5tupleIJibEEELb1ELb1EEEN6thrust23THRUST_200600_302600_NS18transform_iteratorI9which_rowNS8_17counting_iteratorIiNS8_11use_defaultESC_SC_EESC_SC_EEjNS1_16block_id_wrapperIjLb0EEEEEvT_jjPNSH_10value_typeET0_PNSt15iterator_traitsISK_E10value_typeEmT1_T2_: ; @_ZN7rocprim17ROCPRIM_400000_NS6detail30init_device_scan_by_key_kernelINS1_19lookback_scan_stateINS0_5tupleIJibEEELb1ELb1EEEN6thrust23THRUST_200600_302600_NS18transform_iteratorI9which_rowNS8_17counting_iteratorIiNS8_11use_defaultESC_SC_EESC_SC_EEjNS1_16block_id_wrapperIjLb0EEEEEvT_jjPNSH_10value_typeET0_PNSt15iterator_traitsISK_E10value_typeEmT1_T2_
; %bb.0:
	s_clause 0x2
	s_load_b32 s2, s[0:1], 0x44
	s_load_b32 s14, s[0:1], 0x38
	s_load_b256 s[4:11], s[0:1], 0x0
	s_bfe_u32 s3, ttmp6, 0x4000c
	s_and_b32 s12, ttmp6, 15
	s_add_co_i32 s3, s3, 1
	s_getreg_b32 s13, hwreg(HW_REG_IB_STS2, 6, 4)
	s_mul_i32 s3, ttmp9, s3
	s_delay_alu instid0(SALU_CYCLE_1)
	s_add_co_i32 s12, s12, s3
	s_wait_kmcnt 0x0
	s_and_b32 s15, s2, 0xffff
	s_cmp_eq_u32 s13, 0
	s_cselect_b32 s2, ttmp9, s12
	s_cmp_eq_u64 s[8:9], 0
	v_mad_u32 v4, s2, s15, v0
	s_cbranch_scc1 .LBB106_10
; %bb.1:
	s_cmp_lt_u32 s7, s6
	s_mov_b32 s16, exec_lo
	s_cselect_b32 s2, s7, 0
	s_delay_alu instid0(VALU_DEP_1) | instid1(SALU_CYCLE_1)
	v_cmpx_eq_u32_e64 s2, v4
	s_cbranch_execz .LBB106_9
; %bb.2:
	s_add_co_i32 s2, s7, 32
	s_mov_b32 s3, 0
	v_mov_b32_e32 v7, 0
	s_lshl_b64 s[12:13], s[2:3], 4
	s_mov_b32 s2, exec_lo
	s_add_nc_u64 s[12:13], s[4:5], s[12:13]
	s_delay_alu instid0(SALU_CYCLE_1) | instskip(SKIP_2) | instid1(VALU_DEP_1)
	v_mov_b64_e32 v[0:1], s[12:13]
	;;#ASMSTART
	global_load_b128 v[0:3], v[0:1] off scope:SCOPE_DEV	
s_wait_loadcnt 0x0
	;;#ASMEND
	v_and_b32_e32 v6, 0xff, v2
	v_cmpx_eq_u64_e32 0, v[6:7]
	s_cbranch_execz .LBB106_8
; %bb.3:
	v_mov_b64_e32 v[8:9], s[12:13]
	s_mov_b32 s7, 1
.LBB106_4:                              ; =>This Loop Header: Depth=1
                                        ;     Child Loop BB106_5 Depth 2
	s_delay_alu instid0(SALU_CYCLE_1)
	s_mov_b32 s12, s7
.LBB106_5:                              ;   Parent Loop BB106_4 Depth=1
                                        ; =>  This Inner Loop Header: Depth=2
	s_delay_alu instid0(SALU_CYCLE_1)
	s_add_co_i32 s12, s12, -1
	s_sleep 1
	s_cmp_eq_u32 s12, 0
	s_cbranch_scc0 .LBB106_5
; %bb.6:                                ;   in Loop: Header=BB106_4 Depth=1
	;;#ASMSTART
	global_load_b128 v[0:3], v[8:9] off scope:SCOPE_DEV	
s_wait_loadcnt 0x0
	;;#ASMEND
	v_and_b32_e32 v6, 0xff, v2
	s_cmp_lt_u32 s7, 32
	s_cselect_b32 s12, -1, 0
	s_delay_alu instid0(VALU_DEP_1) | instskip(SKIP_3) | instid1(SALU_CYCLE_1)
	v_cmp_ne_u64_e32 vcc_lo, 0, v[6:7]
	s_cmp_lg_u32 s12, 0
	s_add_co_ci_u32 s7, s7, 0
	s_or_b32 s3, vcc_lo, s3
	s_and_not1_b32 exec_lo, exec_lo, s3
	s_cbranch_execnz .LBB106_4
; %bb.7:
	s_or_b32 exec_lo, exec_lo, s3
.LBB106_8:
	s_delay_alu instid0(SALU_CYCLE_1)
	s_or_b32 exec_lo, exec_lo, s2
	v_mov_b32_e32 v2, 0
	s_clause 0x1
	global_store_b32 v2, v0, s[8:9]
	global_store_b8 v2, v1, s[8:9] offset:4
.LBB106_9:
	s_wait_xcnt 0x0
	s_or_b32 exec_lo, exec_lo, s16
.LBB106_10:
	s_delay_alu instid0(SALU_CYCLE_1) | instskip(NEXT) | instid1(VALU_DEP_1)
	s_mov_b32 s2, exec_lo
	v_cmpx_gt_u32_e64 s6, v4
	s_cbranch_execz .LBB106_12
; %bb.11:
	v_dual_mov_b32 v0, 0 :: v_dual_add_nc_u32 v5, 32, v4
	s_delay_alu instid0(VALU_DEP_1)
	v_dual_mov_b32 v1, v0 :: v_dual_mov_b32 v2, v0
	v_mov_b32_e32 v3, v0
	global_store_b128 v5, v[0:3], s[4:5] scale_offset
.LBB106_12:
	s_wait_xcnt 0x0
	s_or_b32 exec_lo, exec_lo, s2
	v_mov_b32_e32 v5, 0
	s_mov_b32 s2, exec_lo
	v_cmpx_gt_u32_e32 32, v4
	s_cbranch_execz .LBB106_14
; %bb.13:
	s_delay_alu instid0(VALU_DEP_2)
	v_lshl_add_u64 v[6:7], v[4:5], 4, s[4:5]
	v_dual_mov_b32 v2, 0xff :: v_dual_mov_b32 v1, v5
	v_dual_mov_b32 v0, v5 :: v_dual_mov_b32 v3, v5
	global_store_b128 v[6:7], v[0:3], off
.LBB106_14:
	s_wait_xcnt 0x0
	s_or_b32 exec_lo, exec_lo, s2
	s_load_b64 s[2:3], s[0:1], 0x28
	s_mov_b32 s4, exec_lo
	s_wait_kmcnt 0x0
	v_cmpx_gt_u64_e64 s[2:3], v[4:5]
	s_cbranch_execz .LBB106_17
; %bb.15:
	s_clause 0x1
	s_load_b32 s12, s[0:1], 0x30
	s_load_b64 s[6:7], s[0:1], 0x20
	s_abs_i32 s8, s11
	s_ashr_i32 s9, s11, 31
	s_cvt_f32_u32 s4, s8
	s_sub_co_i32 s11, 0, s8
	v_mov_b32_e32 v3, 0
	s_wait_xcnt 0x0
	s_mov_b32 s1, 0
	v_rcp_iflag_f32_e32 v0, s4
	s_mov_b32 s5, s1
	v_nop
	s_delay_alu instid0(TRANS32_DEP_1)
	v_readfirstlane_b32 s0, v0
	s_mul_f32 s4, s0, 0x4f7ffffe
	s_wait_kmcnt 0x0
	v_mul_lo_u32 v2, s12, v4
	v_lshl_add_u64 v[0:1], v[4:5], 2, s[6:7]
	s_add_co_i32 s7, s10, s12
	s_cvt_u32_f32 s4, s4
	s_mul_i32 s0, s14, s15
	s_delay_alu instid0(SALU_CYCLE_1) | instskip(NEXT) | instid1(SALU_CYCLE_1)
	s_mul_i32 s10, s0, s12
	s_mul_i32 s11, s11, s4
	s_delay_alu instid0(SALU_CYCLE_1) | instskip(SKIP_1) | instid1(VALU_DEP_2)
	s_mul_hi_u32 s6, s4, s11
	s_mov_b32 s11, s1
	v_add3_u32 v6, s7, v2, -1
	s_add_co_i32 s4, s4, s6
	s_lshl_b64 s[6:7], s[0:1], 2
.LBB106_16:                             ; =>This Inner Loop Header: Depth=1
	s_delay_alu instid0(VALU_DEP_1) | instskip(SKIP_1) | instid1(VALU_DEP_2)
	v_sub_nc_u32_e32 v2, 0, v6
	v_add_nc_u64_e32 v[4:5], s[0:1], v[4:5]
	v_max_i32_e32 v2, v6, v2
	s_delay_alu instid0(VALU_DEP_1) | instskip(NEXT) | instid1(VALU_DEP_1)
	v_mul_u64_e32 v[8:9], s[4:5], v[2:3]
	v_mul_lo_u32 v7, v9, s8
	s_delay_alu instid0(VALU_DEP_1) | instskip(NEXT) | instid1(VALU_DEP_1)
	v_dual_add_nc_u32 v8, 1, v9 :: v_dual_sub_nc_u32 v2, v2, v7
	v_cmp_le_u32_e32 vcc_lo, s8, v2
	s_delay_alu instid0(VALU_DEP_2) | instskip(SKIP_1) | instid1(VALU_DEP_1)
	v_dual_cndmask_b32 v8, v9, v8 :: v_dual_ashrrev_i32 v9, 31, v6
	v_subrev_nc_u32_e32 v7, s8, v2
	v_dual_add_nc_u32 v6, s10, v6 :: v_dual_cndmask_b32 v2, v2, v7, vcc_lo
	s_delay_alu instid0(VALU_DEP_3) | instskip(NEXT) | instid1(VALU_DEP_2)
	v_add_nc_u32_e32 v7, 1, v8
	v_cmp_le_u32_e32 vcc_lo, s8, v2
	s_delay_alu instid0(VALU_DEP_2) | instskip(SKIP_1) | instid1(VALU_DEP_2)
	v_dual_cndmask_b32 v2, v8, v7, vcc_lo :: v_dual_bitop2_b32 v9, s9, v9 bitop3:0x14
	v_cmp_le_u64_e32 vcc_lo, s[2:3], v[4:5]
	v_xor_b32_e32 v2, v2, v9
	s_or_b32 s11, vcc_lo, s11
	s_delay_alu instid0(VALU_DEP_1)
	v_sub_nc_u32_e32 v2, v2, v9
	global_store_b32 v[0:1], v2, off
	s_wait_xcnt 0x0
	v_add_nc_u64_e32 v[0:1], s[6:7], v[0:1]
	s_and_not1_b32 exec_lo, exec_lo, s11
	s_cbranch_execnz .LBB106_16
.LBB106_17:
	s_endpgm
	.section	.rodata,"a",@progbits
	.p2align	6, 0x0
	.amdhsa_kernel _ZN7rocprim17ROCPRIM_400000_NS6detail30init_device_scan_by_key_kernelINS1_19lookback_scan_stateINS0_5tupleIJibEEELb1ELb1EEEN6thrust23THRUST_200600_302600_NS18transform_iteratorI9which_rowNS8_17counting_iteratorIiNS8_11use_defaultESC_SC_EESC_SC_EEjNS1_16block_id_wrapperIjLb0EEEEEvT_jjPNSH_10value_typeET0_PNSt15iterator_traitsISK_E10value_typeEmT1_T2_
		.amdhsa_group_segment_fixed_size 0
		.amdhsa_private_segment_fixed_size 0
		.amdhsa_kernarg_size 312
		.amdhsa_user_sgpr_count 2
		.amdhsa_user_sgpr_dispatch_ptr 0
		.amdhsa_user_sgpr_queue_ptr 0
		.amdhsa_user_sgpr_kernarg_segment_ptr 1
		.amdhsa_user_sgpr_dispatch_id 0
		.amdhsa_user_sgpr_kernarg_preload_length 0
		.amdhsa_user_sgpr_kernarg_preload_offset 0
		.amdhsa_user_sgpr_private_segment_size 0
		.amdhsa_wavefront_size32 1
		.amdhsa_uses_dynamic_stack 0
		.amdhsa_enable_private_segment 0
		.amdhsa_system_sgpr_workgroup_id_x 1
		.amdhsa_system_sgpr_workgroup_id_y 0
		.amdhsa_system_sgpr_workgroup_id_z 0
		.amdhsa_system_sgpr_workgroup_info 0
		.amdhsa_system_vgpr_workitem_id 0
		.amdhsa_next_free_vgpr 10
		.amdhsa_next_free_sgpr 17
		.amdhsa_named_barrier_count 0
		.amdhsa_reserve_vcc 1
		.amdhsa_float_round_mode_32 0
		.amdhsa_float_round_mode_16_64 0
		.amdhsa_float_denorm_mode_32 3
		.amdhsa_float_denorm_mode_16_64 3
		.amdhsa_fp16_overflow 0
		.amdhsa_memory_ordered 1
		.amdhsa_forward_progress 1
		.amdhsa_inst_pref_size 7
		.amdhsa_round_robin_scheduling 0
		.amdhsa_exception_fp_ieee_invalid_op 0
		.amdhsa_exception_fp_denorm_src 0
		.amdhsa_exception_fp_ieee_div_zero 0
		.amdhsa_exception_fp_ieee_overflow 0
		.amdhsa_exception_fp_ieee_underflow 0
		.amdhsa_exception_fp_ieee_inexact 0
		.amdhsa_exception_int_div_zero 0
	.end_amdhsa_kernel
	.section	.text._ZN7rocprim17ROCPRIM_400000_NS6detail30init_device_scan_by_key_kernelINS1_19lookback_scan_stateINS0_5tupleIJibEEELb1ELb1EEEN6thrust23THRUST_200600_302600_NS18transform_iteratorI9which_rowNS8_17counting_iteratorIiNS8_11use_defaultESC_SC_EESC_SC_EEjNS1_16block_id_wrapperIjLb0EEEEEvT_jjPNSH_10value_typeET0_PNSt15iterator_traitsISK_E10value_typeEmT1_T2_,"axG",@progbits,_ZN7rocprim17ROCPRIM_400000_NS6detail30init_device_scan_by_key_kernelINS1_19lookback_scan_stateINS0_5tupleIJibEEELb1ELb1EEEN6thrust23THRUST_200600_302600_NS18transform_iteratorI9which_rowNS8_17counting_iteratorIiNS8_11use_defaultESC_SC_EESC_SC_EEjNS1_16block_id_wrapperIjLb0EEEEEvT_jjPNSH_10value_typeET0_PNSt15iterator_traitsISK_E10value_typeEmT1_T2_,comdat
.Lfunc_end106:
	.size	_ZN7rocprim17ROCPRIM_400000_NS6detail30init_device_scan_by_key_kernelINS1_19lookback_scan_stateINS0_5tupleIJibEEELb1ELb1EEEN6thrust23THRUST_200600_302600_NS18transform_iteratorI9which_rowNS8_17counting_iteratorIiNS8_11use_defaultESC_SC_EESC_SC_EEjNS1_16block_id_wrapperIjLb0EEEEEvT_jjPNSH_10value_typeET0_PNSt15iterator_traitsISK_E10value_typeEmT1_T2_, .Lfunc_end106-_ZN7rocprim17ROCPRIM_400000_NS6detail30init_device_scan_by_key_kernelINS1_19lookback_scan_stateINS0_5tupleIJibEEELb1ELb1EEEN6thrust23THRUST_200600_302600_NS18transform_iteratorI9which_rowNS8_17counting_iteratorIiNS8_11use_defaultESC_SC_EESC_SC_EEjNS1_16block_id_wrapperIjLb0EEEEEvT_jjPNSH_10value_typeET0_PNSt15iterator_traitsISK_E10value_typeEmT1_T2_
                                        ; -- End function
	.set _ZN7rocprim17ROCPRIM_400000_NS6detail30init_device_scan_by_key_kernelINS1_19lookback_scan_stateINS0_5tupleIJibEEELb1ELb1EEEN6thrust23THRUST_200600_302600_NS18transform_iteratorI9which_rowNS8_17counting_iteratorIiNS8_11use_defaultESC_SC_EESC_SC_EEjNS1_16block_id_wrapperIjLb0EEEEEvT_jjPNSH_10value_typeET0_PNSt15iterator_traitsISK_E10value_typeEmT1_T2_.num_vgpr, 10
	.set _ZN7rocprim17ROCPRIM_400000_NS6detail30init_device_scan_by_key_kernelINS1_19lookback_scan_stateINS0_5tupleIJibEEELb1ELb1EEEN6thrust23THRUST_200600_302600_NS18transform_iteratorI9which_rowNS8_17counting_iteratorIiNS8_11use_defaultESC_SC_EESC_SC_EEjNS1_16block_id_wrapperIjLb0EEEEEvT_jjPNSH_10value_typeET0_PNSt15iterator_traitsISK_E10value_typeEmT1_T2_.num_agpr, 0
	.set _ZN7rocprim17ROCPRIM_400000_NS6detail30init_device_scan_by_key_kernelINS1_19lookback_scan_stateINS0_5tupleIJibEEELb1ELb1EEEN6thrust23THRUST_200600_302600_NS18transform_iteratorI9which_rowNS8_17counting_iteratorIiNS8_11use_defaultESC_SC_EESC_SC_EEjNS1_16block_id_wrapperIjLb0EEEEEvT_jjPNSH_10value_typeET0_PNSt15iterator_traitsISK_E10value_typeEmT1_T2_.numbered_sgpr, 17
	.set _ZN7rocprim17ROCPRIM_400000_NS6detail30init_device_scan_by_key_kernelINS1_19lookback_scan_stateINS0_5tupleIJibEEELb1ELb1EEEN6thrust23THRUST_200600_302600_NS18transform_iteratorI9which_rowNS8_17counting_iteratorIiNS8_11use_defaultESC_SC_EESC_SC_EEjNS1_16block_id_wrapperIjLb0EEEEEvT_jjPNSH_10value_typeET0_PNSt15iterator_traitsISK_E10value_typeEmT1_T2_.num_named_barrier, 0
	.set _ZN7rocprim17ROCPRIM_400000_NS6detail30init_device_scan_by_key_kernelINS1_19lookback_scan_stateINS0_5tupleIJibEEELb1ELb1EEEN6thrust23THRUST_200600_302600_NS18transform_iteratorI9which_rowNS8_17counting_iteratorIiNS8_11use_defaultESC_SC_EESC_SC_EEjNS1_16block_id_wrapperIjLb0EEEEEvT_jjPNSH_10value_typeET0_PNSt15iterator_traitsISK_E10value_typeEmT1_T2_.private_seg_size, 0
	.set _ZN7rocprim17ROCPRIM_400000_NS6detail30init_device_scan_by_key_kernelINS1_19lookback_scan_stateINS0_5tupleIJibEEELb1ELb1EEEN6thrust23THRUST_200600_302600_NS18transform_iteratorI9which_rowNS8_17counting_iteratorIiNS8_11use_defaultESC_SC_EESC_SC_EEjNS1_16block_id_wrapperIjLb0EEEEEvT_jjPNSH_10value_typeET0_PNSt15iterator_traitsISK_E10value_typeEmT1_T2_.uses_vcc, 1
	.set _ZN7rocprim17ROCPRIM_400000_NS6detail30init_device_scan_by_key_kernelINS1_19lookback_scan_stateINS0_5tupleIJibEEELb1ELb1EEEN6thrust23THRUST_200600_302600_NS18transform_iteratorI9which_rowNS8_17counting_iteratorIiNS8_11use_defaultESC_SC_EESC_SC_EEjNS1_16block_id_wrapperIjLb0EEEEEvT_jjPNSH_10value_typeET0_PNSt15iterator_traitsISK_E10value_typeEmT1_T2_.uses_flat_scratch, 0
	.set _ZN7rocprim17ROCPRIM_400000_NS6detail30init_device_scan_by_key_kernelINS1_19lookback_scan_stateINS0_5tupleIJibEEELb1ELb1EEEN6thrust23THRUST_200600_302600_NS18transform_iteratorI9which_rowNS8_17counting_iteratorIiNS8_11use_defaultESC_SC_EESC_SC_EEjNS1_16block_id_wrapperIjLb0EEEEEvT_jjPNSH_10value_typeET0_PNSt15iterator_traitsISK_E10value_typeEmT1_T2_.has_dyn_sized_stack, 0
	.set _ZN7rocprim17ROCPRIM_400000_NS6detail30init_device_scan_by_key_kernelINS1_19lookback_scan_stateINS0_5tupleIJibEEELb1ELb1EEEN6thrust23THRUST_200600_302600_NS18transform_iteratorI9which_rowNS8_17counting_iteratorIiNS8_11use_defaultESC_SC_EESC_SC_EEjNS1_16block_id_wrapperIjLb0EEEEEvT_jjPNSH_10value_typeET0_PNSt15iterator_traitsISK_E10value_typeEmT1_T2_.has_recursion, 0
	.set _ZN7rocprim17ROCPRIM_400000_NS6detail30init_device_scan_by_key_kernelINS1_19lookback_scan_stateINS0_5tupleIJibEEELb1ELb1EEEN6thrust23THRUST_200600_302600_NS18transform_iteratorI9which_rowNS8_17counting_iteratorIiNS8_11use_defaultESC_SC_EESC_SC_EEjNS1_16block_id_wrapperIjLb0EEEEEvT_jjPNSH_10value_typeET0_PNSt15iterator_traitsISK_E10value_typeEmT1_T2_.has_indirect_call, 0
	.section	.AMDGPU.csdata,"",@progbits
; Kernel info:
; codeLenInByte = 772
; TotalNumSgprs: 19
; NumVgprs: 10
; ScratchSize: 0
; MemoryBound: 0
; FloatMode: 240
; IeeeMode: 1
; LDSByteSize: 0 bytes/workgroup (compile time only)
; SGPRBlocks: 0
; VGPRBlocks: 0
; NumSGPRsForWavesPerEU: 19
; NumVGPRsForWavesPerEU: 10
; NamedBarCnt: 0
; Occupancy: 16
; WaveLimiterHint : 0
; COMPUTE_PGM_RSRC2:SCRATCH_EN: 0
; COMPUTE_PGM_RSRC2:USER_SGPR: 2
; COMPUTE_PGM_RSRC2:TRAP_HANDLER: 0
; COMPUTE_PGM_RSRC2:TGID_X_EN: 1
; COMPUTE_PGM_RSRC2:TGID_Y_EN: 0
; COMPUTE_PGM_RSRC2:TGID_Z_EN: 0
; COMPUTE_PGM_RSRC2:TIDIG_COMP_CNT: 0
	.section	.text._ZN7rocprim17ROCPRIM_400000_NS6detail30init_device_scan_by_key_kernelINS1_19lookback_scan_stateINS0_5tupleIJibEEELb1ELb1EEENS1_16block_id_wrapperIjLb0EEEEEvT_jjPNS9_10value_typeET0_,"axG",@progbits,_ZN7rocprim17ROCPRIM_400000_NS6detail30init_device_scan_by_key_kernelINS1_19lookback_scan_stateINS0_5tupleIJibEEELb1ELb1EEENS1_16block_id_wrapperIjLb0EEEEEvT_jjPNS9_10value_typeET0_,comdat
	.protected	_ZN7rocprim17ROCPRIM_400000_NS6detail30init_device_scan_by_key_kernelINS1_19lookback_scan_stateINS0_5tupleIJibEEELb1ELb1EEENS1_16block_id_wrapperIjLb0EEEEEvT_jjPNS9_10value_typeET0_ ; -- Begin function _ZN7rocprim17ROCPRIM_400000_NS6detail30init_device_scan_by_key_kernelINS1_19lookback_scan_stateINS0_5tupleIJibEEELb1ELb1EEENS1_16block_id_wrapperIjLb0EEEEEvT_jjPNS9_10value_typeET0_
	.globl	_ZN7rocprim17ROCPRIM_400000_NS6detail30init_device_scan_by_key_kernelINS1_19lookback_scan_stateINS0_5tupleIJibEEELb1ELb1EEENS1_16block_id_wrapperIjLb0EEEEEvT_jjPNS9_10value_typeET0_
	.p2align	8
	.type	_ZN7rocprim17ROCPRIM_400000_NS6detail30init_device_scan_by_key_kernelINS1_19lookback_scan_stateINS0_5tupleIJibEEELb1ELb1EEENS1_16block_id_wrapperIjLb0EEEEEvT_jjPNS9_10value_typeET0_,@function
_ZN7rocprim17ROCPRIM_400000_NS6detail30init_device_scan_by_key_kernelINS1_19lookback_scan_stateINS0_5tupleIJibEEELb1ELb1EEENS1_16block_id_wrapperIjLb0EEEEEvT_jjPNS9_10value_typeET0_: ; @_ZN7rocprim17ROCPRIM_400000_NS6detail30init_device_scan_by_key_kernelINS1_19lookback_scan_stateINS0_5tupleIJibEEELb1ELb1EEENS1_16block_id_wrapperIjLb0EEEEEvT_jjPNS9_10value_typeET0_
; %bb.0:
	s_clause 0x2
	s_load_b32 s8, s[0:1], 0x2c
	s_load_b128 s[4:7], s[0:1], 0x0
	s_load_b64 s[2:3], s[0:1], 0x10
	s_wait_xcnt 0x0
	s_bfe_u32 s0, ttmp6, 0x4000c
	s_and_b32 s1, ttmp6, 15
	s_add_co_i32 s0, s0, 1
	s_getreg_b32 s9, hwreg(HW_REG_IB_STS2, 6, 4)
	s_mul_i32 s0, ttmp9, s0
	s_delay_alu instid0(SALU_CYCLE_1)
	s_add_co_i32 s1, s1, s0
	s_wait_kmcnt 0x0
	s_and_b32 s8, s8, 0xffff
	s_cmp_eq_u32 s9, 0
	s_cselect_b32 s0, ttmp9, s1
	s_cmp_eq_u64 s[2:3], 0
	v_mad_u32 v8, s0, s8, v0
	s_cbranch_scc1 .LBB107_10
; %bb.1:
	s_cmp_lt_u32 s7, s6
	s_mov_b32 s10, exec_lo
	s_cselect_b32 s0, s7, 0
	s_delay_alu instid0(VALU_DEP_1) | instid1(SALU_CYCLE_1)
	v_cmpx_eq_u32_e64 s0, v8
	s_cbranch_execz .LBB107_9
; %bb.2:
	s_add_co_i32 s0, s7, 32
	s_mov_b32 s1, 0
	v_mov_b32_e32 v5, 0
	s_lshl_b64 s[8:9], s[0:1], 4
	s_mov_b32 s0, exec_lo
	s_add_nc_u64 s[8:9], s[4:5], s[8:9]
	s_delay_alu instid0(SALU_CYCLE_1) | instskip(SKIP_2) | instid1(VALU_DEP_1)
	v_mov_b64_e32 v[0:1], s[8:9]
	;;#ASMSTART
	global_load_b128 v[0:3], v[0:1] off scope:SCOPE_DEV	
s_wait_loadcnt 0x0
	;;#ASMEND
	v_and_b32_e32 v4, 0xff, v2
	v_cmpx_eq_u64_e32 0, v[4:5]
	s_cbranch_execz .LBB107_8
; %bb.3:
	v_mov_b64_e32 v[6:7], s[8:9]
	s_mov_b32 s7, 1
.LBB107_4:                              ; =>This Loop Header: Depth=1
                                        ;     Child Loop BB107_5 Depth 2
	s_delay_alu instid0(SALU_CYCLE_1)
	s_mov_b32 s8, s7
.LBB107_5:                              ;   Parent Loop BB107_4 Depth=1
                                        ; =>  This Inner Loop Header: Depth=2
	s_delay_alu instid0(SALU_CYCLE_1)
	s_add_co_i32 s8, s8, -1
	s_sleep 1
	s_cmp_eq_u32 s8, 0
	s_cbranch_scc0 .LBB107_5
; %bb.6:                                ;   in Loop: Header=BB107_4 Depth=1
	;;#ASMSTART
	global_load_b128 v[0:3], v[6:7] off scope:SCOPE_DEV	
s_wait_loadcnt 0x0
	;;#ASMEND
	v_and_b32_e32 v4, 0xff, v2
	s_cmp_lt_u32 s7, 32
	s_cselect_b32 s8, -1, 0
	s_delay_alu instid0(VALU_DEP_1) | instskip(SKIP_3) | instid1(SALU_CYCLE_1)
	v_cmp_ne_u64_e32 vcc_lo, 0, v[4:5]
	s_cmp_lg_u32 s8, 0
	s_add_co_ci_u32 s7, s7, 0
	s_or_b32 s1, vcc_lo, s1
	s_and_not1_b32 exec_lo, exec_lo, s1
	s_cbranch_execnz .LBB107_4
; %bb.7:
	s_or_b32 exec_lo, exec_lo, s1
.LBB107_8:
	s_delay_alu instid0(SALU_CYCLE_1)
	s_or_b32 exec_lo, exec_lo, s0
	v_mov_b32_e32 v2, 0
	s_clause 0x1
	global_store_b32 v2, v0, s[2:3]
	global_store_b8 v2, v1, s[2:3] offset:4
.LBB107_9:
	s_wait_xcnt 0x0
	s_or_b32 exec_lo, exec_lo, s10
.LBB107_10:
	s_delay_alu instid0(SALU_CYCLE_1) | instskip(NEXT) | instid1(VALU_DEP_1)
	s_mov_b32 s0, exec_lo
	v_cmpx_gt_u32_e64 s6, v8
	s_cbranch_execz .LBB107_12
; %bb.11:
	v_dual_mov_b32 v0, 0 :: v_dual_add_nc_u32 v4, 32, v8
	s_delay_alu instid0(VALU_DEP_1)
	v_dual_mov_b32 v1, v0 :: v_dual_mov_b32 v2, v0
	v_mov_b32_e32 v3, v0
	global_store_b128 v4, v[0:3], s[4:5] scale_offset
.LBB107_12:
	s_wait_xcnt 0x0
	s_or_b32 exec_lo, exec_lo, s0
	s_delay_alu instid0(SALU_CYCLE_1)
	s_mov_b32 s0, exec_lo
	v_cmpx_gt_u32_e32 32, v8
	s_cbranch_execz .LBB107_14
; %bb.13:
	v_mov_b32_e32 v0, 0
	s_delay_alu instid0(VALU_DEP_1)
	v_dual_mov_b32 v2, 0xff :: v_dual_mov_b32 v1, v0
	v_mov_b32_e32 v3, v0
	global_store_b128 v8, v[0:3], s[4:5] scale_offset
.LBB107_14:
	s_endpgm
	.section	.rodata,"a",@progbits
	.p2align	6, 0x0
	.amdhsa_kernel _ZN7rocprim17ROCPRIM_400000_NS6detail30init_device_scan_by_key_kernelINS1_19lookback_scan_stateINS0_5tupleIJibEEELb1ELb1EEENS1_16block_id_wrapperIjLb0EEEEEvT_jjPNS9_10value_typeET0_
		.amdhsa_group_segment_fixed_size 0
		.amdhsa_private_segment_fixed_size 0
		.amdhsa_kernarg_size 288
		.amdhsa_user_sgpr_count 2
		.amdhsa_user_sgpr_dispatch_ptr 0
		.amdhsa_user_sgpr_queue_ptr 0
		.amdhsa_user_sgpr_kernarg_segment_ptr 1
		.amdhsa_user_sgpr_dispatch_id 0
		.amdhsa_user_sgpr_kernarg_preload_length 0
		.amdhsa_user_sgpr_kernarg_preload_offset 0
		.amdhsa_user_sgpr_private_segment_size 0
		.amdhsa_wavefront_size32 1
		.amdhsa_uses_dynamic_stack 0
		.amdhsa_enable_private_segment 0
		.amdhsa_system_sgpr_workgroup_id_x 1
		.amdhsa_system_sgpr_workgroup_id_y 0
		.amdhsa_system_sgpr_workgroup_id_z 0
		.amdhsa_system_sgpr_workgroup_info 0
		.amdhsa_system_vgpr_workitem_id 0
		.amdhsa_next_free_vgpr 9
		.amdhsa_next_free_sgpr 11
		.amdhsa_named_barrier_count 0
		.amdhsa_reserve_vcc 1
		.amdhsa_float_round_mode_32 0
		.amdhsa_float_round_mode_16_64 0
		.amdhsa_float_denorm_mode_32 3
		.amdhsa_float_denorm_mode_16_64 3
		.amdhsa_fp16_overflow 0
		.amdhsa_memory_ordered 1
		.amdhsa_forward_progress 1
		.amdhsa_inst_pref_size 4
		.amdhsa_round_robin_scheduling 0
		.amdhsa_exception_fp_ieee_invalid_op 0
		.amdhsa_exception_fp_denorm_src 0
		.amdhsa_exception_fp_ieee_div_zero 0
		.amdhsa_exception_fp_ieee_overflow 0
		.amdhsa_exception_fp_ieee_underflow 0
		.amdhsa_exception_fp_ieee_inexact 0
		.amdhsa_exception_int_div_zero 0
	.end_amdhsa_kernel
	.section	.text._ZN7rocprim17ROCPRIM_400000_NS6detail30init_device_scan_by_key_kernelINS1_19lookback_scan_stateINS0_5tupleIJibEEELb1ELb1EEENS1_16block_id_wrapperIjLb0EEEEEvT_jjPNS9_10value_typeET0_,"axG",@progbits,_ZN7rocprim17ROCPRIM_400000_NS6detail30init_device_scan_by_key_kernelINS1_19lookback_scan_stateINS0_5tupleIJibEEELb1ELb1EEENS1_16block_id_wrapperIjLb0EEEEEvT_jjPNS9_10value_typeET0_,comdat
.Lfunc_end107:
	.size	_ZN7rocprim17ROCPRIM_400000_NS6detail30init_device_scan_by_key_kernelINS1_19lookback_scan_stateINS0_5tupleIJibEEELb1ELb1EEENS1_16block_id_wrapperIjLb0EEEEEvT_jjPNS9_10value_typeET0_, .Lfunc_end107-_ZN7rocprim17ROCPRIM_400000_NS6detail30init_device_scan_by_key_kernelINS1_19lookback_scan_stateINS0_5tupleIJibEEELb1ELb1EEENS1_16block_id_wrapperIjLb0EEEEEvT_jjPNS9_10value_typeET0_
                                        ; -- End function
	.set _ZN7rocprim17ROCPRIM_400000_NS6detail30init_device_scan_by_key_kernelINS1_19lookback_scan_stateINS0_5tupleIJibEEELb1ELb1EEENS1_16block_id_wrapperIjLb0EEEEEvT_jjPNS9_10value_typeET0_.num_vgpr, 9
	.set _ZN7rocprim17ROCPRIM_400000_NS6detail30init_device_scan_by_key_kernelINS1_19lookback_scan_stateINS0_5tupleIJibEEELb1ELb1EEENS1_16block_id_wrapperIjLb0EEEEEvT_jjPNS9_10value_typeET0_.num_agpr, 0
	.set _ZN7rocprim17ROCPRIM_400000_NS6detail30init_device_scan_by_key_kernelINS1_19lookback_scan_stateINS0_5tupleIJibEEELb1ELb1EEENS1_16block_id_wrapperIjLb0EEEEEvT_jjPNS9_10value_typeET0_.numbered_sgpr, 11
	.set _ZN7rocprim17ROCPRIM_400000_NS6detail30init_device_scan_by_key_kernelINS1_19lookback_scan_stateINS0_5tupleIJibEEELb1ELb1EEENS1_16block_id_wrapperIjLb0EEEEEvT_jjPNS9_10value_typeET0_.num_named_barrier, 0
	.set _ZN7rocprim17ROCPRIM_400000_NS6detail30init_device_scan_by_key_kernelINS1_19lookback_scan_stateINS0_5tupleIJibEEELb1ELb1EEENS1_16block_id_wrapperIjLb0EEEEEvT_jjPNS9_10value_typeET0_.private_seg_size, 0
	.set _ZN7rocprim17ROCPRIM_400000_NS6detail30init_device_scan_by_key_kernelINS1_19lookback_scan_stateINS0_5tupleIJibEEELb1ELb1EEENS1_16block_id_wrapperIjLb0EEEEEvT_jjPNS9_10value_typeET0_.uses_vcc, 1
	.set _ZN7rocprim17ROCPRIM_400000_NS6detail30init_device_scan_by_key_kernelINS1_19lookback_scan_stateINS0_5tupleIJibEEELb1ELb1EEENS1_16block_id_wrapperIjLb0EEEEEvT_jjPNS9_10value_typeET0_.uses_flat_scratch, 0
	.set _ZN7rocprim17ROCPRIM_400000_NS6detail30init_device_scan_by_key_kernelINS1_19lookback_scan_stateINS0_5tupleIJibEEELb1ELb1EEENS1_16block_id_wrapperIjLb0EEEEEvT_jjPNS9_10value_typeET0_.has_dyn_sized_stack, 0
	.set _ZN7rocprim17ROCPRIM_400000_NS6detail30init_device_scan_by_key_kernelINS1_19lookback_scan_stateINS0_5tupleIJibEEELb1ELb1EEENS1_16block_id_wrapperIjLb0EEEEEvT_jjPNS9_10value_typeET0_.has_recursion, 0
	.set _ZN7rocprim17ROCPRIM_400000_NS6detail30init_device_scan_by_key_kernelINS1_19lookback_scan_stateINS0_5tupleIJibEEELb1ELb1EEENS1_16block_id_wrapperIjLb0EEEEEvT_jjPNS9_10value_typeET0_.has_indirect_call, 0
	.section	.AMDGPU.csdata,"",@progbits
; Kernel info:
; codeLenInByte = 432
; TotalNumSgprs: 13
; NumVgprs: 9
; ScratchSize: 0
; MemoryBound: 0
; FloatMode: 240
; IeeeMode: 1
; LDSByteSize: 0 bytes/workgroup (compile time only)
; SGPRBlocks: 0
; VGPRBlocks: 0
; NumSGPRsForWavesPerEU: 13
; NumVGPRsForWavesPerEU: 9
; NamedBarCnt: 0
; Occupancy: 16
; WaveLimiterHint : 0
; COMPUTE_PGM_RSRC2:SCRATCH_EN: 0
; COMPUTE_PGM_RSRC2:USER_SGPR: 2
; COMPUTE_PGM_RSRC2:TRAP_HANDLER: 0
; COMPUTE_PGM_RSRC2:TGID_X_EN: 1
; COMPUTE_PGM_RSRC2:TGID_Y_EN: 0
; COMPUTE_PGM_RSRC2:TGID_Z_EN: 0
; COMPUTE_PGM_RSRC2:TIDIG_COMP_CNT: 0
	.section	.text._ZN7rocprim17ROCPRIM_400000_NS6detail17trampoline_kernelINS0_14default_configENS1_27scan_by_key_config_selectorIiiEEZZNS1_16scan_by_key_implILNS1_25lookback_scan_determinismE0ELb0ES3_N6thrust23THRUST_200600_302600_NS18transform_iteratorI9which_rowNS9_17counting_iteratorIiNS9_11use_defaultESD_SD_EESD_SD_EENS9_6detail15normal_iteratorINS9_10device_ptrIiEEEESK_iNS9_4plusIvEENS9_8equal_toIvEEiEE10hipError_tPvRmT2_T3_T4_T5_mT6_T7_P12ihipStream_tbENKUlT_T0_E_clISt17integral_constantIbLb1EES14_IbLb0EEEEDaS10_S11_EUlS10_E_NS1_11comp_targetILNS1_3genE0ELNS1_11target_archE4294967295ELNS1_3gpuE0ELNS1_3repE0EEENS1_30default_config_static_selectorELNS0_4arch9wavefront6targetE0EEEvT1_,"axG",@progbits,_ZN7rocprim17ROCPRIM_400000_NS6detail17trampoline_kernelINS0_14default_configENS1_27scan_by_key_config_selectorIiiEEZZNS1_16scan_by_key_implILNS1_25lookback_scan_determinismE0ELb0ES3_N6thrust23THRUST_200600_302600_NS18transform_iteratorI9which_rowNS9_17counting_iteratorIiNS9_11use_defaultESD_SD_EESD_SD_EENS9_6detail15normal_iteratorINS9_10device_ptrIiEEEESK_iNS9_4plusIvEENS9_8equal_toIvEEiEE10hipError_tPvRmT2_T3_T4_T5_mT6_T7_P12ihipStream_tbENKUlT_T0_E_clISt17integral_constantIbLb1EES14_IbLb0EEEEDaS10_S11_EUlS10_E_NS1_11comp_targetILNS1_3genE0ELNS1_11target_archE4294967295ELNS1_3gpuE0ELNS1_3repE0EEENS1_30default_config_static_selectorELNS0_4arch9wavefront6targetE0EEEvT1_,comdat
	.protected	_ZN7rocprim17ROCPRIM_400000_NS6detail17trampoline_kernelINS0_14default_configENS1_27scan_by_key_config_selectorIiiEEZZNS1_16scan_by_key_implILNS1_25lookback_scan_determinismE0ELb0ES3_N6thrust23THRUST_200600_302600_NS18transform_iteratorI9which_rowNS9_17counting_iteratorIiNS9_11use_defaultESD_SD_EESD_SD_EENS9_6detail15normal_iteratorINS9_10device_ptrIiEEEESK_iNS9_4plusIvEENS9_8equal_toIvEEiEE10hipError_tPvRmT2_T3_T4_T5_mT6_T7_P12ihipStream_tbENKUlT_T0_E_clISt17integral_constantIbLb1EES14_IbLb0EEEEDaS10_S11_EUlS10_E_NS1_11comp_targetILNS1_3genE0ELNS1_11target_archE4294967295ELNS1_3gpuE0ELNS1_3repE0EEENS1_30default_config_static_selectorELNS0_4arch9wavefront6targetE0EEEvT1_ ; -- Begin function _ZN7rocprim17ROCPRIM_400000_NS6detail17trampoline_kernelINS0_14default_configENS1_27scan_by_key_config_selectorIiiEEZZNS1_16scan_by_key_implILNS1_25lookback_scan_determinismE0ELb0ES3_N6thrust23THRUST_200600_302600_NS18transform_iteratorI9which_rowNS9_17counting_iteratorIiNS9_11use_defaultESD_SD_EESD_SD_EENS9_6detail15normal_iteratorINS9_10device_ptrIiEEEESK_iNS9_4plusIvEENS9_8equal_toIvEEiEE10hipError_tPvRmT2_T3_T4_T5_mT6_T7_P12ihipStream_tbENKUlT_T0_E_clISt17integral_constantIbLb1EES14_IbLb0EEEEDaS10_S11_EUlS10_E_NS1_11comp_targetILNS1_3genE0ELNS1_11target_archE4294967295ELNS1_3gpuE0ELNS1_3repE0EEENS1_30default_config_static_selectorELNS0_4arch9wavefront6targetE0EEEvT1_
	.globl	_ZN7rocprim17ROCPRIM_400000_NS6detail17trampoline_kernelINS0_14default_configENS1_27scan_by_key_config_selectorIiiEEZZNS1_16scan_by_key_implILNS1_25lookback_scan_determinismE0ELb0ES3_N6thrust23THRUST_200600_302600_NS18transform_iteratorI9which_rowNS9_17counting_iteratorIiNS9_11use_defaultESD_SD_EESD_SD_EENS9_6detail15normal_iteratorINS9_10device_ptrIiEEEESK_iNS9_4plusIvEENS9_8equal_toIvEEiEE10hipError_tPvRmT2_T3_T4_T5_mT6_T7_P12ihipStream_tbENKUlT_T0_E_clISt17integral_constantIbLb1EES14_IbLb0EEEEDaS10_S11_EUlS10_E_NS1_11comp_targetILNS1_3genE0ELNS1_11target_archE4294967295ELNS1_3gpuE0ELNS1_3repE0EEENS1_30default_config_static_selectorELNS0_4arch9wavefront6targetE0EEEvT1_
	.p2align	8
	.type	_ZN7rocprim17ROCPRIM_400000_NS6detail17trampoline_kernelINS0_14default_configENS1_27scan_by_key_config_selectorIiiEEZZNS1_16scan_by_key_implILNS1_25lookback_scan_determinismE0ELb0ES3_N6thrust23THRUST_200600_302600_NS18transform_iteratorI9which_rowNS9_17counting_iteratorIiNS9_11use_defaultESD_SD_EESD_SD_EENS9_6detail15normal_iteratorINS9_10device_ptrIiEEEESK_iNS9_4plusIvEENS9_8equal_toIvEEiEE10hipError_tPvRmT2_T3_T4_T5_mT6_T7_P12ihipStream_tbENKUlT_T0_E_clISt17integral_constantIbLb1EES14_IbLb0EEEEDaS10_S11_EUlS10_E_NS1_11comp_targetILNS1_3genE0ELNS1_11target_archE4294967295ELNS1_3gpuE0ELNS1_3repE0EEENS1_30default_config_static_selectorELNS0_4arch9wavefront6targetE0EEEvT1_,@function
_ZN7rocprim17ROCPRIM_400000_NS6detail17trampoline_kernelINS0_14default_configENS1_27scan_by_key_config_selectorIiiEEZZNS1_16scan_by_key_implILNS1_25lookback_scan_determinismE0ELb0ES3_N6thrust23THRUST_200600_302600_NS18transform_iteratorI9which_rowNS9_17counting_iteratorIiNS9_11use_defaultESD_SD_EESD_SD_EENS9_6detail15normal_iteratorINS9_10device_ptrIiEEEESK_iNS9_4plusIvEENS9_8equal_toIvEEiEE10hipError_tPvRmT2_T3_T4_T5_mT6_T7_P12ihipStream_tbENKUlT_T0_E_clISt17integral_constantIbLb1EES14_IbLb0EEEEDaS10_S11_EUlS10_E_NS1_11comp_targetILNS1_3genE0ELNS1_11target_archE4294967295ELNS1_3gpuE0ELNS1_3repE0EEENS1_30default_config_static_selectorELNS0_4arch9wavefront6targetE0EEEvT1_: ; @_ZN7rocprim17ROCPRIM_400000_NS6detail17trampoline_kernelINS0_14default_configENS1_27scan_by_key_config_selectorIiiEEZZNS1_16scan_by_key_implILNS1_25lookback_scan_determinismE0ELb0ES3_N6thrust23THRUST_200600_302600_NS18transform_iteratorI9which_rowNS9_17counting_iteratorIiNS9_11use_defaultESD_SD_EESD_SD_EENS9_6detail15normal_iteratorINS9_10device_ptrIiEEEESK_iNS9_4plusIvEENS9_8equal_toIvEEiEE10hipError_tPvRmT2_T3_T4_T5_mT6_T7_P12ihipStream_tbENKUlT_T0_E_clISt17integral_constantIbLb1EES14_IbLb0EEEEDaS10_S11_EUlS10_E_NS1_11comp_targetILNS1_3genE0ELNS1_11target_archE4294967295ELNS1_3gpuE0ELNS1_3repE0EEENS1_30default_config_static_selectorELNS0_4arch9wavefront6targetE0EEEvT1_
; %bb.0:
	s_endpgm
	.section	.rodata,"a",@progbits
	.p2align	6, 0x0
	.amdhsa_kernel _ZN7rocprim17ROCPRIM_400000_NS6detail17trampoline_kernelINS0_14default_configENS1_27scan_by_key_config_selectorIiiEEZZNS1_16scan_by_key_implILNS1_25lookback_scan_determinismE0ELb0ES3_N6thrust23THRUST_200600_302600_NS18transform_iteratorI9which_rowNS9_17counting_iteratorIiNS9_11use_defaultESD_SD_EESD_SD_EENS9_6detail15normal_iteratorINS9_10device_ptrIiEEEESK_iNS9_4plusIvEENS9_8equal_toIvEEiEE10hipError_tPvRmT2_T3_T4_T5_mT6_T7_P12ihipStream_tbENKUlT_T0_E_clISt17integral_constantIbLb1EES14_IbLb0EEEEDaS10_S11_EUlS10_E_NS1_11comp_targetILNS1_3genE0ELNS1_11target_archE4294967295ELNS1_3gpuE0ELNS1_3repE0EEENS1_30default_config_static_selectorELNS0_4arch9wavefront6targetE0EEEvT1_
		.amdhsa_group_segment_fixed_size 0
		.amdhsa_private_segment_fixed_size 0
		.amdhsa_kernarg_size 112
		.amdhsa_user_sgpr_count 2
		.amdhsa_user_sgpr_dispatch_ptr 0
		.amdhsa_user_sgpr_queue_ptr 0
		.amdhsa_user_sgpr_kernarg_segment_ptr 1
		.amdhsa_user_sgpr_dispatch_id 0
		.amdhsa_user_sgpr_kernarg_preload_length 0
		.amdhsa_user_sgpr_kernarg_preload_offset 0
		.amdhsa_user_sgpr_private_segment_size 0
		.amdhsa_wavefront_size32 1
		.amdhsa_uses_dynamic_stack 0
		.amdhsa_enable_private_segment 0
		.amdhsa_system_sgpr_workgroup_id_x 1
		.amdhsa_system_sgpr_workgroup_id_y 0
		.amdhsa_system_sgpr_workgroup_id_z 0
		.amdhsa_system_sgpr_workgroup_info 0
		.amdhsa_system_vgpr_workitem_id 0
		.amdhsa_next_free_vgpr 1
		.amdhsa_next_free_sgpr 1
		.amdhsa_named_barrier_count 0
		.amdhsa_reserve_vcc 0
		.amdhsa_float_round_mode_32 0
		.amdhsa_float_round_mode_16_64 0
		.amdhsa_float_denorm_mode_32 3
		.amdhsa_float_denorm_mode_16_64 3
		.amdhsa_fp16_overflow 0
		.amdhsa_memory_ordered 1
		.amdhsa_forward_progress 1
		.amdhsa_inst_pref_size 1
		.amdhsa_round_robin_scheduling 0
		.amdhsa_exception_fp_ieee_invalid_op 0
		.amdhsa_exception_fp_denorm_src 0
		.amdhsa_exception_fp_ieee_div_zero 0
		.amdhsa_exception_fp_ieee_overflow 0
		.amdhsa_exception_fp_ieee_underflow 0
		.amdhsa_exception_fp_ieee_inexact 0
		.amdhsa_exception_int_div_zero 0
	.end_amdhsa_kernel
	.section	.text._ZN7rocprim17ROCPRIM_400000_NS6detail17trampoline_kernelINS0_14default_configENS1_27scan_by_key_config_selectorIiiEEZZNS1_16scan_by_key_implILNS1_25lookback_scan_determinismE0ELb0ES3_N6thrust23THRUST_200600_302600_NS18transform_iteratorI9which_rowNS9_17counting_iteratorIiNS9_11use_defaultESD_SD_EESD_SD_EENS9_6detail15normal_iteratorINS9_10device_ptrIiEEEESK_iNS9_4plusIvEENS9_8equal_toIvEEiEE10hipError_tPvRmT2_T3_T4_T5_mT6_T7_P12ihipStream_tbENKUlT_T0_E_clISt17integral_constantIbLb1EES14_IbLb0EEEEDaS10_S11_EUlS10_E_NS1_11comp_targetILNS1_3genE0ELNS1_11target_archE4294967295ELNS1_3gpuE0ELNS1_3repE0EEENS1_30default_config_static_selectorELNS0_4arch9wavefront6targetE0EEEvT1_,"axG",@progbits,_ZN7rocprim17ROCPRIM_400000_NS6detail17trampoline_kernelINS0_14default_configENS1_27scan_by_key_config_selectorIiiEEZZNS1_16scan_by_key_implILNS1_25lookback_scan_determinismE0ELb0ES3_N6thrust23THRUST_200600_302600_NS18transform_iteratorI9which_rowNS9_17counting_iteratorIiNS9_11use_defaultESD_SD_EESD_SD_EENS9_6detail15normal_iteratorINS9_10device_ptrIiEEEESK_iNS9_4plusIvEENS9_8equal_toIvEEiEE10hipError_tPvRmT2_T3_T4_T5_mT6_T7_P12ihipStream_tbENKUlT_T0_E_clISt17integral_constantIbLb1EES14_IbLb0EEEEDaS10_S11_EUlS10_E_NS1_11comp_targetILNS1_3genE0ELNS1_11target_archE4294967295ELNS1_3gpuE0ELNS1_3repE0EEENS1_30default_config_static_selectorELNS0_4arch9wavefront6targetE0EEEvT1_,comdat
.Lfunc_end108:
	.size	_ZN7rocprim17ROCPRIM_400000_NS6detail17trampoline_kernelINS0_14default_configENS1_27scan_by_key_config_selectorIiiEEZZNS1_16scan_by_key_implILNS1_25lookback_scan_determinismE0ELb0ES3_N6thrust23THRUST_200600_302600_NS18transform_iteratorI9which_rowNS9_17counting_iteratorIiNS9_11use_defaultESD_SD_EESD_SD_EENS9_6detail15normal_iteratorINS9_10device_ptrIiEEEESK_iNS9_4plusIvEENS9_8equal_toIvEEiEE10hipError_tPvRmT2_T3_T4_T5_mT6_T7_P12ihipStream_tbENKUlT_T0_E_clISt17integral_constantIbLb1EES14_IbLb0EEEEDaS10_S11_EUlS10_E_NS1_11comp_targetILNS1_3genE0ELNS1_11target_archE4294967295ELNS1_3gpuE0ELNS1_3repE0EEENS1_30default_config_static_selectorELNS0_4arch9wavefront6targetE0EEEvT1_, .Lfunc_end108-_ZN7rocprim17ROCPRIM_400000_NS6detail17trampoline_kernelINS0_14default_configENS1_27scan_by_key_config_selectorIiiEEZZNS1_16scan_by_key_implILNS1_25lookback_scan_determinismE0ELb0ES3_N6thrust23THRUST_200600_302600_NS18transform_iteratorI9which_rowNS9_17counting_iteratorIiNS9_11use_defaultESD_SD_EESD_SD_EENS9_6detail15normal_iteratorINS9_10device_ptrIiEEEESK_iNS9_4plusIvEENS9_8equal_toIvEEiEE10hipError_tPvRmT2_T3_T4_T5_mT6_T7_P12ihipStream_tbENKUlT_T0_E_clISt17integral_constantIbLb1EES14_IbLb0EEEEDaS10_S11_EUlS10_E_NS1_11comp_targetILNS1_3genE0ELNS1_11target_archE4294967295ELNS1_3gpuE0ELNS1_3repE0EEENS1_30default_config_static_selectorELNS0_4arch9wavefront6targetE0EEEvT1_
                                        ; -- End function
	.set _ZN7rocprim17ROCPRIM_400000_NS6detail17trampoline_kernelINS0_14default_configENS1_27scan_by_key_config_selectorIiiEEZZNS1_16scan_by_key_implILNS1_25lookback_scan_determinismE0ELb0ES3_N6thrust23THRUST_200600_302600_NS18transform_iteratorI9which_rowNS9_17counting_iteratorIiNS9_11use_defaultESD_SD_EESD_SD_EENS9_6detail15normal_iteratorINS9_10device_ptrIiEEEESK_iNS9_4plusIvEENS9_8equal_toIvEEiEE10hipError_tPvRmT2_T3_T4_T5_mT6_T7_P12ihipStream_tbENKUlT_T0_E_clISt17integral_constantIbLb1EES14_IbLb0EEEEDaS10_S11_EUlS10_E_NS1_11comp_targetILNS1_3genE0ELNS1_11target_archE4294967295ELNS1_3gpuE0ELNS1_3repE0EEENS1_30default_config_static_selectorELNS0_4arch9wavefront6targetE0EEEvT1_.num_vgpr, 0
	.set _ZN7rocprim17ROCPRIM_400000_NS6detail17trampoline_kernelINS0_14default_configENS1_27scan_by_key_config_selectorIiiEEZZNS1_16scan_by_key_implILNS1_25lookback_scan_determinismE0ELb0ES3_N6thrust23THRUST_200600_302600_NS18transform_iteratorI9which_rowNS9_17counting_iteratorIiNS9_11use_defaultESD_SD_EESD_SD_EENS9_6detail15normal_iteratorINS9_10device_ptrIiEEEESK_iNS9_4plusIvEENS9_8equal_toIvEEiEE10hipError_tPvRmT2_T3_T4_T5_mT6_T7_P12ihipStream_tbENKUlT_T0_E_clISt17integral_constantIbLb1EES14_IbLb0EEEEDaS10_S11_EUlS10_E_NS1_11comp_targetILNS1_3genE0ELNS1_11target_archE4294967295ELNS1_3gpuE0ELNS1_3repE0EEENS1_30default_config_static_selectorELNS0_4arch9wavefront6targetE0EEEvT1_.num_agpr, 0
	.set _ZN7rocprim17ROCPRIM_400000_NS6detail17trampoline_kernelINS0_14default_configENS1_27scan_by_key_config_selectorIiiEEZZNS1_16scan_by_key_implILNS1_25lookback_scan_determinismE0ELb0ES3_N6thrust23THRUST_200600_302600_NS18transform_iteratorI9which_rowNS9_17counting_iteratorIiNS9_11use_defaultESD_SD_EESD_SD_EENS9_6detail15normal_iteratorINS9_10device_ptrIiEEEESK_iNS9_4plusIvEENS9_8equal_toIvEEiEE10hipError_tPvRmT2_T3_T4_T5_mT6_T7_P12ihipStream_tbENKUlT_T0_E_clISt17integral_constantIbLb1EES14_IbLb0EEEEDaS10_S11_EUlS10_E_NS1_11comp_targetILNS1_3genE0ELNS1_11target_archE4294967295ELNS1_3gpuE0ELNS1_3repE0EEENS1_30default_config_static_selectorELNS0_4arch9wavefront6targetE0EEEvT1_.numbered_sgpr, 0
	.set _ZN7rocprim17ROCPRIM_400000_NS6detail17trampoline_kernelINS0_14default_configENS1_27scan_by_key_config_selectorIiiEEZZNS1_16scan_by_key_implILNS1_25lookback_scan_determinismE0ELb0ES3_N6thrust23THRUST_200600_302600_NS18transform_iteratorI9which_rowNS9_17counting_iteratorIiNS9_11use_defaultESD_SD_EESD_SD_EENS9_6detail15normal_iteratorINS9_10device_ptrIiEEEESK_iNS9_4plusIvEENS9_8equal_toIvEEiEE10hipError_tPvRmT2_T3_T4_T5_mT6_T7_P12ihipStream_tbENKUlT_T0_E_clISt17integral_constantIbLb1EES14_IbLb0EEEEDaS10_S11_EUlS10_E_NS1_11comp_targetILNS1_3genE0ELNS1_11target_archE4294967295ELNS1_3gpuE0ELNS1_3repE0EEENS1_30default_config_static_selectorELNS0_4arch9wavefront6targetE0EEEvT1_.num_named_barrier, 0
	.set _ZN7rocprim17ROCPRIM_400000_NS6detail17trampoline_kernelINS0_14default_configENS1_27scan_by_key_config_selectorIiiEEZZNS1_16scan_by_key_implILNS1_25lookback_scan_determinismE0ELb0ES3_N6thrust23THRUST_200600_302600_NS18transform_iteratorI9which_rowNS9_17counting_iteratorIiNS9_11use_defaultESD_SD_EESD_SD_EENS9_6detail15normal_iteratorINS9_10device_ptrIiEEEESK_iNS9_4plusIvEENS9_8equal_toIvEEiEE10hipError_tPvRmT2_T3_T4_T5_mT6_T7_P12ihipStream_tbENKUlT_T0_E_clISt17integral_constantIbLb1EES14_IbLb0EEEEDaS10_S11_EUlS10_E_NS1_11comp_targetILNS1_3genE0ELNS1_11target_archE4294967295ELNS1_3gpuE0ELNS1_3repE0EEENS1_30default_config_static_selectorELNS0_4arch9wavefront6targetE0EEEvT1_.private_seg_size, 0
	.set _ZN7rocprim17ROCPRIM_400000_NS6detail17trampoline_kernelINS0_14default_configENS1_27scan_by_key_config_selectorIiiEEZZNS1_16scan_by_key_implILNS1_25lookback_scan_determinismE0ELb0ES3_N6thrust23THRUST_200600_302600_NS18transform_iteratorI9which_rowNS9_17counting_iteratorIiNS9_11use_defaultESD_SD_EESD_SD_EENS9_6detail15normal_iteratorINS9_10device_ptrIiEEEESK_iNS9_4plusIvEENS9_8equal_toIvEEiEE10hipError_tPvRmT2_T3_T4_T5_mT6_T7_P12ihipStream_tbENKUlT_T0_E_clISt17integral_constantIbLb1EES14_IbLb0EEEEDaS10_S11_EUlS10_E_NS1_11comp_targetILNS1_3genE0ELNS1_11target_archE4294967295ELNS1_3gpuE0ELNS1_3repE0EEENS1_30default_config_static_selectorELNS0_4arch9wavefront6targetE0EEEvT1_.uses_vcc, 0
	.set _ZN7rocprim17ROCPRIM_400000_NS6detail17trampoline_kernelINS0_14default_configENS1_27scan_by_key_config_selectorIiiEEZZNS1_16scan_by_key_implILNS1_25lookback_scan_determinismE0ELb0ES3_N6thrust23THRUST_200600_302600_NS18transform_iteratorI9which_rowNS9_17counting_iteratorIiNS9_11use_defaultESD_SD_EESD_SD_EENS9_6detail15normal_iteratorINS9_10device_ptrIiEEEESK_iNS9_4plusIvEENS9_8equal_toIvEEiEE10hipError_tPvRmT2_T3_T4_T5_mT6_T7_P12ihipStream_tbENKUlT_T0_E_clISt17integral_constantIbLb1EES14_IbLb0EEEEDaS10_S11_EUlS10_E_NS1_11comp_targetILNS1_3genE0ELNS1_11target_archE4294967295ELNS1_3gpuE0ELNS1_3repE0EEENS1_30default_config_static_selectorELNS0_4arch9wavefront6targetE0EEEvT1_.uses_flat_scratch, 0
	.set _ZN7rocprim17ROCPRIM_400000_NS6detail17trampoline_kernelINS0_14default_configENS1_27scan_by_key_config_selectorIiiEEZZNS1_16scan_by_key_implILNS1_25lookback_scan_determinismE0ELb0ES3_N6thrust23THRUST_200600_302600_NS18transform_iteratorI9which_rowNS9_17counting_iteratorIiNS9_11use_defaultESD_SD_EESD_SD_EENS9_6detail15normal_iteratorINS9_10device_ptrIiEEEESK_iNS9_4plusIvEENS9_8equal_toIvEEiEE10hipError_tPvRmT2_T3_T4_T5_mT6_T7_P12ihipStream_tbENKUlT_T0_E_clISt17integral_constantIbLb1EES14_IbLb0EEEEDaS10_S11_EUlS10_E_NS1_11comp_targetILNS1_3genE0ELNS1_11target_archE4294967295ELNS1_3gpuE0ELNS1_3repE0EEENS1_30default_config_static_selectorELNS0_4arch9wavefront6targetE0EEEvT1_.has_dyn_sized_stack, 0
	.set _ZN7rocprim17ROCPRIM_400000_NS6detail17trampoline_kernelINS0_14default_configENS1_27scan_by_key_config_selectorIiiEEZZNS1_16scan_by_key_implILNS1_25lookback_scan_determinismE0ELb0ES3_N6thrust23THRUST_200600_302600_NS18transform_iteratorI9which_rowNS9_17counting_iteratorIiNS9_11use_defaultESD_SD_EESD_SD_EENS9_6detail15normal_iteratorINS9_10device_ptrIiEEEESK_iNS9_4plusIvEENS9_8equal_toIvEEiEE10hipError_tPvRmT2_T3_T4_T5_mT6_T7_P12ihipStream_tbENKUlT_T0_E_clISt17integral_constantIbLb1EES14_IbLb0EEEEDaS10_S11_EUlS10_E_NS1_11comp_targetILNS1_3genE0ELNS1_11target_archE4294967295ELNS1_3gpuE0ELNS1_3repE0EEENS1_30default_config_static_selectorELNS0_4arch9wavefront6targetE0EEEvT1_.has_recursion, 0
	.set _ZN7rocprim17ROCPRIM_400000_NS6detail17trampoline_kernelINS0_14default_configENS1_27scan_by_key_config_selectorIiiEEZZNS1_16scan_by_key_implILNS1_25lookback_scan_determinismE0ELb0ES3_N6thrust23THRUST_200600_302600_NS18transform_iteratorI9which_rowNS9_17counting_iteratorIiNS9_11use_defaultESD_SD_EESD_SD_EENS9_6detail15normal_iteratorINS9_10device_ptrIiEEEESK_iNS9_4plusIvEENS9_8equal_toIvEEiEE10hipError_tPvRmT2_T3_T4_T5_mT6_T7_P12ihipStream_tbENKUlT_T0_E_clISt17integral_constantIbLb1EES14_IbLb0EEEEDaS10_S11_EUlS10_E_NS1_11comp_targetILNS1_3genE0ELNS1_11target_archE4294967295ELNS1_3gpuE0ELNS1_3repE0EEENS1_30default_config_static_selectorELNS0_4arch9wavefront6targetE0EEEvT1_.has_indirect_call, 0
	.section	.AMDGPU.csdata,"",@progbits
; Kernel info:
; codeLenInByte = 4
; TotalNumSgprs: 0
; NumVgprs: 0
; ScratchSize: 0
; MemoryBound: 0
; FloatMode: 240
; IeeeMode: 1
; LDSByteSize: 0 bytes/workgroup (compile time only)
; SGPRBlocks: 0
; VGPRBlocks: 0
; NumSGPRsForWavesPerEU: 1
; NumVGPRsForWavesPerEU: 1
; NamedBarCnt: 0
; Occupancy: 16
; WaveLimiterHint : 0
; COMPUTE_PGM_RSRC2:SCRATCH_EN: 0
; COMPUTE_PGM_RSRC2:USER_SGPR: 2
; COMPUTE_PGM_RSRC2:TRAP_HANDLER: 0
; COMPUTE_PGM_RSRC2:TGID_X_EN: 1
; COMPUTE_PGM_RSRC2:TGID_Y_EN: 0
; COMPUTE_PGM_RSRC2:TGID_Z_EN: 0
; COMPUTE_PGM_RSRC2:TIDIG_COMP_CNT: 0
	.section	.text._ZN7rocprim17ROCPRIM_400000_NS6detail17trampoline_kernelINS0_14default_configENS1_27scan_by_key_config_selectorIiiEEZZNS1_16scan_by_key_implILNS1_25lookback_scan_determinismE0ELb0ES3_N6thrust23THRUST_200600_302600_NS18transform_iteratorI9which_rowNS9_17counting_iteratorIiNS9_11use_defaultESD_SD_EESD_SD_EENS9_6detail15normal_iteratorINS9_10device_ptrIiEEEESK_iNS9_4plusIvEENS9_8equal_toIvEEiEE10hipError_tPvRmT2_T3_T4_T5_mT6_T7_P12ihipStream_tbENKUlT_T0_E_clISt17integral_constantIbLb1EES14_IbLb0EEEEDaS10_S11_EUlS10_E_NS1_11comp_targetILNS1_3genE10ELNS1_11target_archE1201ELNS1_3gpuE5ELNS1_3repE0EEENS1_30default_config_static_selectorELNS0_4arch9wavefront6targetE0EEEvT1_,"axG",@progbits,_ZN7rocprim17ROCPRIM_400000_NS6detail17trampoline_kernelINS0_14default_configENS1_27scan_by_key_config_selectorIiiEEZZNS1_16scan_by_key_implILNS1_25lookback_scan_determinismE0ELb0ES3_N6thrust23THRUST_200600_302600_NS18transform_iteratorI9which_rowNS9_17counting_iteratorIiNS9_11use_defaultESD_SD_EESD_SD_EENS9_6detail15normal_iteratorINS9_10device_ptrIiEEEESK_iNS9_4plusIvEENS9_8equal_toIvEEiEE10hipError_tPvRmT2_T3_T4_T5_mT6_T7_P12ihipStream_tbENKUlT_T0_E_clISt17integral_constantIbLb1EES14_IbLb0EEEEDaS10_S11_EUlS10_E_NS1_11comp_targetILNS1_3genE10ELNS1_11target_archE1201ELNS1_3gpuE5ELNS1_3repE0EEENS1_30default_config_static_selectorELNS0_4arch9wavefront6targetE0EEEvT1_,comdat
	.protected	_ZN7rocprim17ROCPRIM_400000_NS6detail17trampoline_kernelINS0_14default_configENS1_27scan_by_key_config_selectorIiiEEZZNS1_16scan_by_key_implILNS1_25lookback_scan_determinismE0ELb0ES3_N6thrust23THRUST_200600_302600_NS18transform_iteratorI9which_rowNS9_17counting_iteratorIiNS9_11use_defaultESD_SD_EESD_SD_EENS9_6detail15normal_iteratorINS9_10device_ptrIiEEEESK_iNS9_4plusIvEENS9_8equal_toIvEEiEE10hipError_tPvRmT2_T3_T4_T5_mT6_T7_P12ihipStream_tbENKUlT_T0_E_clISt17integral_constantIbLb1EES14_IbLb0EEEEDaS10_S11_EUlS10_E_NS1_11comp_targetILNS1_3genE10ELNS1_11target_archE1201ELNS1_3gpuE5ELNS1_3repE0EEENS1_30default_config_static_selectorELNS0_4arch9wavefront6targetE0EEEvT1_ ; -- Begin function _ZN7rocprim17ROCPRIM_400000_NS6detail17trampoline_kernelINS0_14default_configENS1_27scan_by_key_config_selectorIiiEEZZNS1_16scan_by_key_implILNS1_25lookback_scan_determinismE0ELb0ES3_N6thrust23THRUST_200600_302600_NS18transform_iteratorI9which_rowNS9_17counting_iteratorIiNS9_11use_defaultESD_SD_EESD_SD_EENS9_6detail15normal_iteratorINS9_10device_ptrIiEEEESK_iNS9_4plusIvEENS9_8equal_toIvEEiEE10hipError_tPvRmT2_T3_T4_T5_mT6_T7_P12ihipStream_tbENKUlT_T0_E_clISt17integral_constantIbLb1EES14_IbLb0EEEEDaS10_S11_EUlS10_E_NS1_11comp_targetILNS1_3genE10ELNS1_11target_archE1201ELNS1_3gpuE5ELNS1_3repE0EEENS1_30default_config_static_selectorELNS0_4arch9wavefront6targetE0EEEvT1_
	.globl	_ZN7rocprim17ROCPRIM_400000_NS6detail17trampoline_kernelINS0_14default_configENS1_27scan_by_key_config_selectorIiiEEZZNS1_16scan_by_key_implILNS1_25lookback_scan_determinismE0ELb0ES3_N6thrust23THRUST_200600_302600_NS18transform_iteratorI9which_rowNS9_17counting_iteratorIiNS9_11use_defaultESD_SD_EESD_SD_EENS9_6detail15normal_iteratorINS9_10device_ptrIiEEEESK_iNS9_4plusIvEENS9_8equal_toIvEEiEE10hipError_tPvRmT2_T3_T4_T5_mT6_T7_P12ihipStream_tbENKUlT_T0_E_clISt17integral_constantIbLb1EES14_IbLb0EEEEDaS10_S11_EUlS10_E_NS1_11comp_targetILNS1_3genE10ELNS1_11target_archE1201ELNS1_3gpuE5ELNS1_3repE0EEENS1_30default_config_static_selectorELNS0_4arch9wavefront6targetE0EEEvT1_
	.p2align	8
	.type	_ZN7rocprim17ROCPRIM_400000_NS6detail17trampoline_kernelINS0_14default_configENS1_27scan_by_key_config_selectorIiiEEZZNS1_16scan_by_key_implILNS1_25lookback_scan_determinismE0ELb0ES3_N6thrust23THRUST_200600_302600_NS18transform_iteratorI9which_rowNS9_17counting_iteratorIiNS9_11use_defaultESD_SD_EESD_SD_EENS9_6detail15normal_iteratorINS9_10device_ptrIiEEEESK_iNS9_4plusIvEENS9_8equal_toIvEEiEE10hipError_tPvRmT2_T3_T4_T5_mT6_T7_P12ihipStream_tbENKUlT_T0_E_clISt17integral_constantIbLb1EES14_IbLb0EEEEDaS10_S11_EUlS10_E_NS1_11comp_targetILNS1_3genE10ELNS1_11target_archE1201ELNS1_3gpuE5ELNS1_3repE0EEENS1_30default_config_static_selectorELNS0_4arch9wavefront6targetE0EEEvT1_,@function
_ZN7rocprim17ROCPRIM_400000_NS6detail17trampoline_kernelINS0_14default_configENS1_27scan_by_key_config_selectorIiiEEZZNS1_16scan_by_key_implILNS1_25lookback_scan_determinismE0ELb0ES3_N6thrust23THRUST_200600_302600_NS18transform_iteratorI9which_rowNS9_17counting_iteratorIiNS9_11use_defaultESD_SD_EESD_SD_EENS9_6detail15normal_iteratorINS9_10device_ptrIiEEEESK_iNS9_4plusIvEENS9_8equal_toIvEEiEE10hipError_tPvRmT2_T3_T4_T5_mT6_T7_P12ihipStream_tbENKUlT_T0_E_clISt17integral_constantIbLb1EES14_IbLb0EEEEDaS10_S11_EUlS10_E_NS1_11comp_targetILNS1_3genE10ELNS1_11target_archE1201ELNS1_3gpuE5ELNS1_3repE0EEENS1_30default_config_static_selectorELNS0_4arch9wavefront6targetE0EEEvT1_: ; @_ZN7rocprim17ROCPRIM_400000_NS6detail17trampoline_kernelINS0_14default_configENS1_27scan_by_key_config_selectorIiiEEZZNS1_16scan_by_key_implILNS1_25lookback_scan_determinismE0ELb0ES3_N6thrust23THRUST_200600_302600_NS18transform_iteratorI9which_rowNS9_17counting_iteratorIiNS9_11use_defaultESD_SD_EESD_SD_EENS9_6detail15normal_iteratorINS9_10device_ptrIiEEEESK_iNS9_4plusIvEENS9_8equal_toIvEEiEE10hipError_tPvRmT2_T3_T4_T5_mT6_T7_P12ihipStream_tbENKUlT_T0_E_clISt17integral_constantIbLb1EES14_IbLb0EEEEDaS10_S11_EUlS10_E_NS1_11comp_targetILNS1_3genE10ELNS1_11target_archE1201ELNS1_3gpuE5ELNS1_3repE0EEENS1_30default_config_static_selectorELNS0_4arch9wavefront6targetE0EEEvT1_
; %bb.0:
	.section	.rodata,"a",@progbits
	.p2align	6, 0x0
	.amdhsa_kernel _ZN7rocprim17ROCPRIM_400000_NS6detail17trampoline_kernelINS0_14default_configENS1_27scan_by_key_config_selectorIiiEEZZNS1_16scan_by_key_implILNS1_25lookback_scan_determinismE0ELb0ES3_N6thrust23THRUST_200600_302600_NS18transform_iteratorI9which_rowNS9_17counting_iteratorIiNS9_11use_defaultESD_SD_EESD_SD_EENS9_6detail15normal_iteratorINS9_10device_ptrIiEEEESK_iNS9_4plusIvEENS9_8equal_toIvEEiEE10hipError_tPvRmT2_T3_T4_T5_mT6_T7_P12ihipStream_tbENKUlT_T0_E_clISt17integral_constantIbLb1EES14_IbLb0EEEEDaS10_S11_EUlS10_E_NS1_11comp_targetILNS1_3genE10ELNS1_11target_archE1201ELNS1_3gpuE5ELNS1_3repE0EEENS1_30default_config_static_selectorELNS0_4arch9wavefront6targetE0EEEvT1_
		.amdhsa_group_segment_fixed_size 0
		.amdhsa_private_segment_fixed_size 0
		.amdhsa_kernarg_size 112
		.amdhsa_user_sgpr_count 2
		.amdhsa_user_sgpr_dispatch_ptr 0
		.amdhsa_user_sgpr_queue_ptr 0
		.amdhsa_user_sgpr_kernarg_segment_ptr 1
		.amdhsa_user_sgpr_dispatch_id 0
		.amdhsa_user_sgpr_kernarg_preload_length 0
		.amdhsa_user_sgpr_kernarg_preload_offset 0
		.amdhsa_user_sgpr_private_segment_size 0
		.amdhsa_wavefront_size32 1
		.amdhsa_uses_dynamic_stack 0
		.amdhsa_enable_private_segment 0
		.amdhsa_system_sgpr_workgroup_id_x 1
		.amdhsa_system_sgpr_workgroup_id_y 0
		.amdhsa_system_sgpr_workgroup_id_z 0
		.amdhsa_system_sgpr_workgroup_info 0
		.amdhsa_system_vgpr_workitem_id 0
		.amdhsa_next_free_vgpr 1
		.amdhsa_next_free_sgpr 1
		.amdhsa_named_barrier_count 0
		.amdhsa_reserve_vcc 0
		.amdhsa_float_round_mode_32 0
		.amdhsa_float_round_mode_16_64 0
		.amdhsa_float_denorm_mode_32 3
		.amdhsa_float_denorm_mode_16_64 3
		.amdhsa_fp16_overflow 0
		.amdhsa_memory_ordered 1
		.amdhsa_forward_progress 1
		.amdhsa_inst_pref_size 0
		.amdhsa_round_robin_scheduling 0
		.amdhsa_exception_fp_ieee_invalid_op 0
		.amdhsa_exception_fp_denorm_src 0
		.amdhsa_exception_fp_ieee_div_zero 0
		.amdhsa_exception_fp_ieee_overflow 0
		.amdhsa_exception_fp_ieee_underflow 0
		.amdhsa_exception_fp_ieee_inexact 0
		.amdhsa_exception_int_div_zero 0
	.end_amdhsa_kernel
	.section	.text._ZN7rocprim17ROCPRIM_400000_NS6detail17trampoline_kernelINS0_14default_configENS1_27scan_by_key_config_selectorIiiEEZZNS1_16scan_by_key_implILNS1_25lookback_scan_determinismE0ELb0ES3_N6thrust23THRUST_200600_302600_NS18transform_iteratorI9which_rowNS9_17counting_iteratorIiNS9_11use_defaultESD_SD_EESD_SD_EENS9_6detail15normal_iteratorINS9_10device_ptrIiEEEESK_iNS9_4plusIvEENS9_8equal_toIvEEiEE10hipError_tPvRmT2_T3_T4_T5_mT6_T7_P12ihipStream_tbENKUlT_T0_E_clISt17integral_constantIbLb1EES14_IbLb0EEEEDaS10_S11_EUlS10_E_NS1_11comp_targetILNS1_3genE10ELNS1_11target_archE1201ELNS1_3gpuE5ELNS1_3repE0EEENS1_30default_config_static_selectorELNS0_4arch9wavefront6targetE0EEEvT1_,"axG",@progbits,_ZN7rocprim17ROCPRIM_400000_NS6detail17trampoline_kernelINS0_14default_configENS1_27scan_by_key_config_selectorIiiEEZZNS1_16scan_by_key_implILNS1_25lookback_scan_determinismE0ELb0ES3_N6thrust23THRUST_200600_302600_NS18transform_iteratorI9which_rowNS9_17counting_iteratorIiNS9_11use_defaultESD_SD_EESD_SD_EENS9_6detail15normal_iteratorINS9_10device_ptrIiEEEESK_iNS9_4plusIvEENS9_8equal_toIvEEiEE10hipError_tPvRmT2_T3_T4_T5_mT6_T7_P12ihipStream_tbENKUlT_T0_E_clISt17integral_constantIbLb1EES14_IbLb0EEEEDaS10_S11_EUlS10_E_NS1_11comp_targetILNS1_3genE10ELNS1_11target_archE1201ELNS1_3gpuE5ELNS1_3repE0EEENS1_30default_config_static_selectorELNS0_4arch9wavefront6targetE0EEEvT1_,comdat
.Lfunc_end109:
	.size	_ZN7rocprim17ROCPRIM_400000_NS6detail17trampoline_kernelINS0_14default_configENS1_27scan_by_key_config_selectorIiiEEZZNS1_16scan_by_key_implILNS1_25lookback_scan_determinismE0ELb0ES3_N6thrust23THRUST_200600_302600_NS18transform_iteratorI9which_rowNS9_17counting_iteratorIiNS9_11use_defaultESD_SD_EESD_SD_EENS9_6detail15normal_iteratorINS9_10device_ptrIiEEEESK_iNS9_4plusIvEENS9_8equal_toIvEEiEE10hipError_tPvRmT2_T3_T4_T5_mT6_T7_P12ihipStream_tbENKUlT_T0_E_clISt17integral_constantIbLb1EES14_IbLb0EEEEDaS10_S11_EUlS10_E_NS1_11comp_targetILNS1_3genE10ELNS1_11target_archE1201ELNS1_3gpuE5ELNS1_3repE0EEENS1_30default_config_static_selectorELNS0_4arch9wavefront6targetE0EEEvT1_, .Lfunc_end109-_ZN7rocprim17ROCPRIM_400000_NS6detail17trampoline_kernelINS0_14default_configENS1_27scan_by_key_config_selectorIiiEEZZNS1_16scan_by_key_implILNS1_25lookback_scan_determinismE0ELb0ES3_N6thrust23THRUST_200600_302600_NS18transform_iteratorI9which_rowNS9_17counting_iteratorIiNS9_11use_defaultESD_SD_EESD_SD_EENS9_6detail15normal_iteratorINS9_10device_ptrIiEEEESK_iNS9_4plusIvEENS9_8equal_toIvEEiEE10hipError_tPvRmT2_T3_T4_T5_mT6_T7_P12ihipStream_tbENKUlT_T0_E_clISt17integral_constantIbLb1EES14_IbLb0EEEEDaS10_S11_EUlS10_E_NS1_11comp_targetILNS1_3genE10ELNS1_11target_archE1201ELNS1_3gpuE5ELNS1_3repE0EEENS1_30default_config_static_selectorELNS0_4arch9wavefront6targetE0EEEvT1_
                                        ; -- End function
	.set _ZN7rocprim17ROCPRIM_400000_NS6detail17trampoline_kernelINS0_14default_configENS1_27scan_by_key_config_selectorIiiEEZZNS1_16scan_by_key_implILNS1_25lookback_scan_determinismE0ELb0ES3_N6thrust23THRUST_200600_302600_NS18transform_iteratorI9which_rowNS9_17counting_iteratorIiNS9_11use_defaultESD_SD_EESD_SD_EENS9_6detail15normal_iteratorINS9_10device_ptrIiEEEESK_iNS9_4plusIvEENS9_8equal_toIvEEiEE10hipError_tPvRmT2_T3_T4_T5_mT6_T7_P12ihipStream_tbENKUlT_T0_E_clISt17integral_constantIbLb1EES14_IbLb0EEEEDaS10_S11_EUlS10_E_NS1_11comp_targetILNS1_3genE10ELNS1_11target_archE1201ELNS1_3gpuE5ELNS1_3repE0EEENS1_30default_config_static_selectorELNS0_4arch9wavefront6targetE0EEEvT1_.num_vgpr, 0
	.set _ZN7rocprim17ROCPRIM_400000_NS6detail17trampoline_kernelINS0_14default_configENS1_27scan_by_key_config_selectorIiiEEZZNS1_16scan_by_key_implILNS1_25lookback_scan_determinismE0ELb0ES3_N6thrust23THRUST_200600_302600_NS18transform_iteratorI9which_rowNS9_17counting_iteratorIiNS9_11use_defaultESD_SD_EESD_SD_EENS9_6detail15normal_iteratorINS9_10device_ptrIiEEEESK_iNS9_4plusIvEENS9_8equal_toIvEEiEE10hipError_tPvRmT2_T3_T4_T5_mT6_T7_P12ihipStream_tbENKUlT_T0_E_clISt17integral_constantIbLb1EES14_IbLb0EEEEDaS10_S11_EUlS10_E_NS1_11comp_targetILNS1_3genE10ELNS1_11target_archE1201ELNS1_3gpuE5ELNS1_3repE0EEENS1_30default_config_static_selectorELNS0_4arch9wavefront6targetE0EEEvT1_.num_agpr, 0
	.set _ZN7rocprim17ROCPRIM_400000_NS6detail17trampoline_kernelINS0_14default_configENS1_27scan_by_key_config_selectorIiiEEZZNS1_16scan_by_key_implILNS1_25lookback_scan_determinismE0ELb0ES3_N6thrust23THRUST_200600_302600_NS18transform_iteratorI9which_rowNS9_17counting_iteratorIiNS9_11use_defaultESD_SD_EESD_SD_EENS9_6detail15normal_iteratorINS9_10device_ptrIiEEEESK_iNS9_4plusIvEENS9_8equal_toIvEEiEE10hipError_tPvRmT2_T3_T4_T5_mT6_T7_P12ihipStream_tbENKUlT_T0_E_clISt17integral_constantIbLb1EES14_IbLb0EEEEDaS10_S11_EUlS10_E_NS1_11comp_targetILNS1_3genE10ELNS1_11target_archE1201ELNS1_3gpuE5ELNS1_3repE0EEENS1_30default_config_static_selectorELNS0_4arch9wavefront6targetE0EEEvT1_.numbered_sgpr, 0
	.set _ZN7rocprim17ROCPRIM_400000_NS6detail17trampoline_kernelINS0_14default_configENS1_27scan_by_key_config_selectorIiiEEZZNS1_16scan_by_key_implILNS1_25lookback_scan_determinismE0ELb0ES3_N6thrust23THRUST_200600_302600_NS18transform_iteratorI9which_rowNS9_17counting_iteratorIiNS9_11use_defaultESD_SD_EESD_SD_EENS9_6detail15normal_iteratorINS9_10device_ptrIiEEEESK_iNS9_4plusIvEENS9_8equal_toIvEEiEE10hipError_tPvRmT2_T3_T4_T5_mT6_T7_P12ihipStream_tbENKUlT_T0_E_clISt17integral_constantIbLb1EES14_IbLb0EEEEDaS10_S11_EUlS10_E_NS1_11comp_targetILNS1_3genE10ELNS1_11target_archE1201ELNS1_3gpuE5ELNS1_3repE0EEENS1_30default_config_static_selectorELNS0_4arch9wavefront6targetE0EEEvT1_.num_named_barrier, 0
	.set _ZN7rocprim17ROCPRIM_400000_NS6detail17trampoline_kernelINS0_14default_configENS1_27scan_by_key_config_selectorIiiEEZZNS1_16scan_by_key_implILNS1_25lookback_scan_determinismE0ELb0ES3_N6thrust23THRUST_200600_302600_NS18transform_iteratorI9which_rowNS9_17counting_iteratorIiNS9_11use_defaultESD_SD_EESD_SD_EENS9_6detail15normal_iteratorINS9_10device_ptrIiEEEESK_iNS9_4plusIvEENS9_8equal_toIvEEiEE10hipError_tPvRmT2_T3_T4_T5_mT6_T7_P12ihipStream_tbENKUlT_T0_E_clISt17integral_constantIbLb1EES14_IbLb0EEEEDaS10_S11_EUlS10_E_NS1_11comp_targetILNS1_3genE10ELNS1_11target_archE1201ELNS1_3gpuE5ELNS1_3repE0EEENS1_30default_config_static_selectorELNS0_4arch9wavefront6targetE0EEEvT1_.private_seg_size, 0
	.set _ZN7rocprim17ROCPRIM_400000_NS6detail17trampoline_kernelINS0_14default_configENS1_27scan_by_key_config_selectorIiiEEZZNS1_16scan_by_key_implILNS1_25lookback_scan_determinismE0ELb0ES3_N6thrust23THRUST_200600_302600_NS18transform_iteratorI9which_rowNS9_17counting_iteratorIiNS9_11use_defaultESD_SD_EESD_SD_EENS9_6detail15normal_iteratorINS9_10device_ptrIiEEEESK_iNS9_4plusIvEENS9_8equal_toIvEEiEE10hipError_tPvRmT2_T3_T4_T5_mT6_T7_P12ihipStream_tbENKUlT_T0_E_clISt17integral_constantIbLb1EES14_IbLb0EEEEDaS10_S11_EUlS10_E_NS1_11comp_targetILNS1_3genE10ELNS1_11target_archE1201ELNS1_3gpuE5ELNS1_3repE0EEENS1_30default_config_static_selectorELNS0_4arch9wavefront6targetE0EEEvT1_.uses_vcc, 0
	.set _ZN7rocprim17ROCPRIM_400000_NS6detail17trampoline_kernelINS0_14default_configENS1_27scan_by_key_config_selectorIiiEEZZNS1_16scan_by_key_implILNS1_25lookback_scan_determinismE0ELb0ES3_N6thrust23THRUST_200600_302600_NS18transform_iteratorI9which_rowNS9_17counting_iteratorIiNS9_11use_defaultESD_SD_EESD_SD_EENS9_6detail15normal_iteratorINS9_10device_ptrIiEEEESK_iNS9_4plusIvEENS9_8equal_toIvEEiEE10hipError_tPvRmT2_T3_T4_T5_mT6_T7_P12ihipStream_tbENKUlT_T0_E_clISt17integral_constantIbLb1EES14_IbLb0EEEEDaS10_S11_EUlS10_E_NS1_11comp_targetILNS1_3genE10ELNS1_11target_archE1201ELNS1_3gpuE5ELNS1_3repE0EEENS1_30default_config_static_selectorELNS0_4arch9wavefront6targetE0EEEvT1_.uses_flat_scratch, 0
	.set _ZN7rocprim17ROCPRIM_400000_NS6detail17trampoline_kernelINS0_14default_configENS1_27scan_by_key_config_selectorIiiEEZZNS1_16scan_by_key_implILNS1_25lookback_scan_determinismE0ELb0ES3_N6thrust23THRUST_200600_302600_NS18transform_iteratorI9which_rowNS9_17counting_iteratorIiNS9_11use_defaultESD_SD_EESD_SD_EENS9_6detail15normal_iteratorINS9_10device_ptrIiEEEESK_iNS9_4plusIvEENS9_8equal_toIvEEiEE10hipError_tPvRmT2_T3_T4_T5_mT6_T7_P12ihipStream_tbENKUlT_T0_E_clISt17integral_constantIbLb1EES14_IbLb0EEEEDaS10_S11_EUlS10_E_NS1_11comp_targetILNS1_3genE10ELNS1_11target_archE1201ELNS1_3gpuE5ELNS1_3repE0EEENS1_30default_config_static_selectorELNS0_4arch9wavefront6targetE0EEEvT1_.has_dyn_sized_stack, 0
	.set _ZN7rocprim17ROCPRIM_400000_NS6detail17trampoline_kernelINS0_14default_configENS1_27scan_by_key_config_selectorIiiEEZZNS1_16scan_by_key_implILNS1_25lookback_scan_determinismE0ELb0ES3_N6thrust23THRUST_200600_302600_NS18transform_iteratorI9which_rowNS9_17counting_iteratorIiNS9_11use_defaultESD_SD_EESD_SD_EENS9_6detail15normal_iteratorINS9_10device_ptrIiEEEESK_iNS9_4plusIvEENS9_8equal_toIvEEiEE10hipError_tPvRmT2_T3_T4_T5_mT6_T7_P12ihipStream_tbENKUlT_T0_E_clISt17integral_constantIbLb1EES14_IbLb0EEEEDaS10_S11_EUlS10_E_NS1_11comp_targetILNS1_3genE10ELNS1_11target_archE1201ELNS1_3gpuE5ELNS1_3repE0EEENS1_30default_config_static_selectorELNS0_4arch9wavefront6targetE0EEEvT1_.has_recursion, 0
	.set _ZN7rocprim17ROCPRIM_400000_NS6detail17trampoline_kernelINS0_14default_configENS1_27scan_by_key_config_selectorIiiEEZZNS1_16scan_by_key_implILNS1_25lookback_scan_determinismE0ELb0ES3_N6thrust23THRUST_200600_302600_NS18transform_iteratorI9which_rowNS9_17counting_iteratorIiNS9_11use_defaultESD_SD_EESD_SD_EENS9_6detail15normal_iteratorINS9_10device_ptrIiEEEESK_iNS9_4plusIvEENS9_8equal_toIvEEiEE10hipError_tPvRmT2_T3_T4_T5_mT6_T7_P12ihipStream_tbENKUlT_T0_E_clISt17integral_constantIbLb1EES14_IbLb0EEEEDaS10_S11_EUlS10_E_NS1_11comp_targetILNS1_3genE10ELNS1_11target_archE1201ELNS1_3gpuE5ELNS1_3repE0EEENS1_30default_config_static_selectorELNS0_4arch9wavefront6targetE0EEEvT1_.has_indirect_call, 0
	.section	.AMDGPU.csdata,"",@progbits
; Kernel info:
; codeLenInByte = 0
; TotalNumSgprs: 0
; NumVgprs: 0
; ScratchSize: 0
; MemoryBound: 0
; FloatMode: 240
; IeeeMode: 1
; LDSByteSize: 0 bytes/workgroup (compile time only)
; SGPRBlocks: 0
; VGPRBlocks: 0
; NumSGPRsForWavesPerEU: 1
; NumVGPRsForWavesPerEU: 1
; NamedBarCnt: 0
; Occupancy: 16
; WaveLimiterHint : 0
; COMPUTE_PGM_RSRC2:SCRATCH_EN: 0
; COMPUTE_PGM_RSRC2:USER_SGPR: 2
; COMPUTE_PGM_RSRC2:TRAP_HANDLER: 0
; COMPUTE_PGM_RSRC2:TGID_X_EN: 1
; COMPUTE_PGM_RSRC2:TGID_Y_EN: 0
; COMPUTE_PGM_RSRC2:TGID_Z_EN: 0
; COMPUTE_PGM_RSRC2:TIDIG_COMP_CNT: 0
	.section	.text._ZN7rocprim17ROCPRIM_400000_NS6detail17trampoline_kernelINS0_14default_configENS1_27scan_by_key_config_selectorIiiEEZZNS1_16scan_by_key_implILNS1_25lookback_scan_determinismE0ELb0ES3_N6thrust23THRUST_200600_302600_NS18transform_iteratorI9which_rowNS9_17counting_iteratorIiNS9_11use_defaultESD_SD_EESD_SD_EENS9_6detail15normal_iteratorINS9_10device_ptrIiEEEESK_iNS9_4plusIvEENS9_8equal_toIvEEiEE10hipError_tPvRmT2_T3_T4_T5_mT6_T7_P12ihipStream_tbENKUlT_T0_E_clISt17integral_constantIbLb1EES14_IbLb0EEEEDaS10_S11_EUlS10_E_NS1_11comp_targetILNS1_3genE5ELNS1_11target_archE942ELNS1_3gpuE9ELNS1_3repE0EEENS1_30default_config_static_selectorELNS0_4arch9wavefront6targetE0EEEvT1_,"axG",@progbits,_ZN7rocprim17ROCPRIM_400000_NS6detail17trampoline_kernelINS0_14default_configENS1_27scan_by_key_config_selectorIiiEEZZNS1_16scan_by_key_implILNS1_25lookback_scan_determinismE0ELb0ES3_N6thrust23THRUST_200600_302600_NS18transform_iteratorI9which_rowNS9_17counting_iteratorIiNS9_11use_defaultESD_SD_EESD_SD_EENS9_6detail15normal_iteratorINS9_10device_ptrIiEEEESK_iNS9_4plusIvEENS9_8equal_toIvEEiEE10hipError_tPvRmT2_T3_T4_T5_mT6_T7_P12ihipStream_tbENKUlT_T0_E_clISt17integral_constantIbLb1EES14_IbLb0EEEEDaS10_S11_EUlS10_E_NS1_11comp_targetILNS1_3genE5ELNS1_11target_archE942ELNS1_3gpuE9ELNS1_3repE0EEENS1_30default_config_static_selectorELNS0_4arch9wavefront6targetE0EEEvT1_,comdat
	.protected	_ZN7rocprim17ROCPRIM_400000_NS6detail17trampoline_kernelINS0_14default_configENS1_27scan_by_key_config_selectorIiiEEZZNS1_16scan_by_key_implILNS1_25lookback_scan_determinismE0ELb0ES3_N6thrust23THRUST_200600_302600_NS18transform_iteratorI9which_rowNS9_17counting_iteratorIiNS9_11use_defaultESD_SD_EESD_SD_EENS9_6detail15normal_iteratorINS9_10device_ptrIiEEEESK_iNS9_4plusIvEENS9_8equal_toIvEEiEE10hipError_tPvRmT2_T3_T4_T5_mT6_T7_P12ihipStream_tbENKUlT_T0_E_clISt17integral_constantIbLb1EES14_IbLb0EEEEDaS10_S11_EUlS10_E_NS1_11comp_targetILNS1_3genE5ELNS1_11target_archE942ELNS1_3gpuE9ELNS1_3repE0EEENS1_30default_config_static_selectorELNS0_4arch9wavefront6targetE0EEEvT1_ ; -- Begin function _ZN7rocprim17ROCPRIM_400000_NS6detail17trampoline_kernelINS0_14default_configENS1_27scan_by_key_config_selectorIiiEEZZNS1_16scan_by_key_implILNS1_25lookback_scan_determinismE0ELb0ES3_N6thrust23THRUST_200600_302600_NS18transform_iteratorI9which_rowNS9_17counting_iteratorIiNS9_11use_defaultESD_SD_EESD_SD_EENS9_6detail15normal_iteratorINS9_10device_ptrIiEEEESK_iNS9_4plusIvEENS9_8equal_toIvEEiEE10hipError_tPvRmT2_T3_T4_T5_mT6_T7_P12ihipStream_tbENKUlT_T0_E_clISt17integral_constantIbLb1EES14_IbLb0EEEEDaS10_S11_EUlS10_E_NS1_11comp_targetILNS1_3genE5ELNS1_11target_archE942ELNS1_3gpuE9ELNS1_3repE0EEENS1_30default_config_static_selectorELNS0_4arch9wavefront6targetE0EEEvT1_
	.globl	_ZN7rocprim17ROCPRIM_400000_NS6detail17trampoline_kernelINS0_14default_configENS1_27scan_by_key_config_selectorIiiEEZZNS1_16scan_by_key_implILNS1_25lookback_scan_determinismE0ELb0ES3_N6thrust23THRUST_200600_302600_NS18transform_iteratorI9which_rowNS9_17counting_iteratorIiNS9_11use_defaultESD_SD_EESD_SD_EENS9_6detail15normal_iteratorINS9_10device_ptrIiEEEESK_iNS9_4plusIvEENS9_8equal_toIvEEiEE10hipError_tPvRmT2_T3_T4_T5_mT6_T7_P12ihipStream_tbENKUlT_T0_E_clISt17integral_constantIbLb1EES14_IbLb0EEEEDaS10_S11_EUlS10_E_NS1_11comp_targetILNS1_3genE5ELNS1_11target_archE942ELNS1_3gpuE9ELNS1_3repE0EEENS1_30default_config_static_selectorELNS0_4arch9wavefront6targetE0EEEvT1_
	.p2align	8
	.type	_ZN7rocprim17ROCPRIM_400000_NS6detail17trampoline_kernelINS0_14default_configENS1_27scan_by_key_config_selectorIiiEEZZNS1_16scan_by_key_implILNS1_25lookback_scan_determinismE0ELb0ES3_N6thrust23THRUST_200600_302600_NS18transform_iteratorI9which_rowNS9_17counting_iteratorIiNS9_11use_defaultESD_SD_EESD_SD_EENS9_6detail15normal_iteratorINS9_10device_ptrIiEEEESK_iNS9_4plusIvEENS9_8equal_toIvEEiEE10hipError_tPvRmT2_T3_T4_T5_mT6_T7_P12ihipStream_tbENKUlT_T0_E_clISt17integral_constantIbLb1EES14_IbLb0EEEEDaS10_S11_EUlS10_E_NS1_11comp_targetILNS1_3genE5ELNS1_11target_archE942ELNS1_3gpuE9ELNS1_3repE0EEENS1_30default_config_static_selectorELNS0_4arch9wavefront6targetE0EEEvT1_,@function
_ZN7rocprim17ROCPRIM_400000_NS6detail17trampoline_kernelINS0_14default_configENS1_27scan_by_key_config_selectorIiiEEZZNS1_16scan_by_key_implILNS1_25lookback_scan_determinismE0ELb0ES3_N6thrust23THRUST_200600_302600_NS18transform_iteratorI9which_rowNS9_17counting_iteratorIiNS9_11use_defaultESD_SD_EESD_SD_EENS9_6detail15normal_iteratorINS9_10device_ptrIiEEEESK_iNS9_4plusIvEENS9_8equal_toIvEEiEE10hipError_tPvRmT2_T3_T4_T5_mT6_T7_P12ihipStream_tbENKUlT_T0_E_clISt17integral_constantIbLb1EES14_IbLb0EEEEDaS10_S11_EUlS10_E_NS1_11comp_targetILNS1_3genE5ELNS1_11target_archE942ELNS1_3gpuE9ELNS1_3repE0EEENS1_30default_config_static_selectorELNS0_4arch9wavefront6targetE0EEEvT1_: ; @_ZN7rocprim17ROCPRIM_400000_NS6detail17trampoline_kernelINS0_14default_configENS1_27scan_by_key_config_selectorIiiEEZZNS1_16scan_by_key_implILNS1_25lookback_scan_determinismE0ELb0ES3_N6thrust23THRUST_200600_302600_NS18transform_iteratorI9which_rowNS9_17counting_iteratorIiNS9_11use_defaultESD_SD_EESD_SD_EENS9_6detail15normal_iteratorINS9_10device_ptrIiEEEESK_iNS9_4plusIvEENS9_8equal_toIvEEiEE10hipError_tPvRmT2_T3_T4_T5_mT6_T7_P12ihipStream_tbENKUlT_T0_E_clISt17integral_constantIbLb1EES14_IbLb0EEEEDaS10_S11_EUlS10_E_NS1_11comp_targetILNS1_3genE5ELNS1_11target_archE942ELNS1_3gpuE9ELNS1_3repE0EEENS1_30default_config_static_selectorELNS0_4arch9wavefront6targetE0EEEvT1_
; %bb.0:
	.section	.rodata,"a",@progbits
	.p2align	6, 0x0
	.amdhsa_kernel _ZN7rocprim17ROCPRIM_400000_NS6detail17trampoline_kernelINS0_14default_configENS1_27scan_by_key_config_selectorIiiEEZZNS1_16scan_by_key_implILNS1_25lookback_scan_determinismE0ELb0ES3_N6thrust23THRUST_200600_302600_NS18transform_iteratorI9which_rowNS9_17counting_iteratorIiNS9_11use_defaultESD_SD_EESD_SD_EENS9_6detail15normal_iteratorINS9_10device_ptrIiEEEESK_iNS9_4plusIvEENS9_8equal_toIvEEiEE10hipError_tPvRmT2_T3_T4_T5_mT6_T7_P12ihipStream_tbENKUlT_T0_E_clISt17integral_constantIbLb1EES14_IbLb0EEEEDaS10_S11_EUlS10_E_NS1_11comp_targetILNS1_3genE5ELNS1_11target_archE942ELNS1_3gpuE9ELNS1_3repE0EEENS1_30default_config_static_selectorELNS0_4arch9wavefront6targetE0EEEvT1_
		.amdhsa_group_segment_fixed_size 0
		.amdhsa_private_segment_fixed_size 0
		.amdhsa_kernarg_size 112
		.amdhsa_user_sgpr_count 2
		.amdhsa_user_sgpr_dispatch_ptr 0
		.amdhsa_user_sgpr_queue_ptr 0
		.amdhsa_user_sgpr_kernarg_segment_ptr 1
		.amdhsa_user_sgpr_dispatch_id 0
		.amdhsa_user_sgpr_kernarg_preload_length 0
		.amdhsa_user_sgpr_kernarg_preload_offset 0
		.amdhsa_user_sgpr_private_segment_size 0
		.amdhsa_wavefront_size32 1
		.amdhsa_uses_dynamic_stack 0
		.amdhsa_enable_private_segment 0
		.amdhsa_system_sgpr_workgroup_id_x 1
		.amdhsa_system_sgpr_workgroup_id_y 0
		.amdhsa_system_sgpr_workgroup_id_z 0
		.amdhsa_system_sgpr_workgroup_info 0
		.amdhsa_system_vgpr_workitem_id 0
		.amdhsa_next_free_vgpr 1
		.amdhsa_next_free_sgpr 1
		.amdhsa_named_barrier_count 0
		.amdhsa_reserve_vcc 0
		.amdhsa_float_round_mode_32 0
		.amdhsa_float_round_mode_16_64 0
		.amdhsa_float_denorm_mode_32 3
		.amdhsa_float_denorm_mode_16_64 3
		.amdhsa_fp16_overflow 0
		.amdhsa_memory_ordered 1
		.amdhsa_forward_progress 1
		.amdhsa_inst_pref_size 0
		.amdhsa_round_robin_scheduling 0
		.amdhsa_exception_fp_ieee_invalid_op 0
		.amdhsa_exception_fp_denorm_src 0
		.amdhsa_exception_fp_ieee_div_zero 0
		.amdhsa_exception_fp_ieee_overflow 0
		.amdhsa_exception_fp_ieee_underflow 0
		.amdhsa_exception_fp_ieee_inexact 0
		.amdhsa_exception_int_div_zero 0
	.end_amdhsa_kernel
	.section	.text._ZN7rocprim17ROCPRIM_400000_NS6detail17trampoline_kernelINS0_14default_configENS1_27scan_by_key_config_selectorIiiEEZZNS1_16scan_by_key_implILNS1_25lookback_scan_determinismE0ELb0ES3_N6thrust23THRUST_200600_302600_NS18transform_iteratorI9which_rowNS9_17counting_iteratorIiNS9_11use_defaultESD_SD_EESD_SD_EENS9_6detail15normal_iteratorINS9_10device_ptrIiEEEESK_iNS9_4plusIvEENS9_8equal_toIvEEiEE10hipError_tPvRmT2_T3_T4_T5_mT6_T7_P12ihipStream_tbENKUlT_T0_E_clISt17integral_constantIbLb1EES14_IbLb0EEEEDaS10_S11_EUlS10_E_NS1_11comp_targetILNS1_3genE5ELNS1_11target_archE942ELNS1_3gpuE9ELNS1_3repE0EEENS1_30default_config_static_selectorELNS0_4arch9wavefront6targetE0EEEvT1_,"axG",@progbits,_ZN7rocprim17ROCPRIM_400000_NS6detail17trampoline_kernelINS0_14default_configENS1_27scan_by_key_config_selectorIiiEEZZNS1_16scan_by_key_implILNS1_25lookback_scan_determinismE0ELb0ES3_N6thrust23THRUST_200600_302600_NS18transform_iteratorI9which_rowNS9_17counting_iteratorIiNS9_11use_defaultESD_SD_EESD_SD_EENS9_6detail15normal_iteratorINS9_10device_ptrIiEEEESK_iNS9_4plusIvEENS9_8equal_toIvEEiEE10hipError_tPvRmT2_T3_T4_T5_mT6_T7_P12ihipStream_tbENKUlT_T0_E_clISt17integral_constantIbLb1EES14_IbLb0EEEEDaS10_S11_EUlS10_E_NS1_11comp_targetILNS1_3genE5ELNS1_11target_archE942ELNS1_3gpuE9ELNS1_3repE0EEENS1_30default_config_static_selectorELNS0_4arch9wavefront6targetE0EEEvT1_,comdat
.Lfunc_end110:
	.size	_ZN7rocprim17ROCPRIM_400000_NS6detail17trampoline_kernelINS0_14default_configENS1_27scan_by_key_config_selectorIiiEEZZNS1_16scan_by_key_implILNS1_25lookback_scan_determinismE0ELb0ES3_N6thrust23THRUST_200600_302600_NS18transform_iteratorI9which_rowNS9_17counting_iteratorIiNS9_11use_defaultESD_SD_EESD_SD_EENS9_6detail15normal_iteratorINS9_10device_ptrIiEEEESK_iNS9_4plusIvEENS9_8equal_toIvEEiEE10hipError_tPvRmT2_T3_T4_T5_mT6_T7_P12ihipStream_tbENKUlT_T0_E_clISt17integral_constantIbLb1EES14_IbLb0EEEEDaS10_S11_EUlS10_E_NS1_11comp_targetILNS1_3genE5ELNS1_11target_archE942ELNS1_3gpuE9ELNS1_3repE0EEENS1_30default_config_static_selectorELNS0_4arch9wavefront6targetE0EEEvT1_, .Lfunc_end110-_ZN7rocprim17ROCPRIM_400000_NS6detail17trampoline_kernelINS0_14default_configENS1_27scan_by_key_config_selectorIiiEEZZNS1_16scan_by_key_implILNS1_25lookback_scan_determinismE0ELb0ES3_N6thrust23THRUST_200600_302600_NS18transform_iteratorI9which_rowNS9_17counting_iteratorIiNS9_11use_defaultESD_SD_EESD_SD_EENS9_6detail15normal_iteratorINS9_10device_ptrIiEEEESK_iNS9_4plusIvEENS9_8equal_toIvEEiEE10hipError_tPvRmT2_T3_T4_T5_mT6_T7_P12ihipStream_tbENKUlT_T0_E_clISt17integral_constantIbLb1EES14_IbLb0EEEEDaS10_S11_EUlS10_E_NS1_11comp_targetILNS1_3genE5ELNS1_11target_archE942ELNS1_3gpuE9ELNS1_3repE0EEENS1_30default_config_static_selectorELNS0_4arch9wavefront6targetE0EEEvT1_
                                        ; -- End function
	.set _ZN7rocprim17ROCPRIM_400000_NS6detail17trampoline_kernelINS0_14default_configENS1_27scan_by_key_config_selectorIiiEEZZNS1_16scan_by_key_implILNS1_25lookback_scan_determinismE0ELb0ES3_N6thrust23THRUST_200600_302600_NS18transform_iteratorI9which_rowNS9_17counting_iteratorIiNS9_11use_defaultESD_SD_EESD_SD_EENS9_6detail15normal_iteratorINS9_10device_ptrIiEEEESK_iNS9_4plusIvEENS9_8equal_toIvEEiEE10hipError_tPvRmT2_T3_T4_T5_mT6_T7_P12ihipStream_tbENKUlT_T0_E_clISt17integral_constantIbLb1EES14_IbLb0EEEEDaS10_S11_EUlS10_E_NS1_11comp_targetILNS1_3genE5ELNS1_11target_archE942ELNS1_3gpuE9ELNS1_3repE0EEENS1_30default_config_static_selectorELNS0_4arch9wavefront6targetE0EEEvT1_.num_vgpr, 0
	.set _ZN7rocprim17ROCPRIM_400000_NS6detail17trampoline_kernelINS0_14default_configENS1_27scan_by_key_config_selectorIiiEEZZNS1_16scan_by_key_implILNS1_25lookback_scan_determinismE0ELb0ES3_N6thrust23THRUST_200600_302600_NS18transform_iteratorI9which_rowNS9_17counting_iteratorIiNS9_11use_defaultESD_SD_EESD_SD_EENS9_6detail15normal_iteratorINS9_10device_ptrIiEEEESK_iNS9_4plusIvEENS9_8equal_toIvEEiEE10hipError_tPvRmT2_T3_T4_T5_mT6_T7_P12ihipStream_tbENKUlT_T0_E_clISt17integral_constantIbLb1EES14_IbLb0EEEEDaS10_S11_EUlS10_E_NS1_11comp_targetILNS1_3genE5ELNS1_11target_archE942ELNS1_3gpuE9ELNS1_3repE0EEENS1_30default_config_static_selectorELNS0_4arch9wavefront6targetE0EEEvT1_.num_agpr, 0
	.set _ZN7rocprim17ROCPRIM_400000_NS6detail17trampoline_kernelINS0_14default_configENS1_27scan_by_key_config_selectorIiiEEZZNS1_16scan_by_key_implILNS1_25lookback_scan_determinismE0ELb0ES3_N6thrust23THRUST_200600_302600_NS18transform_iteratorI9which_rowNS9_17counting_iteratorIiNS9_11use_defaultESD_SD_EESD_SD_EENS9_6detail15normal_iteratorINS9_10device_ptrIiEEEESK_iNS9_4plusIvEENS9_8equal_toIvEEiEE10hipError_tPvRmT2_T3_T4_T5_mT6_T7_P12ihipStream_tbENKUlT_T0_E_clISt17integral_constantIbLb1EES14_IbLb0EEEEDaS10_S11_EUlS10_E_NS1_11comp_targetILNS1_3genE5ELNS1_11target_archE942ELNS1_3gpuE9ELNS1_3repE0EEENS1_30default_config_static_selectorELNS0_4arch9wavefront6targetE0EEEvT1_.numbered_sgpr, 0
	.set _ZN7rocprim17ROCPRIM_400000_NS6detail17trampoline_kernelINS0_14default_configENS1_27scan_by_key_config_selectorIiiEEZZNS1_16scan_by_key_implILNS1_25lookback_scan_determinismE0ELb0ES3_N6thrust23THRUST_200600_302600_NS18transform_iteratorI9which_rowNS9_17counting_iteratorIiNS9_11use_defaultESD_SD_EESD_SD_EENS9_6detail15normal_iteratorINS9_10device_ptrIiEEEESK_iNS9_4plusIvEENS9_8equal_toIvEEiEE10hipError_tPvRmT2_T3_T4_T5_mT6_T7_P12ihipStream_tbENKUlT_T0_E_clISt17integral_constantIbLb1EES14_IbLb0EEEEDaS10_S11_EUlS10_E_NS1_11comp_targetILNS1_3genE5ELNS1_11target_archE942ELNS1_3gpuE9ELNS1_3repE0EEENS1_30default_config_static_selectorELNS0_4arch9wavefront6targetE0EEEvT1_.num_named_barrier, 0
	.set _ZN7rocprim17ROCPRIM_400000_NS6detail17trampoline_kernelINS0_14default_configENS1_27scan_by_key_config_selectorIiiEEZZNS1_16scan_by_key_implILNS1_25lookback_scan_determinismE0ELb0ES3_N6thrust23THRUST_200600_302600_NS18transform_iteratorI9which_rowNS9_17counting_iteratorIiNS9_11use_defaultESD_SD_EESD_SD_EENS9_6detail15normal_iteratorINS9_10device_ptrIiEEEESK_iNS9_4plusIvEENS9_8equal_toIvEEiEE10hipError_tPvRmT2_T3_T4_T5_mT6_T7_P12ihipStream_tbENKUlT_T0_E_clISt17integral_constantIbLb1EES14_IbLb0EEEEDaS10_S11_EUlS10_E_NS1_11comp_targetILNS1_3genE5ELNS1_11target_archE942ELNS1_3gpuE9ELNS1_3repE0EEENS1_30default_config_static_selectorELNS0_4arch9wavefront6targetE0EEEvT1_.private_seg_size, 0
	.set _ZN7rocprim17ROCPRIM_400000_NS6detail17trampoline_kernelINS0_14default_configENS1_27scan_by_key_config_selectorIiiEEZZNS1_16scan_by_key_implILNS1_25lookback_scan_determinismE0ELb0ES3_N6thrust23THRUST_200600_302600_NS18transform_iteratorI9which_rowNS9_17counting_iteratorIiNS9_11use_defaultESD_SD_EESD_SD_EENS9_6detail15normal_iteratorINS9_10device_ptrIiEEEESK_iNS9_4plusIvEENS9_8equal_toIvEEiEE10hipError_tPvRmT2_T3_T4_T5_mT6_T7_P12ihipStream_tbENKUlT_T0_E_clISt17integral_constantIbLb1EES14_IbLb0EEEEDaS10_S11_EUlS10_E_NS1_11comp_targetILNS1_3genE5ELNS1_11target_archE942ELNS1_3gpuE9ELNS1_3repE0EEENS1_30default_config_static_selectorELNS0_4arch9wavefront6targetE0EEEvT1_.uses_vcc, 0
	.set _ZN7rocprim17ROCPRIM_400000_NS6detail17trampoline_kernelINS0_14default_configENS1_27scan_by_key_config_selectorIiiEEZZNS1_16scan_by_key_implILNS1_25lookback_scan_determinismE0ELb0ES3_N6thrust23THRUST_200600_302600_NS18transform_iteratorI9which_rowNS9_17counting_iteratorIiNS9_11use_defaultESD_SD_EESD_SD_EENS9_6detail15normal_iteratorINS9_10device_ptrIiEEEESK_iNS9_4plusIvEENS9_8equal_toIvEEiEE10hipError_tPvRmT2_T3_T4_T5_mT6_T7_P12ihipStream_tbENKUlT_T0_E_clISt17integral_constantIbLb1EES14_IbLb0EEEEDaS10_S11_EUlS10_E_NS1_11comp_targetILNS1_3genE5ELNS1_11target_archE942ELNS1_3gpuE9ELNS1_3repE0EEENS1_30default_config_static_selectorELNS0_4arch9wavefront6targetE0EEEvT1_.uses_flat_scratch, 0
	.set _ZN7rocprim17ROCPRIM_400000_NS6detail17trampoline_kernelINS0_14default_configENS1_27scan_by_key_config_selectorIiiEEZZNS1_16scan_by_key_implILNS1_25lookback_scan_determinismE0ELb0ES3_N6thrust23THRUST_200600_302600_NS18transform_iteratorI9which_rowNS9_17counting_iteratorIiNS9_11use_defaultESD_SD_EESD_SD_EENS9_6detail15normal_iteratorINS9_10device_ptrIiEEEESK_iNS9_4plusIvEENS9_8equal_toIvEEiEE10hipError_tPvRmT2_T3_T4_T5_mT6_T7_P12ihipStream_tbENKUlT_T0_E_clISt17integral_constantIbLb1EES14_IbLb0EEEEDaS10_S11_EUlS10_E_NS1_11comp_targetILNS1_3genE5ELNS1_11target_archE942ELNS1_3gpuE9ELNS1_3repE0EEENS1_30default_config_static_selectorELNS0_4arch9wavefront6targetE0EEEvT1_.has_dyn_sized_stack, 0
	.set _ZN7rocprim17ROCPRIM_400000_NS6detail17trampoline_kernelINS0_14default_configENS1_27scan_by_key_config_selectorIiiEEZZNS1_16scan_by_key_implILNS1_25lookback_scan_determinismE0ELb0ES3_N6thrust23THRUST_200600_302600_NS18transform_iteratorI9which_rowNS9_17counting_iteratorIiNS9_11use_defaultESD_SD_EESD_SD_EENS9_6detail15normal_iteratorINS9_10device_ptrIiEEEESK_iNS9_4plusIvEENS9_8equal_toIvEEiEE10hipError_tPvRmT2_T3_T4_T5_mT6_T7_P12ihipStream_tbENKUlT_T0_E_clISt17integral_constantIbLb1EES14_IbLb0EEEEDaS10_S11_EUlS10_E_NS1_11comp_targetILNS1_3genE5ELNS1_11target_archE942ELNS1_3gpuE9ELNS1_3repE0EEENS1_30default_config_static_selectorELNS0_4arch9wavefront6targetE0EEEvT1_.has_recursion, 0
	.set _ZN7rocprim17ROCPRIM_400000_NS6detail17trampoline_kernelINS0_14default_configENS1_27scan_by_key_config_selectorIiiEEZZNS1_16scan_by_key_implILNS1_25lookback_scan_determinismE0ELb0ES3_N6thrust23THRUST_200600_302600_NS18transform_iteratorI9which_rowNS9_17counting_iteratorIiNS9_11use_defaultESD_SD_EESD_SD_EENS9_6detail15normal_iteratorINS9_10device_ptrIiEEEESK_iNS9_4plusIvEENS9_8equal_toIvEEiEE10hipError_tPvRmT2_T3_T4_T5_mT6_T7_P12ihipStream_tbENKUlT_T0_E_clISt17integral_constantIbLb1EES14_IbLb0EEEEDaS10_S11_EUlS10_E_NS1_11comp_targetILNS1_3genE5ELNS1_11target_archE942ELNS1_3gpuE9ELNS1_3repE0EEENS1_30default_config_static_selectorELNS0_4arch9wavefront6targetE0EEEvT1_.has_indirect_call, 0
	.section	.AMDGPU.csdata,"",@progbits
; Kernel info:
; codeLenInByte = 0
; TotalNumSgprs: 0
; NumVgprs: 0
; ScratchSize: 0
; MemoryBound: 0
; FloatMode: 240
; IeeeMode: 1
; LDSByteSize: 0 bytes/workgroup (compile time only)
; SGPRBlocks: 0
; VGPRBlocks: 0
; NumSGPRsForWavesPerEU: 1
; NumVGPRsForWavesPerEU: 1
; NamedBarCnt: 0
; Occupancy: 16
; WaveLimiterHint : 0
; COMPUTE_PGM_RSRC2:SCRATCH_EN: 0
; COMPUTE_PGM_RSRC2:USER_SGPR: 2
; COMPUTE_PGM_RSRC2:TRAP_HANDLER: 0
; COMPUTE_PGM_RSRC2:TGID_X_EN: 1
; COMPUTE_PGM_RSRC2:TGID_Y_EN: 0
; COMPUTE_PGM_RSRC2:TGID_Z_EN: 0
; COMPUTE_PGM_RSRC2:TIDIG_COMP_CNT: 0
	.section	.text._ZN7rocprim17ROCPRIM_400000_NS6detail17trampoline_kernelINS0_14default_configENS1_27scan_by_key_config_selectorIiiEEZZNS1_16scan_by_key_implILNS1_25lookback_scan_determinismE0ELb0ES3_N6thrust23THRUST_200600_302600_NS18transform_iteratorI9which_rowNS9_17counting_iteratorIiNS9_11use_defaultESD_SD_EESD_SD_EENS9_6detail15normal_iteratorINS9_10device_ptrIiEEEESK_iNS9_4plusIvEENS9_8equal_toIvEEiEE10hipError_tPvRmT2_T3_T4_T5_mT6_T7_P12ihipStream_tbENKUlT_T0_E_clISt17integral_constantIbLb1EES14_IbLb0EEEEDaS10_S11_EUlS10_E_NS1_11comp_targetILNS1_3genE4ELNS1_11target_archE910ELNS1_3gpuE8ELNS1_3repE0EEENS1_30default_config_static_selectorELNS0_4arch9wavefront6targetE0EEEvT1_,"axG",@progbits,_ZN7rocprim17ROCPRIM_400000_NS6detail17trampoline_kernelINS0_14default_configENS1_27scan_by_key_config_selectorIiiEEZZNS1_16scan_by_key_implILNS1_25lookback_scan_determinismE0ELb0ES3_N6thrust23THRUST_200600_302600_NS18transform_iteratorI9which_rowNS9_17counting_iteratorIiNS9_11use_defaultESD_SD_EESD_SD_EENS9_6detail15normal_iteratorINS9_10device_ptrIiEEEESK_iNS9_4plusIvEENS9_8equal_toIvEEiEE10hipError_tPvRmT2_T3_T4_T5_mT6_T7_P12ihipStream_tbENKUlT_T0_E_clISt17integral_constantIbLb1EES14_IbLb0EEEEDaS10_S11_EUlS10_E_NS1_11comp_targetILNS1_3genE4ELNS1_11target_archE910ELNS1_3gpuE8ELNS1_3repE0EEENS1_30default_config_static_selectorELNS0_4arch9wavefront6targetE0EEEvT1_,comdat
	.protected	_ZN7rocprim17ROCPRIM_400000_NS6detail17trampoline_kernelINS0_14default_configENS1_27scan_by_key_config_selectorIiiEEZZNS1_16scan_by_key_implILNS1_25lookback_scan_determinismE0ELb0ES3_N6thrust23THRUST_200600_302600_NS18transform_iteratorI9which_rowNS9_17counting_iteratorIiNS9_11use_defaultESD_SD_EESD_SD_EENS9_6detail15normal_iteratorINS9_10device_ptrIiEEEESK_iNS9_4plusIvEENS9_8equal_toIvEEiEE10hipError_tPvRmT2_T3_T4_T5_mT6_T7_P12ihipStream_tbENKUlT_T0_E_clISt17integral_constantIbLb1EES14_IbLb0EEEEDaS10_S11_EUlS10_E_NS1_11comp_targetILNS1_3genE4ELNS1_11target_archE910ELNS1_3gpuE8ELNS1_3repE0EEENS1_30default_config_static_selectorELNS0_4arch9wavefront6targetE0EEEvT1_ ; -- Begin function _ZN7rocprim17ROCPRIM_400000_NS6detail17trampoline_kernelINS0_14default_configENS1_27scan_by_key_config_selectorIiiEEZZNS1_16scan_by_key_implILNS1_25lookback_scan_determinismE0ELb0ES3_N6thrust23THRUST_200600_302600_NS18transform_iteratorI9which_rowNS9_17counting_iteratorIiNS9_11use_defaultESD_SD_EESD_SD_EENS9_6detail15normal_iteratorINS9_10device_ptrIiEEEESK_iNS9_4plusIvEENS9_8equal_toIvEEiEE10hipError_tPvRmT2_T3_T4_T5_mT6_T7_P12ihipStream_tbENKUlT_T0_E_clISt17integral_constantIbLb1EES14_IbLb0EEEEDaS10_S11_EUlS10_E_NS1_11comp_targetILNS1_3genE4ELNS1_11target_archE910ELNS1_3gpuE8ELNS1_3repE0EEENS1_30default_config_static_selectorELNS0_4arch9wavefront6targetE0EEEvT1_
	.globl	_ZN7rocprim17ROCPRIM_400000_NS6detail17trampoline_kernelINS0_14default_configENS1_27scan_by_key_config_selectorIiiEEZZNS1_16scan_by_key_implILNS1_25lookback_scan_determinismE0ELb0ES3_N6thrust23THRUST_200600_302600_NS18transform_iteratorI9which_rowNS9_17counting_iteratorIiNS9_11use_defaultESD_SD_EESD_SD_EENS9_6detail15normal_iteratorINS9_10device_ptrIiEEEESK_iNS9_4plusIvEENS9_8equal_toIvEEiEE10hipError_tPvRmT2_T3_T4_T5_mT6_T7_P12ihipStream_tbENKUlT_T0_E_clISt17integral_constantIbLb1EES14_IbLb0EEEEDaS10_S11_EUlS10_E_NS1_11comp_targetILNS1_3genE4ELNS1_11target_archE910ELNS1_3gpuE8ELNS1_3repE0EEENS1_30default_config_static_selectorELNS0_4arch9wavefront6targetE0EEEvT1_
	.p2align	8
	.type	_ZN7rocprim17ROCPRIM_400000_NS6detail17trampoline_kernelINS0_14default_configENS1_27scan_by_key_config_selectorIiiEEZZNS1_16scan_by_key_implILNS1_25lookback_scan_determinismE0ELb0ES3_N6thrust23THRUST_200600_302600_NS18transform_iteratorI9which_rowNS9_17counting_iteratorIiNS9_11use_defaultESD_SD_EESD_SD_EENS9_6detail15normal_iteratorINS9_10device_ptrIiEEEESK_iNS9_4plusIvEENS9_8equal_toIvEEiEE10hipError_tPvRmT2_T3_T4_T5_mT6_T7_P12ihipStream_tbENKUlT_T0_E_clISt17integral_constantIbLb1EES14_IbLb0EEEEDaS10_S11_EUlS10_E_NS1_11comp_targetILNS1_3genE4ELNS1_11target_archE910ELNS1_3gpuE8ELNS1_3repE0EEENS1_30default_config_static_selectorELNS0_4arch9wavefront6targetE0EEEvT1_,@function
_ZN7rocprim17ROCPRIM_400000_NS6detail17trampoline_kernelINS0_14default_configENS1_27scan_by_key_config_selectorIiiEEZZNS1_16scan_by_key_implILNS1_25lookback_scan_determinismE0ELb0ES3_N6thrust23THRUST_200600_302600_NS18transform_iteratorI9which_rowNS9_17counting_iteratorIiNS9_11use_defaultESD_SD_EESD_SD_EENS9_6detail15normal_iteratorINS9_10device_ptrIiEEEESK_iNS9_4plusIvEENS9_8equal_toIvEEiEE10hipError_tPvRmT2_T3_T4_T5_mT6_T7_P12ihipStream_tbENKUlT_T0_E_clISt17integral_constantIbLb1EES14_IbLb0EEEEDaS10_S11_EUlS10_E_NS1_11comp_targetILNS1_3genE4ELNS1_11target_archE910ELNS1_3gpuE8ELNS1_3repE0EEENS1_30default_config_static_selectorELNS0_4arch9wavefront6targetE0EEEvT1_: ; @_ZN7rocprim17ROCPRIM_400000_NS6detail17trampoline_kernelINS0_14default_configENS1_27scan_by_key_config_selectorIiiEEZZNS1_16scan_by_key_implILNS1_25lookback_scan_determinismE0ELb0ES3_N6thrust23THRUST_200600_302600_NS18transform_iteratorI9which_rowNS9_17counting_iteratorIiNS9_11use_defaultESD_SD_EESD_SD_EENS9_6detail15normal_iteratorINS9_10device_ptrIiEEEESK_iNS9_4plusIvEENS9_8equal_toIvEEiEE10hipError_tPvRmT2_T3_T4_T5_mT6_T7_P12ihipStream_tbENKUlT_T0_E_clISt17integral_constantIbLb1EES14_IbLb0EEEEDaS10_S11_EUlS10_E_NS1_11comp_targetILNS1_3genE4ELNS1_11target_archE910ELNS1_3gpuE8ELNS1_3repE0EEENS1_30default_config_static_selectorELNS0_4arch9wavefront6targetE0EEEvT1_
; %bb.0:
	.section	.rodata,"a",@progbits
	.p2align	6, 0x0
	.amdhsa_kernel _ZN7rocprim17ROCPRIM_400000_NS6detail17trampoline_kernelINS0_14default_configENS1_27scan_by_key_config_selectorIiiEEZZNS1_16scan_by_key_implILNS1_25lookback_scan_determinismE0ELb0ES3_N6thrust23THRUST_200600_302600_NS18transform_iteratorI9which_rowNS9_17counting_iteratorIiNS9_11use_defaultESD_SD_EESD_SD_EENS9_6detail15normal_iteratorINS9_10device_ptrIiEEEESK_iNS9_4plusIvEENS9_8equal_toIvEEiEE10hipError_tPvRmT2_T3_T4_T5_mT6_T7_P12ihipStream_tbENKUlT_T0_E_clISt17integral_constantIbLb1EES14_IbLb0EEEEDaS10_S11_EUlS10_E_NS1_11comp_targetILNS1_3genE4ELNS1_11target_archE910ELNS1_3gpuE8ELNS1_3repE0EEENS1_30default_config_static_selectorELNS0_4arch9wavefront6targetE0EEEvT1_
		.amdhsa_group_segment_fixed_size 0
		.amdhsa_private_segment_fixed_size 0
		.amdhsa_kernarg_size 112
		.amdhsa_user_sgpr_count 2
		.amdhsa_user_sgpr_dispatch_ptr 0
		.amdhsa_user_sgpr_queue_ptr 0
		.amdhsa_user_sgpr_kernarg_segment_ptr 1
		.amdhsa_user_sgpr_dispatch_id 0
		.amdhsa_user_sgpr_kernarg_preload_length 0
		.amdhsa_user_sgpr_kernarg_preload_offset 0
		.amdhsa_user_sgpr_private_segment_size 0
		.amdhsa_wavefront_size32 1
		.amdhsa_uses_dynamic_stack 0
		.amdhsa_enable_private_segment 0
		.amdhsa_system_sgpr_workgroup_id_x 1
		.amdhsa_system_sgpr_workgroup_id_y 0
		.amdhsa_system_sgpr_workgroup_id_z 0
		.amdhsa_system_sgpr_workgroup_info 0
		.amdhsa_system_vgpr_workitem_id 0
		.amdhsa_next_free_vgpr 1
		.amdhsa_next_free_sgpr 1
		.amdhsa_named_barrier_count 0
		.amdhsa_reserve_vcc 0
		.amdhsa_float_round_mode_32 0
		.amdhsa_float_round_mode_16_64 0
		.amdhsa_float_denorm_mode_32 3
		.amdhsa_float_denorm_mode_16_64 3
		.amdhsa_fp16_overflow 0
		.amdhsa_memory_ordered 1
		.amdhsa_forward_progress 1
		.amdhsa_inst_pref_size 0
		.amdhsa_round_robin_scheduling 0
		.amdhsa_exception_fp_ieee_invalid_op 0
		.amdhsa_exception_fp_denorm_src 0
		.amdhsa_exception_fp_ieee_div_zero 0
		.amdhsa_exception_fp_ieee_overflow 0
		.amdhsa_exception_fp_ieee_underflow 0
		.amdhsa_exception_fp_ieee_inexact 0
		.amdhsa_exception_int_div_zero 0
	.end_amdhsa_kernel
	.section	.text._ZN7rocprim17ROCPRIM_400000_NS6detail17trampoline_kernelINS0_14default_configENS1_27scan_by_key_config_selectorIiiEEZZNS1_16scan_by_key_implILNS1_25lookback_scan_determinismE0ELb0ES3_N6thrust23THRUST_200600_302600_NS18transform_iteratorI9which_rowNS9_17counting_iteratorIiNS9_11use_defaultESD_SD_EESD_SD_EENS9_6detail15normal_iteratorINS9_10device_ptrIiEEEESK_iNS9_4plusIvEENS9_8equal_toIvEEiEE10hipError_tPvRmT2_T3_T4_T5_mT6_T7_P12ihipStream_tbENKUlT_T0_E_clISt17integral_constantIbLb1EES14_IbLb0EEEEDaS10_S11_EUlS10_E_NS1_11comp_targetILNS1_3genE4ELNS1_11target_archE910ELNS1_3gpuE8ELNS1_3repE0EEENS1_30default_config_static_selectorELNS0_4arch9wavefront6targetE0EEEvT1_,"axG",@progbits,_ZN7rocprim17ROCPRIM_400000_NS6detail17trampoline_kernelINS0_14default_configENS1_27scan_by_key_config_selectorIiiEEZZNS1_16scan_by_key_implILNS1_25lookback_scan_determinismE0ELb0ES3_N6thrust23THRUST_200600_302600_NS18transform_iteratorI9which_rowNS9_17counting_iteratorIiNS9_11use_defaultESD_SD_EESD_SD_EENS9_6detail15normal_iteratorINS9_10device_ptrIiEEEESK_iNS9_4plusIvEENS9_8equal_toIvEEiEE10hipError_tPvRmT2_T3_T4_T5_mT6_T7_P12ihipStream_tbENKUlT_T0_E_clISt17integral_constantIbLb1EES14_IbLb0EEEEDaS10_S11_EUlS10_E_NS1_11comp_targetILNS1_3genE4ELNS1_11target_archE910ELNS1_3gpuE8ELNS1_3repE0EEENS1_30default_config_static_selectorELNS0_4arch9wavefront6targetE0EEEvT1_,comdat
.Lfunc_end111:
	.size	_ZN7rocprim17ROCPRIM_400000_NS6detail17trampoline_kernelINS0_14default_configENS1_27scan_by_key_config_selectorIiiEEZZNS1_16scan_by_key_implILNS1_25lookback_scan_determinismE0ELb0ES3_N6thrust23THRUST_200600_302600_NS18transform_iteratorI9which_rowNS9_17counting_iteratorIiNS9_11use_defaultESD_SD_EESD_SD_EENS9_6detail15normal_iteratorINS9_10device_ptrIiEEEESK_iNS9_4plusIvEENS9_8equal_toIvEEiEE10hipError_tPvRmT2_T3_T4_T5_mT6_T7_P12ihipStream_tbENKUlT_T0_E_clISt17integral_constantIbLb1EES14_IbLb0EEEEDaS10_S11_EUlS10_E_NS1_11comp_targetILNS1_3genE4ELNS1_11target_archE910ELNS1_3gpuE8ELNS1_3repE0EEENS1_30default_config_static_selectorELNS0_4arch9wavefront6targetE0EEEvT1_, .Lfunc_end111-_ZN7rocprim17ROCPRIM_400000_NS6detail17trampoline_kernelINS0_14default_configENS1_27scan_by_key_config_selectorIiiEEZZNS1_16scan_by_key_implILNS1_25lookback_scan_determinismE0ELb0ES3_N6thrust23THRUST_200600_302600_NS18transform_iteratorI9which_rowNS9_17counting_iteratorIiNS9_11use_defaultESD_SD_EESD_SD_EENS9_6detail15normal_iteratorINS9_10device_ptrIiEEEESK_iNS9_4plusIvEENS9_8equal_toIvEEiEE10hipError_tPvRmT2_T3_T4_T5_mT6_T7_P12ihipStream_tbENKUlT_T0_E_clISt17integral_constantIbLb1EES14_IbLb0EEEEDaS10_S11_EUlS10_E_NS1_11comp_targetILNS1_3genE4ELNS1_11target_archE910ELNS1_3gpuE8ELNS1_3repE0EEENS1_30default_config_static_selectorELNS0_4arch9wavefront6targetE0EEEvT1_
                                        ; -- End function
	.set _ZN7rocprim17ROCPRIM_400000_NS6detail17trampoline_kernelINS0_14default_configENS1_27scan_by_key_config_selectorIiiEEZZNS1_16scan_by_key_implILNS1_25lookback_scan_determinismE0ELb0ES3_N6thrust23THRUST_200600_302600_NS18transform_iteratorI9which_rowNS9_17counting_iteratorIiNS9_11use_defaultESD_SD_EESD_SD_EENS9_6detail15normal_iteratorINS9_10device_ptrIiEEEESK_iNS9_4plusIvEENS9_8equal_toIvEEiEE10hipError_tPvRmT2_T3_T4_T5_mT6_T7_P12ihipStream_tbENKUlT_T0_E_clISt17integral_constantIbLb1EES14_IbLb0EEEEDaS10_S11_EUlS10_E_NS1_11comp_targetILNS1_3genE4ELNS1_11target_archE910ELNS1_3gpuE8ELNS1_3repE0EEENS1_30default_config_static_selectorELNS0_4arch9wavefront6targetE0EEEvT1_.num_vgpr, 0
	.set _ZN7rocprim17ROCPRIM_400000_NS6detail17trampoline_kernelINS0_14default_configENS1_27scan_by_key_config_selectorIiiEEZZNS1_16scan_by_key_implILNS1_25lookback_scan_determinismE0ELb0ES3_N6thrust23THRUST_200600_302600_NS18transform_iteratorI9which_rowNS9_17counting_iteratorIiNS9_11use_defaultESD_SD_EESD_SD_EENS9_6detail15normal_iteratorINS9_10device_ptrIiEEEESK_iNS9_4plusIvEENS9_8equal_toIvEEiEE10hipError_tPvRmT2_T3_T4_T5_mT6_T7_P12ihipStream_tbENKUlT_T0_E_clISt17integral_constantIbLb1EES14_IbLb0EEEEDaS10_S11_EUlS10_E_NS1_11comp_targetILNS1_3genE4ELNS1_11target_archE910ELNS1_3gpuE8ELNS1_3repE0EEENS1_30default_config_static_selectorELNS0_4arch9wavefront6targetE0EEEvT1_.num_agpr, 0
	.set _ZN7rocprim17ROCPRIM_400000_NS6detail17trampoline_kernelINS0_14default_configENS1_27scan_by_key_config_selectorIiiEEZZNS1_16scan_by_key_implILNS1_25lookback_scan_determinismE0ELb0ES3_N6thrust23THRUST_200600_302600_NS18transform_iteratorI9which_rowNS9_17counting_iteratorIiNS9_11use_defaultESD_SD_EESD_SD_EENS9_6detail15normal_iteratorINS9_10device_ptrIiEEEESK_iNS9_4plusIvEENS9_8equal_toIvEEiEE10hipError_tPvRmT2_T3_T4_T5_mT6_T7_P12ihipStream_tbENKUlT_T0_E_clISt17integral_constantIbLb1EES14_IbLb0EEEEDaS10_S11_EUlS10_E_NS1_11comp_targetILNS1_3genE4ELNS1_11target_archE910ELNS1_3gpuE8ELNS1_3repE0EEENS1_30default_config_static_selectorELNS0_4arch9wavefront6targetE0EEEvT1_.numbered_sgpr, 0
	.set _ZN7rocprim17ROCPRIM_400000_NS6detail17trampoline_kernelINS0_14default_configENS1_27scan_by_key_config_selectorIiiEEZZNS1_16scan_by_key_implILNS1_25lookback_scan_determinismE0ELb0ES3_N6thrust23THRUST_200600_302600_NS18transform_iteratorI9which_rowNS9_17counting_iteratorIiNS9_11use_defaultESD_SD_EESD_SD_EENS9_6detail15normal_iteratorINS9_10device_ptrIiEEEESK_iNS9_4plusIvEENS9_8equal_toIvEEiEE10hipError_tPvRmT2_T3_T4_T5_mT6_T7_P12ihipStream_tbENKUlT_T0_E_clISt17integral_constantIbLb1EES14_IbLb0EEEEDaS10_S11_EUlS10_E_NS1_11comp_targetILNS1_3genE4ELNS1_11target_archE910ELNS1_3gpuE8ELNS1_3repE0EEENS1_30default_config_static_selectorELNS0_4arch9wavefront6targetE0EEEvT1_.num_named_barrier, 0
	.set _ZN7rocprim17ROCPRIM_400000_NS6detail17trampoline_kernelINS0_14default_configENS1_27scan_by_key_config_selectorIiiEEZZNS1_16scan_by_key_implILNS1_25lookback_scan_determinismE0ELb0ES3_N6thrust23THRUST_200600_302600_NS18transform_iteratorI9which_rowNS9_17counting_iteratorIiNS9_11use_defaultESD_SD_EESD_SD_EENS9_6detail15normal_iteratorINS9_10device_ptrIiEEEESK_iNS9_4plusIvEENS9_8equal_toIvEEiEE10hipError_tPvRmT2_T3_T4_T5_mT6_T7_P12ihipStream_tbENKUlT_T0_E_clISt17integral_constantIbLb1EES14_IbLb0EEEEDaS10_S11_EUlS10_E_NS1_11comp_targetILNS1_3genE4ELNS1_11target_archE910ELNS1_3gpuE8ELNS1_3repE0EEENS1_30default_config_static_selectorELNS0_4arch9wavefront6targetE0EEEvT1_.private_seg_size, 0
	.set _ZN7rocprim17ROCPRIM_400000_NS6detail17trampoline_kernelINS0_14default_configENS1_27scan_by_key_config_selectorIiiEEZZNS1_16scan_by_key_implILNS1_25lookback_scan_determinismE0ELb0ES3_N6thrust23THRUST_200600_302600_NS18transform_iteratorI9which_rowNS9_17counting_iteratorIiNS9_11use_defaultESD_SD_EESD_SD_EENS9_6detail15normal_iteratorINS9_10device_ptrIiEEEESK_iNS9_4plusIvEENS9_8equal_toIvEEiEE10hipError_tPvRmT2_T3_T4_T5_mT6_T7_P12ihipStream_tbENKUlT_T0_E_clISt17integral_constantIbLb1EES14_IbLb0EEEEDaS10_S11_EUlS10_E_NS1_11comp_targetILNS1_3genE4ELNS1_11target_archE910ELNS1_3gpuE8ELNS1_3repE0EEENS1_30default_config_static_selectorELNS0_4arch9wavefront6targetE0EEEvT1_.uses_vcc, 0
	.set _ZN7rocprim17ROCPRIM_400000_NS6detail17trampoline_kernelINS0_14default_configENS1_27scan_by_key_config_selectorIiiEEZZNS1_16scan_by_key_implILNS1_25lookback_scan_determinismE0ELb0ES3_N6thrust23THRUST_200600_302600_NS18transform_iteratorI9which_rowNS9_17counting_iteratorIiNS9_11use_defaultESD_SD_EESD_SD_EENS9_6detail15normal_iteratorINS9_10device_ptrIiEEEESK_iNS9_4plusIvEENS9_8equal_toIvEEiEE10hipError_tPvRmT2_T3_T4_T5_mT6_T7_P12ihipStream_tbENKUlT_T0_E_clISt17integral_constantIbLb1EES14_IbLb0EEEEDaS10_S11_EUlS10_E_NS1_11comp_targetILNS1_3genE4ELNS1_11target_archE910ELNS1_3gpuE8ELNS1_3repE0EEENS1_30default_config_static_selectorELNS0_4arch9wavefront6targetE0EEEvT1_.uses_flat_scratch, 0
	.set _ZN7rocprim17ROCPRIM_400000_NS6detail17trampoline_kernelINS0_14default_configENS1_27scan_by_key_config_selectorIiiEEZZNS1_16scan_by_key_implILNS1_25lookback_scan_determinismE0ELb0ES3_N6thrust23THRUST_200600_302600_NS18transform_iteratorI9which_rowNS9_17counting_iteratorIiNS9_11use_defaultESD_SD_EESD_SD_EENS9_6detail15normal_iteratorINS9_10device_ptrIiEEEESK_iNS9_4plusIvEENS9_8equal_toIvEEiEE10hipError_tPvRmT2_T3_T4_T5_mT6_T7_P12ihipStream_tbENKUlT_T0_E_clISt17integral_constantIbLb1EES14_IbLb0EEEEDaS10_S11_EUlS10_E_NS1_11comp_targetILNS1_3genE4ELNS1_11target_archE910ELNS1_3gpuE8ELNS1_3repE0EEENS1_30default_config_static_selectorELNS0_4arch9wavefront6targetE0EEEvT1_.has_dyn_sized_stack, 0
	.set _ZN7rocprim17ROCPRIM_400000_NS6detail17trampoline_kernelINS0_14default_configENS1_27scan_by_key_config_selectorIiiEEZZNS1_16scan_by_key_implILNS1_25lookback_scan_determinismE0ELb0ES3_N6thrust23THRUST_200600_302600_NS18transform_iteratorI9which_rowNS9_17counting_iteratorIiNS9_11use_defaultESD_SD_EESD_SD_EENS9_6detail15normal_iteratorINS9_10device_ptrIiEEEESK_iNS9_4plusIvEENS9_8equal_toIvEEiEE10hipError_tPvRmT2_T3_T4_T5_mT6_T7_P12ihipStream_tbENKUlT_T0_E_clISt17integral_constantIbLb1EES14_IbLb0EEEEDaS10_S11_EUlS10_E_NS1_11comp_targetILNS1_3genE4ELNS1_11target_archE910ELNS1_3gpuE8ELNS1_3repE0EEENS1_30default_config_static_selectorELNS0_4arch9wavefront6targetE0EEEvT1_.has_recursion, 0
	.set _ZN7rocprim17ROCPRIM_400000_NS6detail17trampoline_kernelINS0_14default_configENS1_27scan_by_key_config_selectorIiiEEZZNS1_16scan_by_key_implILNS1_25lookback_scan_determinismE0ELb0ES3_N6thrust23THRUST_200600_302600_NS18transform_iteratorI9which_rowNS9_17counting_iteratorIiNS9_11use_defaultESD_SD_EESD_SD_EENS9_6detail15normal_iteratorINS9_10device_ptrIiEEEESK_iNS9_4plusIvEENS9_8equal_toIvEEiEE10hipError_tPvRmT2_T3_T4_T5_mT6_T7_P12ihipStream_tbENKUlT_T0_E_clISt17integral_constantIbLb1EES14_IbLb0EEEEDaS10_S11_EUlS10_E_NS1_11comp_targetILNS1_3genE4ELNS1_11target_archE910ELNS1_3gpuE8ELNS1_3repE0EEENS1_30default_config_static_selectorELNS0_4arch9wavefront6targetE0EEEvT1_.has_indirect_call, 0
	.section	.AMDGPU.csdata,"",@progbits
; Kernel info:
; codeLenInByte = 0
; TotalNumSgprs: 0
; NumVgprs: 0
; ScratchSize: 0
; MemoryBound: 0
; FloatMode: 240
; IeeeMode: 1
; LDSByteSize: 0 bytes/workgroup (compile time only)
; SGPRBlocks: 0
; VGPRBlocks: 0
; NumSGPRsForWavesPerEU: 1
; NumVGPRsForWavesPerEU: 1
; NamedBarCnt: 0
; Occupancy: 16
; WaveLimiterHint : 0
; COMPUTE_PGM_RSRC2:SCRATCH_EN: 0
; COMPUTE_PGM_RSRC2:USER_SGPR: 2
; COMPUTE_PGM_RSRC2:TRAP_HANDLER: 0
; COMPUTE_PGM_RSRC2:TGID_X_EN: 1
; COMPUTE_PGM_RSRC2:TGID_Y_EN: 0
; COMPUTE_PGM_RSRC2:TGID_Z_EN: 0
; COMPUTE_PGM_RSRC2:TIDIG_COMP_CNT: 0
	.section	.text._ZN7rocprim17ROCPRIM_400000_NS6detail17trampoline_kernelINS0_14default_configENS1_27scan_by_key_config_selectorIiiEEZZNS1_16scan_by_key_implILNS1_25lookback_scan_determinismE0ELb0ES3_N6thrust23THRUST_200600_302600_NS18transform_iteratorI9which_rowNS9_17counting_iteratorIiNS9_11use_defaultESD_SD_EESD_SD_EENS9_6detail15normal_iteratorINS9_10device_ptrIiEEEESK_iNS9_4plusIvEENS9_8equal_toIvEEiEE10hipError_tPvRmT2_T3_T4_T5_mT6_T7_P12ihipStream_tbENKUlT_T0_E_clISt17integral_constantIbLb1EES14_IbLb0EEEEDaS10_S11_EUlS10_E_NS1_11comp_targetILNS1_3genE3ELNS1_11target_archE908ELNS1_3gpuE7ELNS1_3repE0EEENS1_30default_config_static_selectorELNS0_4arch9wavefront6targetE0EEEvT1_,"axG",@progbits,_ZN7rocprim17ROCPRIM_400000_NS6detail17trampoline_kernelINS0_14default_configENS1_27scan_by_key_config_selectorIiiEEZZNS1_16scan_by_key_implILNS1_25lookback_scan_determinismE0ELb0ES3_N6thrust23THRUST_200600_302600_NS18transform_iteratorI9which_rowNS9_17counting_iteratorIiNS9_11use_defaultESD_SD_EESD_SD_EENS9_6detail15normal_iteratorINS9_10device_ptrIiEEEESK_iNS9_4plusIvEENS9_8equal_toIvEEiEE10hipError_tPvRmT2_T3_T4_T5_mT6_T7_P12ihipStream_tbENKUlT_T0_E_clISt17integral_constantIbLb1EES14_IbLb0EEEEDaS10_S11_EUlS10_E_NS1_11comp_targetILNS1_3genE3ELNS1_11target_archE908ELNS1_3gpuE7ELNS1_3repE0EEENS1_30default_config_static_selectorELNS0_4arch9wavefront6targetE0EEEvT1_,comdat
	.protected	_ZN7rocprim17ROCPRIM_400000_NS6detail17trampoline_kernelINS0_14default_configENS1_27scan_by_key_config_selectorIiiEEZZNS1_16scan_by_key_implILNS1_25lookback_scan_determinismE0ELb0ES3_N6thrust23THRUST_200600_302600_NS18transform_iteratorI9which_rowNS9_17counting_iteratorIiNS9_11use_defaultESD_SD_EESD_SD_EENS9_6detail15normal_iteratorINS9_10device_ptrIiEEEESK_iNS9_4plusIvEENS9_8equal_toIvEEiEE10hipError_tPvRmT2_T3_T4_T5_mT6_T7_P12ihipStream_tbENKUlT_T0_E_clISt17integral_constantIbLb1EES14_IbLb0EEEEDaS10_S11_EUlS10_E_NS1_11comp_targetILNS1_3genE3ELNS1_11target_archE908ELNS1_3gpuE7ELNS1_3repE0EEENS1_30default_config_static_selectorELNS0_4arch9wavefront6targetE0EEEvT1_ ; -- Begin function _ZN7rocprim17ROCPRIM_400000_NS6detail17trampoline_kernelINS0_14default_configENS1_27scan_by_key_config_selectorIiiEEZZNS1_16scan_by_key_implILNS1_25lookback_scan_determinismE0ELb0ES3_N6thrust23THRUST_200600_302600_NS18transform_iteratorI9which_rowNS9_17counting_iteratorIiNS9_11use_defaultESD_SD_EESD_SD_EENS9_6detail15normal_iteratorINS9_10device_ptrIiEEEESK_iNS9_4plusIvEENS9_8equal_toIvEEiEE10hipError_tPvRmT2_T3_T4_T5_mT6_T7_P12ihipStream_tbENKUlT_T0_E_clISt17integral_constantIbLb1EES14_IbLb0EEEEDaS10_S11_EUlS10_E_NS1_11comp_targetILNS1_3genE3ELNS1_11target_archE908ELNS1_3gpuE7ELNS1_3repE0EEENS1_30default_config_static_selectorELNS0_4arch9wavefront6targetE0EEEvT1_
	.globl	_ZN7rocprim17ROCPRIM_400000_NS6detail17trampoline_kernelINS0_14default_configENS1_27scan_by_key_config_selectorIiiEEZZNS1_16scan_by_key_implILNS1_25lookback_scan_determinismE0ELb0ES3_N6thrust23THRUST_200600_302600_NS18transform_iteratorI9which_rowNS9_17counting_iteratorIiNS9_11use_defaultESD_SD_EESD_SD_EENS9_6detail15normal_iteratorINS9_10device_ptrIiEEEESK_iNS9_4plusIvEENS9_8equal_toIvEEiEE10hipError_tPvRmT2_T3_T4_T5_mT6_T7_P12ihipStream_tbENKUlT_T0_E_clISt17integral_constantIbLb1EES14_IbLb0EEEEDaS10_S11_EUlS10_E_NS1_11comp_targetILNS1_3genE3ELNS1_11target_archE908ELNS1_3gpuE7ELNS1_3repE0EEENS1_30default_config_static_selectorELNS0_4arch9wavefront6targetE0EEEvT1_
	.p2align	8
	.type	_ZN7rocprim17ROCPRIM_400000_NS6detail17trampoline_kernelINS0_14default_configENS1_27scan_by_key_config_selectorIiiEEZZNS1_16scan_by_key_implILNS1_25lookback_scan_determinismE0ELb0ES3_N6thrust23THRUST_200600_302600_NS18transform_iteratorI9which_rowNS9_17counting_iteratorIiNS9_11use_defaultESD_SD_EESD_SD_EENS9_6detail15normal_iteratorINS9_10device_ptrIiEEEESK_iNS9_4plusIvEENS9_8equal_toIvEEiEE10hipError_tPvRmT2_T3_T4_T5_mT6_T7_P12ihipStream_tbENKUlT_T0_E_clISt17integral_constantIbLb1EES14_IbLb0EEEEDaS10_S11_EUlS10_E_NS1_11comp_targetILNS1_3genE3ELNS1_11target_archE908ELNS1_3gpuE7ELNS1_3repE0EEENS1_30default_config_static_selectorELNS0_4arch9wavefront6targetE0EEEvT1_,@function
_ZN7rocprim17ROCPRIM_400000_NS6detail17trampoline_kernelINS0_14default_configENS1_27scan_by_key_config_selectorIiiEEZZNS1_16scan_by_key_implILNS1_25lookback_scan_determinismE0ELb0ES3_N6thrust23THRUST_200600_302600_NS18transform_iteratorI9which_rowNS9_17counting_iteratorIiNS9_11use_defaultESD_SD_EESD_SD_EENS9_6detail15normal_iteratorINS9_10device_ptrIiEEEESK_iNS9_4plusIvEENS9_8equal_toIvEEiEE10hipError_tPvRmT2_T3_T4_T5_mT6_T7_P12ihipStream_tbENKUlT_T0_E_clISt17integral_constantIbLb1EES14_IbLb0EEEEDaS10_S11_EUlS10_E_NS1_11comp_targetILNS1_3genE3ELNS1_11target_archE908ELNS1_3gpuE7ELNS1_3repE0EEENS1_30default_config_static_selectorELNS0_4arch9wavefront6targetE0EEEvT1_: ; @_ZN7rocprim17ROCPRIM_400000_NS6detail17trampoline_kernelINS0_14default_configENS1_27scan_by_key_config_selectorIiiEEZZNS1_16scan_by_key_implILNS1_25lookback_scan_determinismE0ELb0ES3_N6thrust23THRUST_200600_302600_NS18transform_iteratorI9which_rowNS9_17counting_iteratorIiNS9_11use_defaultESD_SD_EESD_SD_EENS9_6detail15normal_iteratorINS9_10device_ptrIiEEEESK_iNS9_4plusIvEENS9_8equal_toIvEEiEE10hipError_tPvRmT2_T3_T4_T5_mT6_T7_P12ihipStream_tbENKUlT_T0_E_clISt17integral_constantIbLb1EES14_IbLb0EEEEDaS10_S11_EUlS10_E_NS1_11comp_targetILNS1_3genE3ELNS1_11target_archE908ELNS1_3gpuE7ELNS1_3repE0EEENS1_30default_config_static_selectorELNS0_4arch9wavefront6targetE0EEEvT1_
; %bb.0:
	.section	.rodata,"a",@progbits
	.p2align	6, 0x0
	.amdhsa_kernel _ZN7rocprim17ROCPRIM_400000_NS6detail17trampoline_kernelINS0_14default_configENS1_27scan_by_key_config_selectorIiiEEZZNS1_16scan_by_key_implILNS1_25lookback_scan_determinismE0ELb0ES3_N6thrust23THRUST_200600_302600_NS18transform_iteratorI9which_rowNS9_17counting_iteratorIiNS9_11use_defaultESD_SD_EESD_SD_EENS9_6detail15normal_iteratorINS9_10device_ptrIiEEEESK_iNS9_4plusIvEENS9_8equal_toIvEEiEE10hipError_tPvRmT2_T3_T4_T5_mT6_T7_P12ihipStream_tbENKUlT_T0_E_clISt17integral_constantIbLb1EES14_IbLb0EEEEDaS10_S11_EUlS10_E_NS1_11comp_targetILNS1_3genE3ELNS1_11target_archE908ELNS1_3gpuE7ELNS1_3repE0EEENS1_30default_config_static_selectorELNS0_4arch9wavefront6targetE0EEEvT1_
		.amdhsa_group_segment_fixed_size 0
		.amdhsa_private_segment_fixed_size 0
		.amdhsa_kernarg_size 112
		.amdhsa_user_sgpr_count 2
		.amdhsa_user_sgpr_dispatch_ptr 0
		.amdhsa_user_sgpr_queue_ptr 0
		.amdhsa_user_sgpr_kernarg_segment_ptr 1
		.amdhsa_user_sgpr_dispatch_id 0
		.amdhsa_user_sgpr_kernarg_preload_length 0
		.amdhsa_user_sgpr_kernarg_preload_offset 0
		.amdhsa_user_sgpr_private_segment_size 0
		.amdhsa_wavefront_size32 1
		.amdhsa_uses_dynamic_stack 0
		.amdhsa_enable_private_segment 0
		.amdhsa_system_sgpr_workgroup_id_x 1
		.amdhsa_system_sgpr_workgroup_id_y 0
		.amdhsa_system_sgpr_workgroup_id_z 0
		.amdhsa_system_sgpr_workgroup_info 0
		.amdhsa_system_vgpr_workitem_id 0
		.amdhsa_next_free_vgpr 1
		.amdhsa_next_free_sgpr 1
		.amdhsa_named_barrier_count 0
		.amdhsa_reserve_vcc 0
		.amdhsa_float_round_mode_32 0
		.amdhsa_float_round_mode_16_64 0
		.amdhsa_float_denorm_mode_32 3
		.amdhsa_float_denorm_mode_16_64 3
		.amdhsa_fp16_overflow 0
		.amdhsa_memory_ordered 1
		.amdhsa_forward_progress 1
		.amdhsa_inst_pref_size 0
		.amdhsa_round_robin_scheduling 0
		.amdhsa_exception_fp_ieee_invalid_op 0
		.amdhsa_exception_fp_denorm_src 0
		.amdhsa_exception_fp_ieee_div_zero 0
		.amdhsa_exception_fp_ieee_overflow 0
		.amdhsa_exception_fp_ieee_underflow 0
		.amdhsa_exception_fp_ieee_inexact 0
		.amdhsa_exception_int_div_zero 0
	.end_amdhsa_kernel
	.section	.text._ZN7rocprim17ROCPRIM_400000_NS6detail17trampoline_kernelINS0_14default_configENS1_27scan_by_key_config_selectorIiiEEZZNS1_16scan_by_key_implILNS1_25lookback_scan_determinismE0ELb0ES3_N6thrust23THRUST_200600_302600_NS18transform_iteratorI9which_rowNS9_17counting_iteratorIiNS9_11use_defaultESD_SD_EESD_SD_EENS9_6detail15normal_iteratorINS9_10device_ptrIiEEEESK_iNS9_4plusIvEENS9_8equal_toIvEEiEE10hipError_tPvRmT2_T3_T4_T5_mT6_T7_P12ihipStream_tbENKUlT_T0_E_clISt17integral_constantIbLb1EES14_IbLb0EEEEDaS10_S11_EUlS10_E_NS1_11comp_targetILNS1_3genE3ELNS1_11target_archE908ELNS1_3gpuE7ELNS1_3repE0EEENS1_30default_config_static_selectorELNS0_4arch9wavefront6targetE0EEEvT1_,"axG",@progbits,_ZN7rocprim17ROCPRIM_400000_NS6detail17trampoline_kernelINS0_14default_configENS1_27scan_by_key_config_selectorIiiEEZZNS1_16scan_by_key_implILNS1_25lookback_scan_determinismE0ELb0ES3_N6thrust23THRUST_200600_302600_NS18transform_iteratorI9which_rowNS9_17counting_iteratorIiNS9_11use_defaultESD_SD_EESD_SD_EENS9_6detail15normal_iteratorINS9_10device_ptrIiEEEESK_iNS9_4plusIvEENS9_8equal_toIvEEiEE10hipError_tPvRmT2_T3_T4_T5_mT6_T7_P12ihipStream_tbENKUlT_T0_E_clISt17integral_constantIbLb1EES14_IbLb0EEEEDaS10_S11_EUlS10_E_NS1_11comp_targetILNS1_3genE3ELNS1_11target_archE908ELNS1_3gpuE7ELNS1_3repE0EEENS1_30default_config_static_selectorELNS0_4arch9wavefront6targetE0EEEvT1_,comdat
.Lfunc_end112:
	.size	_ZN7rocprim17ROCPRIM_400000_NS6detail17trampoline_kernelINS0_14default_configENS1_27scan_by_key_config_selectorIiiEEZZNS1_16scan_by_key_implILNS1_25lookback_scan_determinismE0ELb0ES3_N6thrust23THRUST_200600_302600_NS18transform_iteratorI9which_rowNS9_17counting_iteratorIiNS9_11use_defaultESD_SD_EESD_SD_EENS9_6detail15normal_iteratorINS9_10device_ptrIiEEEESK_iNS9_4plusIvEENS9_8equal_toIvEEiEE10hipError_tPvRmT2_T3_T4_T5_mT6_T7_P12ihipStream_tbENKUlT_T0_E_clISt17integral_constantIbLb1EES14_IbLb0EEEEDaS10_S11_EUlS10_E_NS1_11comp_targetILNS1_3genE3ELNS1_11target_archE908ELNS1_3gpuE7ELNS1_3repE0EEENS1_30default_config_static_selectorELNS0_4arch9wavefront6targetE0EEEvT1_, .Lfunc_end112-_ZN7rocprim17ROCPRIM_400000_NS6detail17trampoline_kernelINS0_14default_configENS1_27scan_by_key_config_selectorIiiEEZZNS1_16scan_by_key_implILNS1_25lookback_scan_determinismE0ELb0ES3_N6thrust23THRUST_200600_302600_NS18transform_iteratorI9which_rowNS9_17counting_iteratorIiNS9_11use_defaultESD_SD_EESD_SD_EENS9_6detail15normal_iteratorINS9_10device_ptrIiEEEESK_iNS9_4plusIvEENS9_8equal_toIvEEiEE10hipError_tPvRmT2_T3_T4_T5_mT6_T7_P12ihipStream_tbENKUlT_T0_E_clISt17integral_constantIbLb1EES14_IbLb0EEEEDaS10_S11_EUlS10_E_NS1_11comp_targetILNS1_3genE3ELNS1_11target_archE908ELNS1_3gpuE7ELNS1_3repE0EEENS1_30default_config_static_selectorELNS0_4arch9wavefront6targetE0EEEvT1_
                                        ; -- End function
	.set _ZN7rocprim17ROCPRIM_400000_NS6detail17trampoline_kernelINS0_14default_configENS1_27scan_by_key_config_selectorIiiEEZZNS1_16scan_by_key_implILNS1_25lookback_scan_determinismE0ELb0ES3_N6thrust23THRUST_200600_302600_NS18transform_iteratorI9which_rowNS9_17counting_iteratorIiNS9_11use_defaultESD_SD_EESD_SD_EENS9_6detail15normal_iteratorINS9_10device_ptrIiEEEESK_iNS9_4plusIvEENS9_8equal_toIvEEiEE10hipError_tPvRmT2_T3_T4_T5_mT6_T7_P12ihipStream_tbENKUlT_T0_E_clISt17integral_constantIbLb1EES14_IbLb0EEEEDaS10_S11_EUlS10_E_NS1_11comp_targetILNS1_3genE3ELNS1_11target_archE908ELNS1_3gpuE7ELNS1_3repE0EEENS1_30default_config_static_selectorELNS0_4arch9wavefront6targetE0EEEvT1_.num_vgpr, 0
	.set _ZN7rocprim17ROCPRIM_400000_NS6detail17trampoline_kernelINS0_14default_configENS1_27scan_by_key_config_selectorIiiEEZZNS1_16scan_by_key_implILNS1_25lookback_scan_determinismE0ELb0ES3_N6thrust23THRUST_200600_302600_NS18transform_iteratorI9which_rowNS9_17counting_iteratorIiNS9_11use_defaultESD_SD_EESD_SD_EENS9_6detail15normal_iteratorINS9_10device_ptrIiEEEESK_iNS9_4plusIvEENS9_8equal_toIvEEiEE10hipError_tPvRmT2_T3_T4_T5_mT6_T7_P12ihipStream_tbENKUlT_T0_E_clISt17integral_constantIbLb1EES14_IbLb0EEEEDaS10_S11_EUlS10_E_NS1_11comp_targetILNS1_3genE3ELNS1_11target_archE908ELNS1_3gpuE7ELNS1_3repE0EEENS1_30default_config_static_selectorELNS0_4arch9wavefront6targetE0EEEvT1_.num_agpr, 0
	.set _ZN7rocprim17ROCPRIM_400000_NS6detail17trampoline_kernelINS0_14default_configENS1_27scan_by_key_config_selectorIiiEEZZNS1_16scan_by_key_implILNS1_25lookback_scan_determinismE0ELb0ES3_N6thrust23THRUST_200600_302600_NS18transform_iteratorI9which_rowNS9_17counting_iteratorIiNS9_11use_defaultESD_SD_EESD_SD_EENS9_6detail15normal_iteratorINS9_10device_ptrIiEEEESK_iNS9_4plusIvEENS9_8equal_toIvEEiEE10hipError_tPvRmT2_T3_T4_T5_mT6_T7_P12ihipStream_tbENKUlT_T0_E_clISt17integral_constantIbLb1EES14_IbLb0EEEEDaS10_S11_EUlS10_E_NS1_11comp_targetILNS1_3genE3ELNS1_11target_archE908ELNS1_3gpuE7ELNS1_3repE0EEENS1_30default_config_static_selectorELNS0_4arch9wavefront6targetE0EEEvT1_.numbered_sgpr, 0
	.set _ZN7rocprim17ROCPRIM_400000_NS6detail17trampoline_kernelINS0_14default_configENS1_27scan_by_key_config_selectorIiiEEZZNS1_16scan_by_key_implILNS1_25lookback_scan_determinismE0ELb0ES3_N6thrust23THRUST_200600_302600_NS18transform_iteratorI9which_rowNS9_17counting_iteratorIiNS9_11use_defaultESD_SD_EESD_SD_EENS9_6detail15normal_iteratorINS9_10device_ptrIiEEEESK_iNS9_4plusIvEENS9_8equal_toIvEEiEE10hipError_tPvRmT2_T3_T4_T5_mT6_T7_P12ihipStream_tbENKUlT_T0_E_clISt17integral_constantIbLb1EES14_IbLb0EEEEDaS10_S11_EUlS10_E_NS1_11comp_targetILNS1_3genE3ELNS1_11target_archE908ELNS1_3gpuE7ELNS1_3repE0EEENS1_30default_config_static_selectorELNS0_4arch9wavefront6targetE0EEEvT1_.num_named_barrier, 0
	.set _ZN7rocprim17ROCPRIM_400000_NS6detail17trampoline_kernelINS0_14default_configENS1_27scan_by_key_config_selectorIiiEEZZNS1_16scan_by_key_implILNS1_25lookback_scan_determinismE0ELb0ES3_N6thrust23THRUST_200600_302600_NS18transform_iteratorI9which_rowNS9_17counting_iteratorIiNS9_11use_defaultESD_SD_EESD_SD_EENS9_6detail15normal_iteratorINS9_10device_ptrIiEEEESK_iNS9_4plusIvEENS9_8equal_toIvEEiEE10hipError_tPvRmT2_T3_T4_T5_mT6_T7_P12ihipStream_tbENKUlT_T0_E_clISt17integral_constantIbLb1EES14_IbLb0EEEEDaS10_S11_EUlS10_E_NS1_11comp_targetILNS1_3genE3ELNS1_11target_archE908ELNS1_3gpuE7ELNS1_3repE0EEENS1_30default_config_static_selectorELNS0_4arch9wavefront6targetE0EEEvT1_.private_seg_size, 0
	.set _ZN7rocprim17ROCPRIM_400000_NS6detail17trampoline_kernelINS0_14default_configENS1_27scan_by_key_config_selectorIiiEEZZNS1_16scan_by_key_implILNS1_25lookback_scan_determinismE0ELb0ES3_N6thrust23THRUST_200600_302600_NS18transform_iteratorI9which_rowNS9_17counting_iteratorIiNS9_11use_defaultESD_SD_EESD_SD_EENS9_6detail15normal_iteratorINS9_10device_ptrIiEEEESK_iNS9_4plusIvEENS9_8equal_toIvEEiEE10hipError_tPvRmT2_T3_T4_T5_mT6_T7_P12ihipStream_tbENKUlT_T0_E_clISt17integral_constantIbLb1EES14_IbLb0EEEEDaS10_S11_EUlS10_E_NS1_11comp_targetILNS1_3genE3ELNS1_11target_archE908ELNS1_3gpuE7ELNS1_3repE0EEENS1_30default_config_static_selectorELNS0_4arch9wavefront6targetE0EEEvT1_.uses_vcc, 0
	.set _ZN7rocprim17ROCPRIM_400000_NS6detail17trampoline_kernelINS0_14default_configENS1_27scan_by_key_config_selectorIiiEEZZNS1_16scan_by_key_implILNS1_25lookback_scan_determinismE0ELb0ES3_N6thrust23THRUST_200600_302600_NS18transform_iteratorI9which_rowNS9_17counting_iteratorIiNS9_11use_defaultESD_SD_EESD_SD_EENS9_6detail15normal_iteratorINS9_10device_ptrIiEEEESK_iNS9_4plusIvEENS9_8equal_toIvEEiEE10hipError_tPvRmT2_T3_T4_T5_mT6_T7_P12ihipStream_tbENKUlT_T0_E_clISt17integral_constantIbLb1EES14_IbLb0EEEEDaS10_S11_EUlS10_E_NS1_11comp_targetILNS1_3genE3ELNS1_11target_archE908ELNS1_3gpuE7ELNS1_3repE0EEENS1_30default_config_static_selectorELNS0_4arch9wavefront6targetE0EEEvT1_.uses_flat_scratch, 0
	.set _ZN7rocprim17ROCPRIM_400000_NS6detail17trampoline_kernelINS0_14default_configENS1_27scan_by_key_config_selectorIiiEEZZNS1_16scan_by_key_implILNS1_25lookback_scan_determinismE0ELb0ES3_N6thrust23THRUST_200600_302600_NS18transform_iteratorI9which_rowNS9_17counting_iteratorIiNS9_11use_defaultESD_SD_EESD_SD_EENS9_6detail15normal_iteratorINS9_10device_ptrIiEEEESK_iNS9_4plusIvEENS9_8equal_toIvEEiEE10hipError_tPvRmT2_T3_T4_T5_mT6_T7_P12ihipStream_tbENKUlT_T0_E_clISt17integral_constantIbLb1EES14_IbLb0EEEEDaS10_S11_EUlS10_E_NS1_11comp_targetILNS1_3genE3ELNS1_11target_archE908ELNS1_3gpuE7ELNS1_3repE0EEENS1_30default_config_static_selectorELNS0_4arch9wavefront6targetE0EEEvT1_.has_dyn_sized_stack, 0
	.set _ZN7rocprim17ROCPRIM_400000_NS6detail17trampoline_kernelINS0_14default_configENS1_27scan_by_key_config_selectorIiiEEZZNS1_16scan_by_key_implILNS1_25lookback_scan_determinismE0ELb0ES3_N6thrust23THRUST_200600_302600_NS18transform_iteratorI9which_rowNS9_17counting_iteratorIiNS9_11use_defaultESD_SD_EESD_SD_EENS9_6detail15normal_iteratorINS9_10device_ptrIiEEEESK_iNS9_4plusIvEENS9_8equal_toIvEEiEE10hipError_tPvRmT2_T3_T4_T5_mT6_T7_P12ihipStream_tbENKUlT_T0_E_clISt17integral_constantIbLb1EES14_IbLb0EEEEDaS10_S11_EUlS10_E_NS1_11comp_targetILNS1_3genE3ELNS1_11target_archE908ELNS1_3gpuE7ELNS1_3repE0EEENS1_30default_config_static_selectorELNS0_4arch9wavefront6targetE0EEEvT1_.has_recursion, 0
	.set _ZN7rocprim17ROCPRIM_400000_NS6detail17trampoline_kernelINS0_14default_configENS1_27scan_by_key_config_selectorIiiEEZZNS1_16scan_by_key_implILNS1_25lookback_scan_determinismE0ELb0ES3_N6thrust23THRUST_200600_302600_NS18transform_iteratorI9which_rowNS9_17counting_iteratorIiNS9_11use_defaultESD_SD_EESD_SD_EENS9_6detail15normal_iteratorINS9_10device_ptrIiEEEESK_iNS9_4plusIvEENS9_8equal_toIvEEiEE10hipError_tPvRmT2_T3_T4_T5_mT6_T7_P12ihipStream_tbENKUlT_T0_E_clISt17integral_constantIbLb1EES14_IbLb0EEEEDaS10_S11_EUlS10_E_NS1_11comp_targetILNS1_3genE3ELNS1_11target_archE908ELNS1_3gpuE7ELNS1_3repE0EEENS1_30default_config_static_selectorELNS0_4arch9wavefront6targetE0EEEvT1_.has_indirect_call, 0
	.section	.AMDGPU.csdata,"",@progbits
; Kernel info:
; codeLenInByte = 0
; TotalNumSgprs: 0
; NumVgprs: 0
; ScratchSize: 0
; MemoryBound: 0
; FloatMode: 240
; IeeeMode: 1
; LDSByteSize: 0 bytes/workgroup (compile time only)
; SGPRBlocks: 0
; VGPRBlocks: 0
; NumSGPRsForWavesPerEU: 1
; NumVGPRsForWavesPerEU: 1
; NamedBarCnt: 0
; Occupancy: 16
; WaveLimiterHint : 0
; COMPUTE_PGM_RSRC2:SCRATCH_EN: 0
; COMPUTE_PGM_RSRC2:USER_SGPR: 2
; COMPUTE_PGM_RSRC2:TRAP_HANDLER: 0
; COMPUTE_PGM_RSRC2:TGID_X_EN: 1
; COMPUTE_PGM_RSRC2:TGID_Y_EN: 0
; COMPUTE_PGM_RSRC2:TGID_Z_EN: 0
; COMPUTE_PGM_RSRC2:TIDIG_COMP_CNT: 0
	.section	.text._ZN7rocprim17ROCPRIM_400000_NS6detail17trampoline_kernelINS0_14default_configENS1_27scan_by_key_config_selectorIiiEEZZNS1_16scan_by_key_implILNS1_25lookback_scan_determinismE0ELb0ES3_N6thrust23THRUST_200600_302600_NS18transform_iteratorI9which_rowNS9_17counting_iteratorIiNS9_11use_defaultESD_SD_EESD_SD_EENS9_6detail15normal_iteratorINS9_10device_ptrIiEEEESK_iNS9_4plusIvEENS9_8equal_toIvEEiEE10hipError_tPvRmT2_T3_T4_T5_mT6_T7_P12ihipStream_tbENKUlT_T0_E_clISt17integral_constantIbLb1EES14_IbLb0EEEEDaS10_S11_EUlS10_E_NS1_11comp_targetILNS1_3genE2ELNS1_11target_archE906ELNS1_3gpuE6ELNS1_3repE0EEENS1_30default_config_static_selectorELNS0_4arch9wavefront6targetE0EEEvT1_,"axG",@progbits,_ZN7rocprim17ROCPRIM_400000_NS6detail17trampoline_kernelINS0_14default_configENS1_27scan_by_key_config_selectorIiiEEZZNS1_16scan_by_key_implILNS1_25lookback_scan_determinismE0ELb0ES3_N6thrust23THRUST_200600_302600_NS18transform_iteratorI9which_rowNS9_17counting_iteratorIiNS9_11use_defaultESD_SD_EESD_SD_EENS9_6detail15normal_iteratorINS9_10device_ptrIiEEEESK_iNS9_4plusIvEENS9_8equal_toIvEEiEE10hipError_tPvRmT2_T3_T4_T5_mT6_T7_P12ihipStream_tbENKUlT_T0_E_clISt17integral_constantIbLb1EES14_IbLb0EEEEDaS10_S11_EUlS10_E_NS1_11comp_targetILNS1_3genE2ELNS1_11target_archE906ELNS1_3gpuE6ELNS1_3repE0EEENS1_30default_config_static_selectorELNS0_4arch9wavefront6targetE0EEEvT1_,comdat
	.protected	_ZN7rocprim17ROCPRIM_400000_NS6detail17trampoline_kernelINS0_14default_configENS1_27scan_by_key_config_selectorIiiEEZZNS1_16scan_by_key_implILNS1_25lookback_scan_determinismE0ELb0ES3_N6thrust23THRUST_200600_302600_NS18transform_iteratorI9which_rowNS9_17counting_iteratorIiNS9_11use_defaultESD_SD_EESD_SD_EENS9_6detail15normal_iteratorINS9_10device_ptrIiEEEESK_iNS9_4plusIvEENS9_8equal_toIvEEiEE10hipError_tPvRmT2_T3_T4_T5_mT6_T7_P12ihipStream_tbENKUlT_T0_E_clISt17integral_constantIbLb1EES14_IbLb0EEEEDaS10_S11_EUlS10_E_NS1_11comp_targetILNS1_3genE2ELNS1_11target_archE906ELNS1_3gpuE6ELNS1_3repE0EEENS1_30default_config_static_selectorELNS0_4arch9wavefront6targetE0EEEvT1_ ; -- Begin function _ZN7rocprim17ROCPRIM_400000_NS6detail17trampoline_kernelINS0_14default_configENS1_27scan_by_key_config_selectorIiiEEZZNS1_16scan_by_key_implILNS1_25lookback_scan_determinismE0ELb0ES3_N6thrust23THRUST_200600_302600_NS18transform_iteratorI9which_rowNS9_17counting_iteratorIiNS9_11use_defaultESD_SD_EESD_SD_EENS9_6detail15normal_iteratorINS9_10device_ptrIiEEEESK_iNS9_4plusIvEENS9_8equal_toIvEEiEE10hipError_tPvRmT2_T3_T4_T5_mT6_T7_P12ihipStream_tbENKUlT_T0_E_clISt17integral_constantIbLb1EES14_IbLb0EEEEDaS10_S11_EUlS10_E_NS1_11comp_targetILNS1_3genE2ELNS1_11target_archE906ELNS1_3gpuE6ELNS1_3repE0EEENS1_30default_config_static_selectorELNS0_4arch9wavefront6targetE0EEEvT1_
	.globl	_ZN7rocprim17ROCPRIM_400000_NS6detail17trampoline_kernelINS0_14default_configENS1_27scan_by_key_config_selectorIiiEEZZNS1_16scan_by_key_implILNS1_25lookback_scan_determinismE0ELb0ES3_N6thrust23THRUST_200600_302600_NS18transform_iteratorI9which_rowNS9_17counting_iteratorIiNS9_11use_defaultESD_SD_EESD_SD_EENS9_6detail15normal_iteratorINS9_10device_ptrIiEEEESK_iNS9_4plusIvEENS9_8equal_toIvEEiEE10hipError_tPvRmT2_T3_T4_T5_mT6_T7_P12ihipStream_tbENKUlT_T0_E_clISt17integral_constantIbLb1EES14_IbLb0EEEEDaS10_S11_EUlS10_E_NS1_11comp_targetILNS1_3genE2ELNS1_11target_archE906ELNS1_3gpuE6ELNS1_3repE0EEENS1_30default_config_static_selectorELNS0_4arch9wavefront6targetE0EEEvT1_
	.p2align	8
	.type	_ZN7rocprim17ROCPRIM_400000_NS6detail17trampoline_kernelINS0_14default_configENS1_27scan_by_key_config_selectorIiiEEZZNS1_16scan_by_key_implILNS1_25lookback_scan_determinismE0ELb0ES3_N6thrust23THRUST_200600_302600_NS18transform_iteratorI9which_rowNS9_17counting_iteratorIiNS9_11use_defaultESD_SD_EESD_SD_EENS9_6detail15normal_iteratorINS9_10device_ptrIiEEEESK_iNS9_4plusIvEENS9_8equal_toIvEEiEE10hipError_tPvRmT2_T3_T4_T5_mT6_T7_P12ihipStream_tbENKUlT_T0_E_clISt17integral_constantIbLb1EES14_IbLb0EEEEDaS10_S11_EUlS10_E_NS1_11comp_targetILNS1_3genE2ELNS1_11target_archE906ELNS1_3gpuE6ELNS1_3repE0EEENS1_30default_config_static_selectorELNS0_4arch9wavefront6targetE0EEEvT1_,@function
_ZN7rocprim17ROCPRIM_400000_NS6detail17trampoline_kernelINS0_14default_configENS1_27scan_by_key_config_selectorIiiEEZZNS1_16scan_by_key_implILNS1_25lookback_scan_determinismE0ELb0ES3_N6thrust23THRUST_200600_302600_NS18transform_iteratorI9which_rowNS9_17counting_iteratorIiNS9_11use_defaultESD_SD_EESD_SD_EENS9_6detail15normal_iteratorINS9_10device_ptrIiEEEESK_iNS9_4plusIvEENS9_8equal_toIvEEiEE10hipError_tPvRmT2_T3_T4_T5_mT6_T7_P12ihipStream_tbENKUlT_T0_E_clISt17integral_constantIbLb1EES14_IbLb0EEEEDaS10_S11_EUlS10_E_NS1_11comp_targetILNS1_3genE2ELNS1_11target_archE906ELNS1_3gpuE6ELNS1_3repE0EEENS1_30default_config_static_selectorELNS0_4arch9wavefront6targetE0EEEvT1_: ; @_ZN7rocprim17ROCPRIM_400000_NS6detail17trampoline_kernelINS0_14default_configENS1_27scan_by_key_config_selectorIiiEEZZNS1_16scan_by_key_implILNS1_25lookback_scan_determinismE0ELb0ES3_N6thrust23THRUST_200600_302600_NS18transform_iteratorI9which_rowNS9_17counting_iteratorIiNS9_11use_defaultESD_SD_EESD_SD_EENS9_6detail15normal_iteratorINS9_10device_ptrIiEEEESK_iNS9_4plusIvEENS9_8equal_toIvEEiEE10hipError_tPvRmT2_T3_T4_T5_mT6_T7_P12ihipStream_tbENKUlT_T0_E_clISt17integral_constantIbLb1EES14_IbLb0EEEEDaS10_S11_EUlS10_E_NS1_11comp_targetILNS1_3genE2ELNS1_11target_archE906ELNS1_3gpuE6ELNS1_3repE0EEENS1_30default_config_static_selectorELNS0_4arch9wavefront6targetE0EEEvT1_
; %bb.0:
	.section	.rodata,"a",@progbits
	.p2align	6, 0x0
	.amdhsa_kernel _ZN7rocprim17ROCPRIM_400000_NS6detail17trampoline_kernelINS0_14default_configENS1_27scan_by_key_config_selectorIiiEEZZNS1_16scan_by_key_implILNS1_25lookback_scan_determinismE0ELb0ES3_N6thrust23THRUST_200600_302600_NS18transform_iteratorI9which_rowNS9_17counting_iteratorIiNS9_11use_defaultESD_SD_EESD_SD_EENS9_6detail15normal_iteratorINS9_10device_ptrIiEEEESK_iNS9_4plusIvEENS9_8equal_toIvEEiEE10hipError_tPvRmT2_T3_T4_T5_mT6_T7_P12ihipStream_tbENKUlT_T0_E_clISt17integral_constantIbLb1EES14_IbLb0EEEEDaS10_S11_EUlS10_E_NS1_11comp_targetILNS1_3genE2ELNS1_11target_archE906ELNS1_3gpuE6ELNS1_3repE0EEENS1_30default_config_static_selectorELNS0_4arch9wavefront6targetE0EEEvT1_
		.amdhsa_group_segment_fixed_size 0
		.amdhsa_private_segment_fixed_size 0
		.amdhsa_kernarg_size 112
		.amdhsa_user_sgpr_count 2
		.amdhsa_user_sgpr_dispatch_ptr 0
		.amdhsa_user_sgpr_queue_ptr 0
		.amdhsa_user_sgpr_kernarg_segment_ptr 1
		.amdhsa_user_sgpr_dispatch_id 0
		.amdhsa_user_sgpr_kernarg_preload_length 0
		.amdhsa_user_sgpr_kernarg_preload_offset 0
		.amdhsa_user_sgpr_private_segment_size 0
		.amdhsa_wavefront_size32 1
		.amdhsa_uses_dynamic_stack 0
		.amdhsa_enable_private_segment 0
		.amdhsa_system_sgpr_workgroup_id_x 1
		.amdhsa_system_sgpr_workgroup_id_y 0
		.amdhsa_system_sgpr_workgroup_id_z 0
		.amdhsa_system_sgpr_workgroup_info 0
		.amdhsa_system_vgpr_workitem_id 0
		.amdhsa_next_free_vgpr 1
		.amdhsa_next_free_sgpr 1
		.amdhsa_named_barrier_count 0
		.amdhsa_reserve_vcc 0
		.amdhsa_float_round_mode_32 0
		.amdhsa_float_round_mode_16_64 0
		.amdhsa_float_denorm_mode_32 3
		.amdhsa_float_denorm_mode_16_64 3
		.amdhsa_fp16_overflow 0
		.amdhsa_memory_ordered 1
		.amdhsa_forward_progress 1
		.amdhsa_inst_pref_size 0
		.amdhsa_round_robin_scheduling 0
		.amdhsa_exception_fp_ieee_invalid_op 0
		.amdhsa_exception_fp_denorm_src 0
		.amdhsa_exception_fp_ieee_div_zero 0
		.amdhsa_exception_fp_ieee_overflow 0
		.amdhsa_exception_fp_ieee_underflow 0
		.amdhsa_exception_fp_ieee_inexact 0
		.amdhsa_exception_int_div_zero 0
	.end_amdhsa_kernel
	.section	.text._ZN7rocprim17ROCPRIM_400000_NS6detail17trampoline_kernelINS0_14default_configENS1_27scan_by_key_config_selectorIiiEEZZNS1_16scan_by_key_implILNS1_25lookback_scan_determinismE0ELb0ES3_N6thrust23THRUST_200600_302600_NS18transform_iteratorI9which_rowNS9_17counting_iteratorIiNS9_11use_defaultESD_SD_EESD_SD_EENS9_6detail15normal_iteratorINS9_10device_ptrIiEEEESK_iNS9_4plusIvEENS9_8equal_toIvEEiEE10hipError_tPvRmT2_T3_T4_T5_mT6_T7_P12ihipStream_tbENKUlT_T0_E_clISt17integral_constantIbLb1EES14_IbLb0EEEEDaS10_S11_EUlS10_E_NS1_11comp_targetILNS1_3genE2ELNS1_11target_archE906ELNS1_3gpuE6ELNS1_3repE0EEENS1_30default_config_static_selectorELNS0_4arch9wavefront6targetE0EEEvT1_,"axG",@progbits,_ZN7rocprim17ROCPRIM_400000_NS6detail17trampoline_kernelINS0_14default_configENS1_27scan_by_key_config_selectorIiiEEZZNS1_16scan_by_key_implILNS1_25lookback_scan_determinismE0ELb0ES3_N6thrust23THRUST_200600_302600_NS18transform_iteratorI9which_rowNS9_17counting_iteratorIiNS9_11use_defaultESD_SD_EESD_SD_EENS9_6detail15normal_iteratorINS9_10device_ptrIiEEEESK_iNS9_4plusIvEENS9_8equal_toIvEEiEE10hipError_tPvRmT2_T3_T4_T5_mT6_T7_P12ihipStream_tbENKUlT_T0_E_clISt17integral_constantIbLb1EES14_IbLb0EEEEDaS10_S11_EUlS10_E_NS1_11comp_targetILNS1_3genE2ELNS1_11target_archE906ELNS1_3gpuE6ELNS1_3repE0EEENS1_30default_config_static_selectorELNS0_4arch9wavefront6targetE0EEEvT1_,comdat
.Lfunc_end113:
	.size	_ZN7rocprim17ROCPRIM_400000_NS6detail17trampoline_kernelINS0_14default_configENS1_27scan_by_key_config_selectorIiiEEZZNS1_16scan_by_key_implILNS1_25lookback_scan_determinismE0ELb0ES3_N6thrust23THRUST_200600_302600_NS18transform_iteratorI9which_rowNS9_17counting_iteratorIiNS9_11use_defaultESD_SD_EESD_SD_EENS9_6detail15normal_iteratorINS9_10device_ptrIiEEEESK_iNS9_4plusIvEENS9_8equal_toIvEEiEE10hipError_tPvRmT2_T3_T4_T5_mT6_T7_P12ihipStream_tbENKUlT_T0_E_clISt17integral_constantIbLb1EES14_IbLb0EEEEDaS10_S11_EUlS10_E_NS1_11comp_targetILNS1_3genE2ELNS1_11target_archE906ELNS1_3gpuE6ELNS1_3repE0EEENS1_30default_config_static_selectorELNS0_4arch9wavefront6targetE0EEEvT1_, .Lfunc_end113-_ZN7rocprim17ROCPRIM_400000_NS6detail17trampoline_kernelINS0_14default_configENS1_27scan_by_key_config_selectorIiiEEZZNS1_16scan_by_key_implILNS1_25lookback_scan_determinismE0ELb0ES3_N6thrust23THRUST_200600_302600_NS18transform_iteratorI9which_rowNS9_17counting_iteratorIiNS9_11use_defaultESD_SD_EESD_SD_EENS9_6detail15normal_iteratorINS9_10device_ptrIiEEEESK_iNS9_4plusIvEENS9_8equal_toIvEEiEE10hipError_tPvRmT2_T3_T4_T5_mT6_T7_P12ihipStream_tbENKUlT_T0_E_clISt17integral_constantIbLb1EES14_IbLb0EEEEDaS10_S11_EUlS10_E_NS1_11comp_targetILNS1_3genE2ELNS1_11target_archE906ELNS1_3gpuE6ELNS1_3repE0EEENS1_30default_config_static_selectorELNS0_4arch9wavefront6targetE0EEEvT1_
                                        ; -- End function
	.set _ZN7rocprim17ROCPRIM_400000_NS6detail17trampoline_kernelINS0_14default_configENS1_27scan_by_key_config_selectorIiiEEZZNS1_16scan_by_key_implILNS1_25lookback_scan_determinismE0ELb0ES3_N6thrust23THRUST_200600_302600_NS18transform_iteratorI9which_rowNS9_17counting_iteratorIiNS9_11use_defaultESD_SD_EESD_SD_EENS9_6detail15normal_iteratorINS9_10device_ptrIiEEEESK_iNS9_4plusIvEENS9_8equal_toIvEEiEE10hipError_tPvRmT2_T3_T4_T5_mT6_T7_P12ihipStream_tbENKUlT_T0_E_clISt17integral_constantIbLb1EES14_IbLb0EEEEDaS10_S11_EUlS10_E_NS1_11comp_targetILNS1_3genE2ELNS1_11target_archE906ELNS1_3gpuE6ELNS1_3repE0EEENS1_30default_config_static_selectorELNS0_4arch9wavefront6targetE0EEEvT1_.num_vgpr, 0
	.set _ZN7rocprim17ROCPRIM_400000_NS6detail17trampoline_kernelINS0_14default_configENS1_27scan_by_key_config_selectorIiiEEZZNS1_16scan_by_key_implILNS1_25lookback_scan_determinismE0ELb0ES3_N6thrust23THRUST_200600_302600_NS18transform_iteratorI9which_rowNS9_17counting_iteratorIiNS9_11use_defaultESD_SD_EESD_SD_EENS9_6detail15normal_iteratorINS9_10device_ptrIiEEEESK_iNS9_4plusIvEENS9_8equal_toIvEEiEE10hipError_tPvRmT2_T3_T4_T5_mT6_T7_P12ihipStream_tbENKUlT_T0_E_clISt17integral_constantIbLb1EES14_IbLb0EEEEDaS10_S11_EUlS10_E_NS1_11comp_targetILNS1_3genE2ELNS1_11target_archE906ELNS1_3gpuE6ELNS1_3repE0EEENS1_30default_config_static_selectorELNS0_4arch9wavefront6targetE0EEEvT1_.num_agpr, 0
	.set _ZN7rocprim17ROCPRIM_400000_NS6detail17trampoline_kernelINS0_14default_configENS1_27scan_by_key_config_selectorIiiEEZZNS1_16scan_by_key_implILNS1_25lookback_scan_determinismE0ELb0ES3_N6thrust23THRUST_200600_302600_NS18transform_iteratorI9which_rowNS9_17counting_iteratorIiNS9_11use_defaultESD_SD_EESD_SD_EENS9_6detail15normal_iteratorINS9_10device_ptrIiEEEESK_iNS9_4plusIvEENS9_8equal_toIvEEiEE10hipError_tPvRmT2_T3_T4_T5_mT6_T7_P12ihipStream_tbENKUlT_T0_E_clISt17integral_constantIbLb1EES14_IbLb0EEEEDaS10_S11_EUlS10_E_NS1_11comp_targetILNS1_3genE2ELNS1_11target_archE906ELNS1_3gpuE6ELNS1_3repE0EEENS1_30default_config_static_selectorELNS0_4arch9wavefront6targetE0EEEvT1_.numbered_sgpr, 0
	.set _ZN7rocprim17ROCPRIM_400000_NS6detail17trampoline_kernelINS0_14default_configENS1_27scan_by_key_config_selectorIiiEEZZNS1_16scan_by_key_implILNS1_25lookback_scan_determinismE0ELb0ES3_N6thrust23THRUST_200600_302600_NS18transform_iteratorI9which_rowNS9_17counting_iteratorIiNS9_11use_defaultESD_SD_EESD_SD_EENS9_6detail15normal_iteratorINS9_10device_ptrIiEEEESK_iNS9_4plusIvEENS9_8equal_toIvEEiEE10hipError_tPvRmT2_T3_T4_T5_mT6_T7_P12ihipStream_tbENKUlT_T0_E_clISt17integral_constantIbLb1EES14_IbLb0EEEEDaS10_S11_EUlS10_E_NS1_11comp_targetILNS1_3genE2ELNS1_11target_archE906ELNS1_3gpuE6ELNS1_3repE0EEENS1_30default_config_static_selectorELNS0_4arch9wavefront6targetE0EEEvT1_.num_named_barrier, 0
	.set _ZN7rocprim17ROCPRIM_400000_NS6detail17trampoline_kernelINS0_14default_configENS1_27scan_by_key_config_selectorIiiEEZZNS1_16scan_by_key_implILNS1_25lookback_scan_determinismE0ELb0ES3_N6thrust23THRUST_200600_302600_NS18transform_iteratorI9which_rowNS9_17counting_iteratorIiNS9_11use_defaultESD_SD_EESD_SD_EENS9_6detail15normal_iteratorINS9_10device_ptrIiEEEESK_iNS9_4plusIvEENS9_8equal_toIvEEiEE10hipError_tPvRmT2_T3_T4_T5_mT6_T7_P12ihipStream_tbENKUlT_T0_E_clISt17integral_constantIbLb1EES14_IbLb0EEEEDaS10_S11_EUlS10_E_NS1_11comp_targetILNS1_3genE2ELNS1_11target_archE906ELNS1_3gpuE6ELNS1_3repE0EEENS1_30default_config_static_selectorELNS0_4arch9wavefront6targetE0EEEvT1_.private_seg_size, 0
	.set _ZN7rocprim17ROCPRIM_400000_NS6detail17trampoline_kernelINS0_14default_configENS1_27scan_by_key_config_selectorIiiEEZZNS1_16scan_by_key_implILNS1_25lookback_scan_determinismE0ELb0ES3_N6thrust23THRUST_200600_302600_NS18transform_iteratorI9which_rowNS9_17counting_iteratorIiNS9_11use_defaultESD_SD_EESD_SD_EENS9_6detail15normal_iteratorINS9_10device_ptrIiEEEESK_iNS9_4plusIvEENS9_8equal_toIvEEiEE10hipError_tPvRmT2_T3_T4_T5_mT6_T7_P12ihipStream_tbENKUlT_T0_E_clISt17integral_constantIbLb1EES14_IbLb0EEEEDaS10_S11_EUlS10_E_NS1_11comp_targetILNS1_3genE2ELNS1_11target_archE906ELNS1_3gpuE6ELNS1_3repE0EEENS1_30default_config_static_selectorELNS0_4arch9wavefront6targetE0EEEvT1_.uses_vcc, 0
	.set _ZN7rocprim17ROCPRIM_400000_NS6detail17trampoline_kernelINS0_14default_configENS1_27scan_by_key_config_selectorIiiEEZZNS1_16scan_by_key_implILNS1_25lookback_scan_determinismE0ELb0ES3_N6thrust23THRUST_200600_302600_NS18transform_iteratorI9which_rowNS9_17counting_iteratorIiNS9_11use_defaultESD_SD_EESD_SD_EENS9_6detail15normal_iteratorINS9_10device_ptrIiEEEESK_iNS9_4plusIvEENS9_8equal_toIvEEiEE10hipError_tPvRmT2_T3_T4_T5_mT6_T7_P12ihipStream_tbENKUlT_T0_E_clISt17integral_constantIbLb1EES14_IbLb0EEEEDaS10_S11_EUlS10_E_NS1_11comp_targetILNS1_3genE2ELNS1_11target_archE906ELNS1_3gpuE6ELNS1_3repE0EEENS1_30default_config_static_selectorELNS0_4arch9wavefront6targetE0EEEvT1_.uses_flat_scratch, 0
	.set _ZN7rocprim17ROCPRIM_400000_NS6detail17trampoline_kernelINS0_14default_configENS1_27scan_by_key_config_selectorIiiEEZZNS1_16scan_by_key_implILNS1_25lookback_scan_determinismE0ELb0ES3_N6thrust23THRUST_200600_302600_NS18transform_iteratorI9which_rowNS9_17counting_iteratorIiNS9_11use_defaultESD_SD_EESD_SD_EENS9_6detail15normal_iteratorINS9_10device_ptrIiEEEESK_iNS9_4plusIvEENS9_8equal_toIvEEiEE10hipError_tPvRmT2_T3_T4_T5_mT6_T7_P12ihipStream_tbENKUlT_T0_E_clISt17integral_constantIbLb1EES14_IbLb0EEEEDaS10_S11_EUlS10_E_NS1_11comp_targetILNS1_3genE2ELNS1_11target_archE906ELNS1_3gpuE6ELNS1_3repE0EEENS1_30default_config_static_selectorELNS0_4arch9wavefront6targetE0EEEvT1_.has_dyn_sized_stack, 0
	.set _ZN7rocprim17ROCPRIM_400000_NS6detail17trampoline_kernelINS0_14default_configENS1_27scan_by_key_config_selectorIiiEEZZNS1_16scan_by_key_implILNS1_25lookback_scan_determinismE0ELb0ES3_N6thrust23THRUST_200600_302600_NS18transform_iteratorI9which_rowNS9_17counting_iteratorIiNS9_11use_defaultESD_SD_EESD_SD_EENS9_6detail15normal_iteratorINS9_10device_ptrIiEEEESK_iNS9_4plusIvEENS9_8equal_toIvEEiEE10hipError_tPvRmT2_T3_T4_T5_mT6_T7_P12ihipStream_tbENKUlT_T0_E_clISt17integral_constantIbLb1EES14_IbLb0EEEEDaS10_S11_EUlS10_E_NS1_11comp_targetILNS1_3genE2ELNS1_11target_archE906ELNS1_3gpuE6ELNS1_3repE0EEENS1_30default_config_static_selectorELNS0_4arch9wavefront6targetE0EEEvT1_.has_recursion, 0
	.set _ZN7rocprim17ROCPRIM_400000_NS6detail17trampoline_kernelINS0_14default_configENS1_27scan_by_key_config_selectorIiiEEZZNS1_16scan_by_key_implILNS1_25lookback_scan_determinismE0ELb0ES3_N6thrust23THRUST_200600_302600_NS18transform_iteratorI9which_rowNS9_17counting_iteratorIiNS9_11use_defaultESD_SD_EESD_SD_EENS9_6detail15normal_iteratorINS9_10device_ptrIiEEEESK_iNS9_4plusIvEENS9_8equal_toIvEEiEE10hipError_tPvRmT2_T3_T4_T5_mT6_T7_P12ihipStream_tbENKUlT_T0_E_clISt17integral_constantIbLb1EES14_IbLb0EEEEDaS10_S11_EUlS10_E_NS1_11comp_targetILNS1_3genE2ELNS1_11target_archE906ELNS1_3gpuE6ELNS1_3repE0EEENS1_30default_config_static_selectorELNS0_4arch9wavefront6targetE0EEEvT1_.has_indirect_call, 0
	.section	.AMDGPU.csdata,"",@progbits
; Kernel info:
; codeLenInByte = 0
; TotalNumSgprs: 0
; NumVgprs: 0
; ScratchSize: 0
; MemoryBound: 0
; FloatMode: 240
; IeeeMode: 1
; LDSByteSize: 0 bytes/workgroup (compile time only)
; SGPRBlocks: 0
; VGPRBlocks: 0
; NumSGPRsForWavesPerEU: 1
; NumVGPRsForWavesPerEU: 1
; NamedBarCnt: 0
; Occupancy: 16
; WaveLimiterHint : 0
; COMPUTE_PGM_RSRC2:SCRATCH_EN: 0
; COMPUTE_PGM_RSRC2:USER_SGPR: 2
; COMPUTE_PGM_RSRC2:TRAP_HANDLER: 0
; COMPUTE_PGM_RSRC2:TGID_X_EN: 1
; COMPUTE_PGM_RSRC2:TGID_Y_EN: 0
; COMPUTE_PGM_RSRC2:TGID_Z_EN: 0
; COMPUTE_PGM_RSRC2:TIDIG_COMP_CNT: 0
	.section	.text._ZN7rocprim17ROCPRIM_400000_NS6detail17trampoline_kernelINS0_14default_configENS1_27scan_by_key_config_selectorIiiEEZZNS1_16scan_by_key_implILNS1_25lookback_scan_determinismE0ELb0ES3_N6thrust23THRUST_200600_302600_NS18transform_iteratorI9which_rowNS9_17counting_iteratorIiNS9_11use_defaultESD_SD_EESD_SD_EENS9_6detail15normal_iteratorINS9_10device_ptrIiEEEESK_iNS9_4plusIvEENS9_8equal_toIvEEiEE10hipError_tPvRmT2_T3_T4_T5_mT6_T7_P12ihipStream_tbENKUlT_T0_E_clISt17integral_constantIbLb1EES14_IbLb0EEEEDaS10_S11_EUlS10_E_NS1_11comp_targetILNS1_3genE10ELNS1_11target_archE1200ELNS1_3gpuE4ELNS1_3repE0EEENS1_30default_config_static_selectorELNS0_4arch9wavefront6targetE0EEEvT1_,"axG",@progbits,_ZN7rocprim17ROCPRIM_400000_NS6detail17trampoline_kernelINS0_14default_configENS1_27scan_by_key_config_selectorIiiEEZZNS1_16scan_by_key_implILNS1_25lookback_scan_determinismE0ELb0ES3_N6thrust23THRUST_200600_302600_NS18transform_iteratorI9which_rowNS9_17counting_iteratorIiNS9_11use_defaultESD_SD_EESD_SD_EENS9_6detail15normal_iteratorINS9_10device_ptrIiEEEESK_iNS9_4plusIvEENS9_8equal_toIvEEiEE10hipError_tPvRmT2_T3_T4_T5_mT6_T7_P12ihipStream_tbENKUlT_T0_E_clISt17integral_constantIbLb1EES14_IbLb0EEEEDaS10_S11_EUlS10_E_NS1_11comp_targetILNS1_3genE10ELNS1_11target_archE1200ELNS1_3gpuE4ELNS1_3repE0EEENS1_30default_config_static_selectorELNS0_4arch9wavefront6targetE0EEEvT1_,comdat
	.protected	_ZN7rocprim17ROCPRIM_400000_NS6detail17trampoline_kernelINS0_14default_configENS1_27scan_by_key_config_selectorIiiEEZZNS1_16scan_by_key_implILNS1_25lookback_scan_determinismE0ELb0ES3_N6thrust23THRUST_200600_302600_NS18transform_iteratorI9which_rowNS9_17counting_iteratorIiNS9_11use_defaultESD_SD_EESD_SD_EENS9_6detail15normal_iteratorINS9_10device_ptrIiEEEESK_iNS9_4plusIvEENS9_8equal_toIvEEiEE10hipError_tPvRmT2_T3_T4_T5_mT6_T7_P12ihipStream_tbENKUlT_T0_E_clISt17integral_constantIbLb1EES14_IbLb0EEEEDaS10_S11_EUlS10_E_NS1_11comp_targetILNS1_3genE10ELNS1_11target_archE1200ELNS1_3gpuE4ELNS1_3repE0EEENS1_30default_config_static_selectorELNS0_4arch9wavefront6targetE0EEEvT1_ ; -- Begin function _ZN7rocprim17ROCPRIM_400000_NS6detail17trampoline_kernelINS0_14default_configENS1_27scan_by_key_config_selectorIiiEEZZNS1_16scan_by_key_implILNS1_25lookback_scan_determinismE0ELb0ES3_N6thrust23THRUST_200600_302600_NS18transform_iteratorI9which_rowNS9_17counting_iteratorIiNS9_11use_defaultESD_SD_EESD_SD_EENS9_6detail15normal_iteratorINS9_10device_ptrIiEEEESK_iNS9_4plusIvEENS9_8equal_toIvEEiEE10hipError_tPvRmT2_T3_T4_T5_mT6_T7_P12ihipStream_tbENKUlT_T0_E_clISt17integral_constantIbLb1EES14_IbLb0EEEEDaS10_S11_EUlS10_E_NS1_11comp_targetILNS1_3genE10ELNS1_11target_archE1200ELNS1_3gpuE4ELNS1_3repE0EEENS1_30default_config_static_selectorELNS0_4arch9wavefront6targetE0EEEvT1_
	.globl	_ZN7rocprim17ROCPRIM_400000_NS6detail17trampoline_kernelINS0_14default_configENS1_27scan_by_key_config_selectorIiiEEZZNS1_16scan_by_key_implILNS1_25lookback_scan_determinismE0ELb0ES3_N6thrust23THRUST_200600_302600_NS18transform_iteratorI9which_rowNS9_17counting_iteratorIiNS9_11use_defaultESD_SD_EESD_SD_EENS9_6detail15normal_iteratorINS9_10device_ptrIiEEEESK_iNS9_4plusIvEENS9_8equal_toIvEEiEE10hipError_tPvRmT2_T3_T4_T5_mT6_T7_P12ihipStream_tbENKUlT_T0_E_clISt17integral_constantIbLb1EES14_IbLb0EEEEDaS10_S11_EUlS10_E_NS1_11comp_targetILNS1_3genE10ELNS1_11target_archE1200ELNS1_3gpuE4ELNS1_3repE0EEENS1_30default_config_static_selectorELNS0_4arch9wavefront6targetE0EEEvT1_
	.p2align	8
	.type	_ZN7rocprim17ROCPRIM_400000_NS6detail17trampoline_kernelINS0_14default_configENS1_27scan_by_key_config_selectorIiiEEZZNS1_16scan_by_key_implILNS1_25lookback_scan_determinismE0ELb0ES3_N6thrust23THRUST_200600_302600_NS18transform_iteratorI9which_rowNS9_17counting_iteratorIiNS9_11use_defaultESD_SD_EESD_SD_EENS9_6detail15normal_iteratorINS9_10device_ptrIiEEEESK_iNS9_4plusIvEENS9_8equal_toIvEEiEE10hipError_tPvRmT2_T3_T4_T5_mT6_T7_P12ihipStream_tbENKUlT_T0_E_clISt17integral_constantIbLb1EES14_IbLb0EEEEDaS10_S11_EUlS10_E_NS1_11comp_targetILNS1_3genE10ELNS1_11target_archE1200ELNS1_3gpuE4ELNS1_3repE0EEENS1_30default_config_static_selectorELNS0_4arch9wavefront6targetE0EEEvT1_,@function
_ZN7rocprim17ROCPRIM_400000_NS6detail17trampoline_kernelINS0_14default_configENS1_27scan_by_key_config_selectorIiiEEZZNS1_16scan_by_key_implILNS1_25lookback_scan_determinismE0ELb0ES3_N6thrust23THRUST_200600_302600_NS18transform_iteratorI9which_rowNS9_17counting_iteratorIiNS9_11use_defaultESD_SD_EESD_SD_EENS9_6detail15normal_iteratorINS9_10device_ptrIiEEEESK_iNS9_4plusIvEENS9_8equal_toIvEEiEE10hipError_tPvRmT2_T3_T4_T5_mT6_T7_P12ihipStream_tbENKUlT_T0_E_clISt17integral_constantIbLb1EES14_IbLb0EEEEDaS10_S11_EUlS10_E_NS1_11comp_targetILNS1_3genE10ELNS1_11target_archE1200ELNS1_3gpuE4ELNS1_3repE0EEENS1_30default_config_static_selectorELNS0_4arch9wavefront6targetE0EEEvT1_: ; @_ZN7rocprim17ROCPRIM_400000_NS6detail17trampoline_kernelINS0_14default_configENS1_27scan_by_key_config_selectorIiiEEZZNS1_16scan_by_key_implILNS1_25lookback_scan_determinismE0ELb0ES3_N6thrust23THRUST_200600_302600_NS18transform_iteratorI9which_rowNS9_17counting_iteratorIiNS9_11use_defaultESD_SD_EESD_SD_EENS9_6detail15normal_iteratorINS9_10device_ptrIiEEEESK_iNS9_4plusIvEENS9_8equal_toIvEEiEE10hipError_tPvRmT2_T3_T4_T5_mT6_T7_P12ihipStream_tbENKUlT_T0_E_clISt17integral_constantIbLb1EES14_IbLb0EEEEDaS10_S11_EUlS10_E_NS1_11comp_targetILNS1_3genE10ELNS1_11target_archE1200ELNS1_3gpuE4ELNS1_3repE0EEENS1_30default_config_static_selectorELNS0_4arch9wavefront6targetE0EEEvT1_
; %bb.0:
	.section	.rodata,"a",@progbits
	.p2align	6, 0x0
	.amdhsa_kernel _ZN7rocprim17ROCPRIM_400000_NS6detail17trampoline_kernelINS0_14default_configENS1_27scan_by_key_config_selectorIiiEEZZNS1_16scan_by_key_implILNS1_25lookback_scan_determinismE0ELb0ES3_N6thrust23THRUST_200600_302600_NS18transform_iteratorI9which_rowNS9_17counting_iteratorIiNS9_11use_defaultESD_SD_EESD_SD_EENS9_6detail15normal_iteratorINS9_10device_ptrIiEEEESK_iNS9_4plusIvEENS9_8equal_toIvEEiEE10hipError_tPvRmT2_T3_T4_T5_mT6_T7_P12ihipStream_tbENKUlT_T0_E_clISt17integral_constantIbLb1EES14_IbLb0EEEEDaS10_S11_EUlS10_E_NS1_11comp_targetILNS1_3genE10ELNS1_11target_archE1200ELNS1_3gpuE4ELNS1_3repE0EEENS1_30default_config_static_selectorELNS0_4arch9wavefront6targetE0EEEvT1_
		.amdhsa_group_segment_fixed_size 0
		.amdhsa_private_segment_fixed_size 0
		.amdhsa_kernarg_size 112
		.amdhsa_user_sgpr_count 2
		.amdhsa_user_sgpr_dispatch_ptr 0
		.amdhsa_user_sgpr_queue_ptr 0
		.amdhsa_user_sgpr_kernarg_segment_ptr 1
		.amdhsa_user_sgpr_dispatch_id 0
		.amdhsa_user_sgpr_kernarg_preload_length 0
		.amdhsa_user_sgpr_kernarg_preload_offset 0
		.amdhsa_user_sgpr_private_segment_size 0
		.amdhsa_wavefront_size32 1
		.amdhsa_uses_dynamic_stack 0
		.amdhsa_enable_private_segment 0
		.amdhsa_system_sgpr_workgroup_id_x 1
		.amdhsa_system_sgpr_workgroup_id_y 0
		.amdhsa_system_sgpr_workgroup_id_z 0
		.amdhsa_system_sgpr_workgroup_info 0
		.amdhsa_system_vgpr_workitem_id 0
		.amdhsa_next_free_vgpr 1
		.amdhsa_next_free_sgpr 1
		.amdhsa_named_barrier_count 0
		.amdhsa_reserve_vcc 0
		.amdhsa_float_round_mode_32 0
		.amdhsa_float_round_mode_16_64 0
		.amdhsa_float_denorm_mode_32 3
		.amdhsa_float_denorm_mode_16_64 3
		.amdhsa_fp16_overflow 0
		.amdhsa_memory_ordered 1
		.amdhsa_forward_progress 1
		.amdhsa_inst_pref_size 0
		.amdhsa_round_robin_scheduling 0
		.amdhsa_exception_fp_ieee_invalid_op 0
		.amdhsa_exception_fp_denorm_src 0
		.amdhsa_exception_fp_ieee_div_zero 0
		.amdhsa_exception_fp_ieee_overflow 0
		.amdhsa_exception_fp_ieee_underflow 0
		.amdhsa_exception_fp_ieee_inexact 0
		.amdhsa_exception_int_div_zero 0
	.end_amdhsa_kernel
	.section	.text._ZN7rocprim17ROCPRIM_400000_NS6detail17trampoline_kernelINS0_14default_configENS1_27scan_by_key_config_selectorIiiEEZZNS1_16scan_by_key_implILNS1_25lookback_scan_determinismE0ELb0ES3_N6thrust23THRUST_200600_302600_NS18transform_iteratorI9which_rowNS9_17counting_iteratorIiNS9_11use_defaultESD_SD_EESD_SD_EENS9_6detail15normal_iteratorINS9_10device_ptrIiEEEESK_iNS9_4plusIvEENS9_8equal_toIvEEiEE10hipError_tPvRmT2_T3_T4_T5_mT6_T7_P12ihipStream_tbENKUlT_T0_E_clISt17integral_constantIbLb1EES14_IbLb0EEEEDaS10_S11_EUlS10_E_NS1_11comp_targetILNS1_3genE10ELNS1_11target_archE1200ELNS1_3gpuE4ELNS1_3repE0EEENS1_30default_config_static_selectorELNS0_4arch9wavefront6targetE0EEEvT1_,"axG",@progbits,_ZN7rocprim17ROCPRIM_400000_NS6detail17trampoline_kernelINS0_14default_configENS1_27scan_by_key_config_selectorIiiEEZZNS1_16scan_by_key_implILNS1_25lookback_scan_determinismE0ELb0ES3_N6thrust23THRUST_200600_302600_NS18transform_iteratorI9which_rowNS9_17counting_iteratorIiNS9_11use_defaultESD_SD_EESD_SD_EENS9_6detail15normal_iteratorINS9_10device_ptrIiEEEESK_iNS9_4plusIvEENS9_8equal_toIvEEiEE10hipError_tPvRmT2_T3_T4_T5_mT6_T7_P12ihipStream_tbENKUlT_T0_E_clISt17integral_constantIbLb1EES14_IbLb0EEEEDaS10_S11_EUlS10_E_NS1_11comp_targetILNS1_3genE10ELNS1_11target_archE1200ELNS1_3gpuE4ELNS1_3repE0EEENS1_30default_config_static_selectorELNS0_4arch9wavefront6targetE0EEEvT1_,comdat
.Lfunc_end114:
	.size	_ZN7rocprim17ROCPRIM_400000_NS6detail17trampoline_kernelINS0_14default_configENS1_27scan_by_key_config_selectorIiiEEZZNS1_16scan_by_key_implILNS1_25lookback_scan_determinismE0ELb0ES3_N6thrust23THRUST_200600_302600_NS18transform_iteratorI9which_rowNS9_17counting_iteratorIiNS9_11use_defaultESD_SD_EESD_SD_EENS9_6detail15normal_iteratorINS9_10device_ptrIiEEEESK_iNS9_4plusIvEENS9_8equal_toIvEEiEE10hipError_tPvRmT2_T3_T4_T5_mT6_T7_P12ihipStream_tbENKUlT_T0_E_clISt17integral_constantIbLb1EES14_IbLb0EEEEDaS10_S11_EUlS10_E_NS1_11comp_targetILNS1_3genE10ELNS1_11target_archE1200ELNS1_3gpuE4ELNS1_3repE0EEENS1_30default_config_static_selectorELNS0_4arch9wavefront6targetE0EEEvT1_, .Lfunc_end114-_ZN7rocprim17ROCPRIM_400000_NS6detail17trampoline_kernelINS0_14default_configENS1_27scan_by_key_config_selectorIiiEEZZNS1_16scan_by_key_implILNS1_25lookback_scan_determinismE0ELb0ES3_N6thrust23THRUST_200600_302600_NS18transform_iteratorI9which_rowNS9_17counting_iteratorIiNS9_11use_defaultESD_SD_EESD_SD_EENS9_6detail15normal_iteratorINS9_10device_ptrIiEEEESK_iNS9_4plusIvEENS9_8equal_toIvEEiEE10hipError_tPvRmT2_T3_T4_T5_mT6_T7_P12ihipStream_tbENKUlT_T0_E_clISt17integral_constantIbLb1EES14_IbLb0EEEEDaS10_S11_EUlS10_E_NS1_11comp_targetILNS1_3genE10ELNS1_11target_archE1200ELNS1_3gpuE4ELNS1_3repE0EEENS1_30default_config_static_selectorELNS0_4arch9wavefront6targetE0EEEvT1_
                                        ; -- End function
	.set _ZN7rocprim17ROCPRIM_400000_NS6detail17trampoline_kernelINS0_14default_configENS1_27scan_by_key_config_selectorIiiEEZZNS1_16scan_by_key_implILNS1_25lookback_scan_determinismE0ELb0ES3_N6thrust23THRUST_200600_302600_NS18transform_iteratorI9which_rowNS9_17counting_iteratorIiNS9_11use_defaultESD_SD_EESD_SD_EENS9_6detail15normal_iteratorINS9_10device_ptrIiEEEESK_iNS9_4plusIvEENS9_8equal_toIvEEiEE10hipError_tPvRmT2_T3_T4_T5_mT6_T7_P12ihipStream_tbENKUlT_T0_E_clISt17integral_constantIbLb1EES14_IbLb0EEEEDaS10_S11_EUlS10_E_NS1_11comp_targetILNS1_3genE10ELNS1_11target_archE1200ELNS1_3gpuE4ELNS1_3repE0EEENS1_30default_config_static_selectorELNS0_4arch9wavefront6targetE0EEEvT1_.num_vgpr, 0
	.set _ZN7rocprim17ROCPRIM_400000_NS6detail17trampoline_kernelINS0_14default_configENS1_27scan_by_key_config_selectorIiiEEZZNS1_16scan_by_key_implILNS1_25lookback_scan_determinismE0ELb0ES3_N6thrust23THRUST_200600_302600_NS18transform_iteratorI9which_rowNS9_17counting_iteratorIiNS9_11use_defaultESD_SD_EESD_SD_EENS9_6detail15normal_iteratorINS9_10device_ptrIiEEEESK_iNS9_4plusIvEENS9_8equal_toIvEEiEE10hipError_tPvRmT2_T3_T4_T5_mT6_T7_P12ihipStream_tbENKUlT_T0_E_clISt17integral_constantIbLb1EES14_IbLb0EEEEDaS10_S11_EUlS10_E_NS1_11comp_targetILNS1_3genE10ELNS1_11target_archE1200ELNS1_3gpuE4ELNS1_3repE0EEENS1_30default_config_static_selectorELNS0_4arch9wavefront6targetE0EEEvT1_.num_agpr, 0
	.set _ZN7rocprim17ROCPRIM_400000_NS6detail17trampoline_kernelINS0_14default_configENS1_27scan_by_key_config_selectorIiiEEZZNS1_16scan_by_key_implILNS1_25lookback_scan_determinismE0ELb0ES3_N6thrust23THRUST_200600_302600_NS18transform_iteratorI9which_rowNS9_17counting_iteratorIiNS9_11use_defaultESD_SD_EESD_SD_EENS9_6detail15normal_iteratorINS9_10device_ptrIiEEEESK_iNS9_4plusIvEENS9_8equal_toIvEEiEE10hipError_tPvRmT2_T3_T4_T5_mT6_T7_P12ihipStream_tbENKUlT_T0_E_clISt17integral_constantIbLb1EES14_IbLb0EEEEDaS10_S11_EUlS10_E_NS1_11comp_targetILNS1_3genE10ELNS1_11target_archE1200ELNS1_3gpuE4ELNS1_3repE0EEENS1_30default_config_static_selectorELNS0_4arch9wavefront6targetE0EEEvT1_.numbered_sgpr, 0
	.set _ZN7rocprim17ROCPRIM_400000_NS6detail17trampoline_kernelINS0_14default_configENS1_27scan_by_key_config_selectorIiiEEZZNS1_16scan_by_key_implILNS1_25lookback_scan_determinismE0ELb0ES3_N6thrust23THRUST_200600_302600_NS18transform_iteratorI9which_rowNS9_17counting_iteratorIiNS9_11use_defaultESD_SD_EESD_SD_EENS9_6detail15normal_iteratorINS9_10device_ptrIiEEEESK_iNS9_4plusIvEENS9_8equal_toIvEEiEE10hipError_tPvRmT2_T3_T4_T5_mT6_T7_P12ihipStream_tbENKUlT_T0_E_clISt17integral_constantIbLb1EES14_IbLb0EEEEDaS10_S11_EUlS10_E_NS1_11comp_targetILNS1_3genE10ELNS1_11target_archE1200ELNS1_3gpuE4ELNS1_3repE0EEENS1_30default_config_static_selectorELNS0_4arch9wavefront6targetE0EEEvT1_.num_named_barrier, 0
	.set _ZN7rocprim17ROCPRIM_400000_NS6detail17trampoline_kernelINS0_14default_configENS1_27scan_by_key_config_selectorIiiEEZZNS1_16scan_by_key_implILNS1_25lookback_scan_determinismE0ELb0ES3_N6thrust23THRUST_200600_302600_NS18transform_iteratorI9which_rowNS9_17counting_iteratorIiNS9_11use_defaultESD_SD_EESD_SD_EENS9_6detail15normal_iteratorINS9_10device_ptrIiEEEESK_iNS9_4plusIvEENS9_8equal_toIvEEiEE10hipError_tPvRmT2_T3_T4_T5_mT6_T7_P12ihipStream_tbENKUlT_T0_E_clISt17integral_constantIbLb1EES14_IbLb0EEEEDaS10_S11_EUlS10_E_NS1_11comp_targetILNS1_3genE10ELNS1_11target_archE1200ELNS1_3gpuE4ELNS1_3repE0EEENS1_30default_config_static_selectorELNS0_4arch9wavefront6targetE0EEEvT1_.private_seg_size, 0
	.set _ZN7rocprim17ROCPRIM_400000_NS6detail17trampoline_kernelINS0_14default_configENS1_27scan_by_key_config_selectorIiiEEZZNS1_16scan_by_key_implILNS1_25lookback_scan_determinismE0ELb0ES3_N6thrust23THRUST_200600_302600_NS18transform_iteratorI9which_rowNS9_17counting_iteratorIiNS9_11use_defaultESD_SD_EESD_SD_EENS9_6detail15normal_iteratorINS9_10device_ptrIiEEEESK_iNS9_4plusIvEENS9_8equal_toIvEEiEE10hipError_tPvRmT2_T3_T4_T5_mT6_T7_P12ihipStream_tbENKUlT_T0_E_clISt17integral_constantIbLb1EES14_IbLb0EEEEDaS10_S11_EUlS10_E_NS1_11comp_targetILNS1_3genE10ELNS1_11target_archE1200ELNS1_3gpuE4ELNS1_3repE0EEENS1_30default_config_static_selectorELNS0_4arch9wavefront6targetE0EEEvT1_.uses_vcc, 0
	.set _ZN7rocprim17ROCPRIM_400000_NS6detail17trampoline_kernelINS0_14default_configENS1_27scan_by_key_config_selectorIiiEEZZNS1_16scan_by_key_implILNS1_25lookback_scan_determinismE0ELb0ES3_N6thrust23THRUST_200600_302600_NS18transform_iteratorI9which_rowNS9_17counting_iteratorIiNS9_11use_defaultESD_SD_EESD_SD_EENS9_6detail15normal_iteratorINS9_10device_ptrIiEEEESK_iNS9_4plusIvEENS9_8equal_toIvEEiEE10hipError_tPvRmT2_T3_T4_T5_mT6_T7_P12ihipStream_tbENKUlT_T0_E_clISt17integral_constantIbLb1EES14_IbLb0EEEEDaS10_S11_EUlS10_E_NS1_11comp_targetILNS1_3genE10ELNS1_11target_archE1200ELNS1_3gpuE4ELNS1_3repE0EEENS1_30default_config_static_selectorELNS0_4arch9wavefront6targetE0EEEvT1_.uses_flat_scratch, 0
	.set _ZN7rocprim17ROCPRIM_400000_NS6detail17trampoline_kernelINS0_14default_configENS1_27scan_by_key_config_selectorIiiEEZZNS1_16scan_by_key_implILNS1_25lookback_scan_determinismE0ELb0ES3_N6thrust23THRUST_200600_302600_NS18transform_iteratorI9which_rowNS9_17counting_iteratorIiNS9_11use_defaultESD_SD_EESD_SD_EENS9_6detail15normal_iteratorINS9_10device_ptrIiEEEESK_iNS9_4plusIvEENS9_8equal_toIvEEiEE10hipError_tPvRmT2_T3_T4_T5_mT6_T7_P12ihipStream_tbENKUlT_T0_E_clISt17integral_constantIbLb1EES14_IbLb0EEEEDaS10_S11_EUlS10_E_NS1_11comp_targetILNS1_3genE10ELNS1_11target_archE1200ELNS1_3gpuE4ELNS1_3repE0EEENS1_30default_config_static_selectorELNS0_4arch9wavefront6targetE0EEEvT1_.has_dyn_sized_stack, 0
	.set _ZN7rocprim17ROCPRIM_400000_NS6detail17trampoline_kernelINS0_14default_configENS1_27scan_by_key_config_selectorIiiEEZZNS1_16scan_by_key_implILNS1_25lookback_scan_determinismE0ELb0ES3_N6thrust23THRUST_200600_302600_NS18transform_iteratorI9which_rowNS9_17counting_iteratorIiNS9_11use_defaultESD_SD_EESD_SD_EENS9_6detail15normal_iteratorINS9_10device_ptrIiEEEESK_iNS9_4plusIvEENS9_8equal_toIvEEiEE10hipError_tPvRmT2_T3_T4_T5_mT6_T7_P12ihipStream_tbENKUlT_T0_E_clISt17integral_constantIbLb1EES14_IbLb0EEEEDaS10_S11_EUlS10_E_NS1_11comp_targetILNS1_3genE10ELNS1_11target_archE1200ELNS1_3gpuE4ELNS1_3repE0EEENS1_30default_config_static_selectorELNS0_4arch9wavefront6targetE0EEEvT1_.has_recursion, 0
	.set _ZN7rocprim17ROCPRIM_400000_NS6detail17trampoline_kernelINS0_14default_configENS1_27scan_by_key_config_selectorIiiEEZZNS1_16scan_by_key_implILNS1_25lookback_scan_determinismE0ELb0ES3_N6thrust23THRUST_200600_302600_NS18transform_iteratorI9which_rowNS9_17counting_iteratorIiNS9_11use_defaultESD_SD_EESD_SD_EENS9_6detail15normal_iteratorINS9_10device_ptrIiEEEESK_iNS9_4plusIvEENS9_8equal_toIvEEiEE10hipError_tPvRmT2_T3_T4_T5_mT6_T7_P12ihipStream_tbENKUlT_T0_E_clISt17integral_constantIbLb1EES14_IbLb0EEEEDaS10_S11_EUlS10_E_NS1_11comp_targetILNS1_3genE10ELNS1_11target_archE1200ELNS1_3gpuE4ELNS1_3repE0EEENS1_30default_config_static_selectorELNS0_4arch9wavefront6targetE0EEEvT1_.has_indirect_call, 0
	.section	.AMDGPU.csdata,"",@progbits
; Kernel info:
; codeLenInByte = 0
; TotalNumSgprs: 0
; NumVgprs: 0
; ScratchSize: 0
; MemoryBound: 0
; FloatMode: 240
; IeeeMode: 1
; LDSByteSize: 0 bytes/workgroup (compile time only)
; SGPRBlocks: 0
; VGPRBlocks: 0
; NumSGPRsForWavesPerEU: 1
; NumVGPRsForWavesPerEU: 1
; NamedBarCnt: 0
; Occupancy: 16
; WaveLimiterHint : 0
; COMPUTE_PGM_RSRC2:SCRATCH_EN: 0
; COMPUTE_PGM_RSRC2:USER_SGPR: 2
; COMPUTE_PGM_RSRC2:TRAP_HANDLER: 0
; COMPUTE_PGM_RSRC2:TGID_X_EN: 1
; COMPUTE_PGM_RSRC2:TGID_Y_EN: 0
; COMPUTE_PGM_RSRC2:TGID_Z_EN: 0
; COMPUTE_PGM_RSRC2:TIDIG_COMP_CNT: 0
	.section	.text._ZN7rocprim17ROCPRIM_400000_NS6detail17trampoline_kernelINS0_14default_configENS1_27scan_by_key_config_selectorIiiEEZZNS1_16scan_by_key_implILNS1_25lookback_scan_determinismE0ELb0ES3_N6thrust23THRUST_200600_302600_NS18transform_iteratorI9which_rowNS9_17counting_iteratorIiNS9_11use_defaultESD_SD_EESD_SD_EENS9_6detail15normal_iteratorINS9_10device_ptrIiEEEESK_iNS9_4plusIvEENS9_8equal_toIvEEiEE10hipError_tPvRmT2_T3_T4_T5_mT6_T7_P12ihipStream_tbENKUlT_T0_E_clISt17integral_constantIbLb1EES14_IbLb0EEEEDaS10_S11_EUlS10_E_NS1_11comp_targetILNS1_3genE9ELNS1_11target_archE1100ELNS1_3gpuE3ELNS1_3repE0EEENS1_30default_config_static_selectorELNS0_4arch9wavefront6targetE0EEEvT1_,"axG",@progbits,_ZN7rocprim17ROCPRIM_400000_NS6detail17trampoline_kernelINS0_14default_configENS1_27scan_by_key_config_selectorIiiEEZZNS1_16scan_by_key_implILNS1_25lookback_scan_determinismE0ELb0ES3_N6thrust23THRUST_200600_302600_NS18transform_iteratorI9which_rowNS9_17counting_iteratorIiNS9_11use_defaultESD_SD_EESD_SD_EENS9_6detail15normal_iteratorINS9_10device_ptrIiEEEESK_iNS9_4plusIvEENS9_8equal_toIvEEiEE10hipError_tPvRmT2_T3_T4_T5_mT6_T7_P12ihipStream_tbENKUlT_T0_E_clISt17integral_constantIbLb1EES14_IbLb0EEEEDaS10_S11_EUlS10_E_NS1_11comp_targetILNS1_3genE9ELNS1_11target_archE1100ELNS1_3gpuE3ELNS1_3repE0EEENS1_30default_config_static_selectorELNS0_4arch9wavefront6targetE0EEEvT1_,comdat
	.protected	_ZN7rocprim17ROCPRIM_400000_NS6detail17trampoline_kernelINS0_14default_configENS1_27scan_by_key_config_selectorIiiEEZZNS1_16scan_by_key_implILNS1_25lookback_scan_determinismE0ELb0ES3_N6thrust23THRUST_200600_302600_NS18transform_iteratorI9which_rowNS9_17counting_iteratorIiNS9_11use_defaultESD_SD_EESD_SD_EENS9_6detail15normal_iteratorINS9_10device_ptrIiEEEESK_iNS9_4plusIvEENS9_8equal_toIvEEiEE10hipError_tPvRmT2_T3_T4_T5_mT6_T7_P12ihipStream_tbENKUlT_T0_E_clISt17integral_constantIbLb1EES14_IbLb0EEEEDaS10_S11_EUlS10_E_NS1_11comp_targetILNS1_3genE9ELNS1_11target_archE1100ELNS1_3gpuE3ELNS1_3repE0EEENS1_30default_config_static_selectorELNS0_4arch9wavefront6targetE0EEEvT1_ ; -- Begin function _ZN7rocprim17ROCPRIM_400000_NS6detail17trampoline_kernelINS0_14default_configENS1_27scan_by_key_config_selectorIiiEEZZNS1_16scan_by_key_implILNS1_25lookback_scan_determinismE0ELb0ES3_N6thrust23THRUST_200600_302600_NS18transform_iteratorI9which_rowNS9_17counting_iteratorIiNS9_11use_defaultESD_SD_EESD_SD_EENS9_6detail15normal_iteratorINS9_10device_ptrIiEEEESK_iNS9_4plusIvEENS9_8equal_toIvEEiEE10hipError_tPvRmT2_T3_T4_T5_mT6_T7_P12ihipStream_tbENKUlT_T0_E_clISt17integral_constantIbLb1EES14_IbLb0EEEEDaS10_S11_EUlS10_E_NS1_11comp_targetILNS1_3genE9ELNS1_11target_archE1100ELNS1_3gpuE3ELNS1_3repE0EEENS1_30default_config_static_selectorELNS0_4arch9wavefront6targetE0EEEvT1_
	.globl	_ZN7rocprim17ROCPRIM_400000_NS6detail17trampoline_kernelINS0_14default_configENS1_27scan_by_key_config_selectorIiiEEZZNS1_16scan_by_key_implILNS1_25lookback_scan_determinismE0ELb0ES3_N6thrust23THRUST_200600_302600_NS18transform_iteratorI9which_rowNS9_17counting_iteratorIiNS9_11use_defaultESD_SD_EESD_SD_EENS9_6detail15normal_iteratorINS9_10device_ptrIiEEEESK_iNS9_4plusIvEENS9_8equal_toIvEEiEE10hipError_tPvRmT2_T3_T4_T5_mT6_T7_P12ihipStream_tbENKUlT_T0_E_clISt17integral_constantIbLb1EES14_IbLb0EEEEDaS10_S11_EUlS10_E_NS1_11comp_targetILNS1_3genE9ELNS1_11target_archE1100ELNS1_3gpuE3ELNS1_3repE0EEENS1_30default_config_static_selectorELNS0_4arch9wavefront6targetE0EEEvT1_
	.p2align	8
	.type	_ZN7rocprim17ROCPRIM_400000_NS6detail17trampoline_kernelINS0_14default_configENS1_27scan_by_key_config_selectorIiiEEZZNS1_16scan_by_key_implILNS1_25lookback_scan_determinismE0ELb0ES3_N6thrust23THRUST_200600_302600_NS18transform_iteratorI9which_rowNS9_17counting_iteratorIiNS9_11use_defaultESD_SD_EESD_SD_EENS9_6detail15normal_iteratorINS9_10device_ptrIiEEEESK_iNS9_4plusIvEENS9_8equal_toIvEEiEE10hipError_tPvRmT2_T3_T4_T5_mT6_T7_P12ihipStream_tbENKUlT_T0_E_clISt17integral_constantIbLb1EES14_IbLb0EEEEDaS10_S11_EUlS10_E_NS1_11comp_targetILNS1_3genE9ELNS1_11target_archE1100ELNS1_3gpuE3ELNS1_3repE0EEENS1_30default_config_static_selectorELNS0_4arch9wavefront6targetE0EEEvT1_,@function
_ZN7rocprim17ROCPRIM_400000_NS6detail17trampoline_kernelINS0_14default_configENS1_27scan_by_key_config_selectorIiiEEZZNS1_16scan_by_key_implILNS1_25lookback_scan_determinismE0ELb0ES3_N6thrust23THRUST_200600_302600_NS18transform_iteratorI9which_rowNS9_17counting_iteratorIiNS9_11use_defaultESD_SD_EESD_SD_EENS9_6detail15normal_iteratorINS9_10device_ptrIiEEEESK_iNS9_4plusIvEENS9_8equal_toIvEEiEE10hipError_tPvRmT2_T3_T4_T5_mT6_T7_P12ihipStream_tbENKUlT_T0_E_clISt17integral_constantIbLb1EES14_IbLb0EEEEDaS10_S11_EUlS10_E_NS1_11comp_targetILNS1_3genE9ELNS1_11target_archE1100ELNS1_3gpuE3ELNS1_3repE0EEENS1_30default_config_static_selectorELNS0_4arch9wavefront6targetE0EEEvT1_: ; @_ZN7rocprim17ROCPRIM_400000_NS6detail17trampoline_kernelINS0_14default_configENS1_27scan_by_key_config_selectorIiiEEZZNS1_16scan_by_key_implILNS1_25lookback_scan_determinismE0ELb0ES3_N6thrust23THRUST_200600_302600_NS18transform_iteratorI9which_rowNS9_17counting_iteratorIiNS9_11use_defaultESD_SD_EESD_SD_EENS9_6detail15normal_iteratorINS9_10device_ptrIiEEEESK_iNS9_4plusIvEENS9_8equal_toIvEEiEE10hipError_tPvRmT2_T3_T4_T5_mT6_T7_P12ihipStream_tbENKUlT_T0_E_clISt17integral_constantIbLb1EES14_IbLb0EEEEDaS10_S11_EUlS10_E_NS1_11comp_targetILNS1_3genE9ELNS1_11target_archE1100ELNS1_3gpuE3ELNS1_3repE0EEENS1_30default_config_static_selectorELNS0_4arch9wavefront6targetE0EEEvT1_
; %bb.0:
	.section	.rodata,"a",@progbits
	.p2align	6, 0x0
	.amdhsa_kernel _ZN7rocprim17ROCPRIM_400000_NS6detail17trampoline_kernelINS0_14default_configENS1_27scan_by_key_config_selectorIiiEEZZNS1_16scan_by_key_implILNS1_25lookback_scan_determinismE0ELb0ES3_N6thrust23THRUST_200600_302600_NS18transform_iteratorI9which_rowNS9_17counting_iteratorIiNS9_11use_defaultESD_SD_EESD_SD_EENS9_6detail15normal_iteratorINS9_10device_ptrIiEEEESK_iNS9_4plusIvEENS9_8equal_toIvEEiEE10hipError_tPvRmT2_T3_T4_T5_mT6_T7_P12ihipStream_tbENKUlT_T0_E_clISt17integral_constantIbLb1EES14_IbLb0EEEEDaS10_S11_EUlS10_E_NS1_11comp_targetILNS1_3genE9ELNS1_11target_archE1100ELNS1_3gpuE3ELNS1_3repE0EEENS1_30default_config_static_selectorELNS0_4arch9wavefront6targetE0EEEvT1_
		.amdhsa_group_segment_fixed_size 0
		.amdhsa_private_segment_fixed_size 0
		.amdhsa_kernarg_size 112
		.amdhsa_user_sgpr_count 2
		.amdhsa_user_sgpr_dispatch_ptr 0
		.amdhsa_user_sgpr_queue_ptr 0
		.amdhsa_user_sgpr_kernarg_segment_ptr 1
		.amdhsa_user_sgpr_dispatch_id 0
		.amdhsa_user_sgpr_kernarg_preload_length 0
		.amdhsa_user_sgpr_kernarg_preload_offset 0
		.amdhsa_user_sgpr_private_segment_size 0
		.amdhsa_wavefront_size32 1
		.amdhsa_uses_dynamic_stack 0
		.amdhsa_enable_private_segment 0
		.amdhsa_system_sgpr_workgroup_id_x 1
		.amdhsa_system_sgpr_workgroup_id_y 0
		.amdhsa_system_sgpr_workgroup_id_z 0
		.amdhsa_system_sgpr_workgroup_info 0
		.amdhsa_system_vgpr_workitem_id 0
		.amdhsa_next_free_vgpr 1
		.amdhsa_next_free_sgpr 1
		.amdhsa_named_barrier_count 0
		.amdhsa_reserve_vcc 0
		.amdhsa_float_round_mode_32 0
		.amdhsa_float_round_mode_16_64 0
		.amdhsa_float_denorm_mode_32 3
		.amdhsa_float_denorm_mode_16_64 3
		.amdhsa_fp16_overflow 0
		.amdhsa_memory_ordered 1
		.amdhsa_forward_progress 1
		.amdhsa_inst_pref_size 0
		.amdhsa_round_robin_scheduling 0
		.amdhsa_exception_fp_ieee_invalid_op 0
		.amdhsa_exception_fp_denorm_src 0
		.amdhsa_exception_fp_ieee_div_zero 0
		.amdhsa_exception_fp_ieee_overflow 0
		.amdhsa_exception_fp_ieee_underflow 0
		.amdhsa_exception_fp_ieee_inexact 0
		.amdhsa_exception_int_div_zero 0
	.end_amdhsa_kernel
	.section	.text._ZN7rocprim17ROCPRIM_400000_NS6detail17trampoline_kernelINS0_14default_configENS1_27scan_by_key_config_selectorIiiEEZZNS1_16scan_by_key_implILNS1_25lookback_scan_determinismE0ELb0ES3_N6thrust23THRUST_200600_302600_NS18transform_iteratorI9which_rowNS9_17counting_iteratorIiNS9_11use_defaultESD_SD_EESD_SD_EENS9_6detail15normal_iteratorINS9_10device_ptrIiEEEESK_iNS9_4plusIvEENS9_8equal_toIvEEiEE10hipError_tPvRmT2_T3_T4_T5_mT6_T7_P12ihipStream_tbENKUlT_T0_E_clISt17integral_constantIbLb1EES14_IbLb0EEEEDaS10_S11_EUlS10_E_NS1_11comp_targetILNS1_3genE9ELNS1_11target_archE1100ELNS1_3gpuE3ELNS1_3repE0EEENS1_30default_config_static_selectorELNS0_4arch9wavefront6targetE0EEEvT1_,"axG",@progbits,_ZN7rocprim17ROCPRIM_400000_NS6detail17trampoline_kernelINS0_14default_configENS1_27scan_by_key_config_selectorIiiEEZZNS1_16scan_by_key_implILNS1_25lookback_scan_determinismE0ELb0ES3_N6thrust23THRUST_200600_302600_NS18transform_iteratorI9which_rowNS9_17counting_iteratorIiNS9_11use_defaultESD_SD_EESD_SD_EENS9_6detail15normal_iteratorINS9_10device_ptrIiEEEESK_iNS9_4plusIvEENS9_8equal_toIvEEiEE10hipError_tPvRmT2_T3_T4_T5_mT6_T7_P12ihipStream_tbENKUlT_T0_E_clISt17integral_constantIbLb1EES14_IbLb0EEEEDaS10_S11_EUlS10_E_NS1_11comp_targetILNS1_3genE9ELNS1_11target_archE1100ELNS1_3gpuE3ELNS1_3repE0EEENS1_30default_config_static_selectorELNS0_4arch9wavefront6targetE0EEEvT1_,comdat
.Lfunc_end115:
	.size	_ZN7rocprim17ROCPRIM_400000_NS6detail17trampoline_kernelINS0_14default_configENS1_27scan_by_key_config_selectorIiiEEZZNS1_16scan_by_key_implILNS1_25lookback_scan_determinismE0ELb0ES3_N6thrust23THRUST_200600_302600_NS18transform_iteratorI9which_rowNS9_17counting_iteratorIiNS9_11use_defaultESD_SD_EESD_SD_EENS9_6detail15normal_iteratorINS9_10device_ptrIiEEEESK_iNS9_4plusIvEENS9_8equal_toIvEEiEE10hipError_tPvRmT2_T3_T4_T5_mT6_T7_P12ihipStream_tbENKUlT_T0_E_clISt17integral_constantIbLb1EES14_IbLb0EEEEDaS10_S11_EUlS10_E_NS1_11comp_targetILNS1_3genE9ELNS1_11target_archE1100ELNS1_3gpuE3ELNS1_3repE0EEENS1_30default_config_static_selectorELNS0_4arch9wavefront6targetE0EEEvT1_, .Lfunc_end115-_ZN7rocprim17ROCPRIM_400000_NS6detail17trampoline_kernelINS0_14default_configENS1_27scan_by_key_config_selectorIiiEEZZNS1_16scan_by_key_implILNS1_25lookback_scan_determinismE0ELb0ES3_N6thrust23THRUST_200600_302600_NS18transform_iteratorI9which_rowNS9_17counting_iteratorIiNS9_11use_defaultESD_SD_EESD_SD_EENS9_6detail15normal_iteratorINS9_10device_ptrIiEEEESK_iNS9_4plusIvEENS9_8equal_toIvEEiEE10hipError_tPvRmT2_T3_T4_T5_mT6_T7_P12ihipStream_tbENKUlT_T0_E_clISt17integral_constantIbLb1EES14_IbLb0EEEEDaS10_S11_EUlS10_E_NS1_11comp_targetILNS1_3genE9ELNS1_11target_archE1100ELNS1_3gpuE3ELNS1_3repE0EEENS1_30default_config_static_selectorELNS0_4arch9wavefront6targetE0EEEvT1_
                                        ; -- End function
	.set _ZN7rocprim17ROCPRIM_400000_NS6detail17trampoline_kernelINS0_14default_configENS1_27scan_by_key_config_selectorIiiEEZZNS1_16scan_by_key_implILNS1_25lookback_scan_determinismE0ELb0ES3_N6thrust23THRUST_200600_302600_NS18transform_iteratorI9which_rowNS9_17counting_iteratorIiNS9_11use_defaultESD_SD_EESD_SD_EENS9_6detail15normal_iteratorINS9_10device_ptrIiEEEESK_iNS9_4plusIvEENS9_8equal_toIvEEiEE10hipError_tPvRmT2_T3_T4_T5_mT6_T7_P12ihipStream_tbENKUlT_T0_E_clISt17integral_constantIbLb1EES14_IbLb0EEEEDaS10_S11_EUlS10_E_NS1_11comp_targetILNS1_3genE9ELNS1_11target_archE1100ELNS1_3gpuE3ELNS1_3repE0EEENS1_30default_config_static_selectorELNS0_4arch9wavefront6targetE0EEEvT1_.num_vgpr, 0
	.set _ZN7rocprim17ROCPRIM_400000_NS6detail17trampoline_kernelINS0_14default_configENS1_27scan_by_key_config_selectorIiiEEZZNS1_16scan_by_key_implILNS1_25lookback_scan_determinismE0ELb0ES3_N6thrust23THRUST_200600_302600_NS18transform_iteratorI9which_rowNS9_17counting_iteratorIiNS9_11use_defaultESD_SD_EESD_SD_EENS9_6detail15normal_iteratorINS9_10device_ptrIiEEEESK_iNS9_4plusIvEENS9_8equal_toIvEEiEE10hipError_tPvRmT2_T3_T4_T5_mT6_T7_P12ihipStream_tbENKUlT_T0_E_clISt17integral_constantIbLb1EES14_IbLb0EEEEDaS10_S11_EUlS10_E_NS1_11comp_targetILNS1_3genE9ELNS1_11target_archE1100ELNS1_3gpuE3ELNS1_3repE0EEENS1_30default_config_static_selectorELNS0_4arch9wavefront6targetE0EEEvT1_.num_agpr, 0
	.set _ZN7rocprim17ROCPRIM_400000_NS6detail17trampoline_kernelINS0_14default_configENS1_27scan_by_key_config_selectorIiiEEZZNS1_16scan_by_key_implILNS1_25lookback_scan_determinismE0ELb0ES3_N6thrust23THRUST_200600_302600_NS18transform_iteratorI9which_rowNS9_17counting_iteratorIiNS9_11use_defaultESD_SD_EESD_SD_EENS9_6detail15normal_iteratorINS9_10device_ptrIiEEEESK_iNS9_4plusIvEENS9_8equal_toIvEEiEE10hipError_tPvRmT2_T3_T4_T5_mT6_T7_P12ihipStream_tbENKUlT_T0_E_clISt17integral_constantIbLb1EES14_IbLb0EEEEDaS10_S11_EUlS10_E_NS1_11comp_targetILNS1_3genE9ELNS1_11target_archE1100ELNS1_3gpuE3ELNS1_3repE0EEENS1_30default_config_static_selectorELNS0_4arch9wavefront6targetE0EEEvT1_.numbered_sgpr, 0
	.set _ZN7rocprim17ROCPRIM_400000_NS6detail17trampoline_kernelINS0_14default_configENS1_27scan_by_key_config_selectorIiiEEZZNS1_16scan_by_key_implILNS1_25lookback_scan_determinismE0ELb0ES3_N6thrust23THRUST_200600_302600_NS18transform_iteratorI9which_rowNS9_17counting_iteratorIiNS9_11use_defaultESD_SD_EESD_SD_EENS9_6detail15normal_iteratorINS9_10device_ptrIiEEEESK_iNS9_4plusIvEENS9_8equal_toIvEEiEE10hipError_tPvRmT2_T3_T4_T5_mT6_T7_P12ihipStream_tbENKUlT_T0_E_clISt17integral_constantIbLb1EES14_IbLb0EEEEDaS10_S11_EUlS10_E_NS1_11comp_targetILNS1_3genE9ELNS1_11target_archE1100ELNS1_3gpuE3ELNS1_3repE0EEENS1_30default_config_static_selectorELNS0_4arch9wavefront6targetE0EEEvT1_.num_named_barrier, 0
	.set _ZN7rocprim17ROCPRIM_400000_NS6detail17trampoline_kernelINS0_14default_configENS1_27scan_by_key_config_selectorIiiEEZZNS1_16scan_by_key_implILNS1_25lookback_scan_determinismE0ELb0ES3_N6thrust23THRUST_200600_302600_NS18transform_iteratorI9which_rowNS9_17counting_iteratorIiNS9_11use_defaultESD_SD_EESD_SD_EENS9_6detail15normal_iteratorINS9_10device_ptrIiEEEESK_iNS9_4plusIvEENS9_8equal_toIvEEiEE10hipError_tPvRmT2_T3_T4_T5_mT6_T7_P12ihipStream_tbENKUlT_T0_E_clISt17integral_constantIbLb1EES14_IbLb0EEEEDaS10_S11_EUlS10_E_NS1_11comp_targetILNS1_3genE9ELNS1_11target_archE1100ELNS1_3gpuE3ELNS1_3repE0EEENS1_30default_config_static_selectorELNS0_4arch9wavefront6targetE0EEEvT1_.private_seg_size, 0
	.set _ZN7rocprim17ROCPRIM_400000_NS6detail17trampoline_kernelINS0_14default_configENS1_27scan_by_key_config_selectorIiiEEZZNS1_16scan_by_key_implILNS1_25lookback_scan_determinismE0ELb0ES3_N6thrust23THRUST_200600_302600_NS18transform_iteratorI9which_rowNS9_17counting_iteratorIiNS9_11use_defaultESD_SD_EESD_SD_EENS9_6detail15normal_iteratorINS9_10device_ptrIiEEEESK_iNS9_4plusIvEENS9_8equal_toIvEEiEE10hipError_tPvRmT2_T3_T4_T5_mT6_T7_P12ihipStream_tbENKUlT_T0_E_clISt17integral_constantIbLb1EES14_IbLb0EEEEDaS10_S11_EUlS10_E_NS1_11comp_targetILNS1_3genE9ELNS1_11target_archE1100ELNS1_3gpuE3ELNS1_3repE0EEENS1_30default_config_static_selectorELNS0_4arch9wavefront6targetE0EEEvT1_.uses_vcc, 0
	.set _ZN7rocprim17ROCPRIM_400000_NS6detail17trampoline_kernelINS0_14default_configENS1_27scan_by_key_config_selectorIiiEEZZNS1_16scan_by_key_implILNS1_25lookback_scan_determinismE0ELb0ES3_N6thrust23THRUST_200600_302600_NS18transform_iteratorI9which_rowNS9_17counting_iteratorIiNS9_11use_defaultESD_SD_EESD_SD_EENS9_6detail15normal_iteratorINS9_10device_ptrIiEEEESK_iNS9_4plusIvEENS9_8equal_toIvEEiEE10hipError_tPvRmT2_T3_T4_T5_mT6_T7_P12ihipStream_tbENKUlT_T0_E_clISt17integral_constantIbLb1EES14_IbLb0EEEEDaS10_S11_EUlS10_E_NS1_11comp_targetILNS1_3genE9ELNS1_11target_archE1100ELNS1_3gpuE3ELNS1_3repE0EEENS1_30default_config_static_selectorELNS0_4arch9wavefront6targetE0EEEvT1_.uses_flat_scratch, 0
	.set _ZN7rocprim17ROCPRIM_400000_NS6detail17trampoline_kernelINS0_14default_configENS1_27scan_by_key_config_selectorIiiEEZZNS1_16scan_by_key_implILNS1_25lookback_scan_determinismE0ELb0ES3_N6thrust23THRUST_200600_302600_NS18transform_iteratorI9which_rowNS9_17counting_iteratorIiNS9_11use_defaultESD_SD_EESD_SD_EENS9_6detail15normal_iteratorINS9_10device_ptrIiEEEESK_iNS9_4plusIvEENS9_8equal_toIvEEiEE10hipError_tPvRmT2_T3_T4_T5_mT6_T7_P12ihipStream_tbENKUlT_T0_E_clISt17integral_constantIbLb1EES14_IbLb0EEEEDaS10_S11_EUlS10_E_NS1_11comp_targetILNS1_3genE9ELNS1_11target_archE1100ELNS1_3gpuE3ELNS1_3repE0EEENS1_30default_config_static_selectorELNS0_4arch9wavefront6targetE0EEEvT1_.has_dyn_sized_stack, 0
	.set _ZN7rocprim17ROCPRIM_400000_NS6detail17trampoline_kernelINS0_14default_configENS1_27scan_by_key_config_selectorIiiEEZZNS1_16scan_by_key_implILNS1_25lookback_scan_determinismE0ELb0ES3_N6thrust23THRUST_200600_302600_NS18transform_iteratorI9which_rowNS9_17counting_iteratorIiNS9_11use_defaultESD_SD_EESD_SD_EENS9_6detail15normal_iteratorINS9_10device_ptrIiEEEESK_iNS9_4plusIvEENS9_8equal_toIvEEiEE10hipError_tPvRmT2_T3_T4_T5_mT6_T7_P12ihipStream_tbENKUlT_T0_E_clISt17integral_constantIbLb1EES14_IbLb0EEEEDaS10_S11_EUlS10_E_NS1_11comp_targetILNS1_3genE9ELNS1_11target_archE1100ELNS1_3gpuE3ELNS1_3repE0EEENS1_30default_config_static_selectorELNS0_4arch9wavefront6targetE0EEEvT1_.has_recursion, 0
	.set _ZN7rocprim17ROCPRIM_400000_NS6detail17trampoline_kernelINS0_14default_configENS1_27scan_by_key_config_selectorIiiEEZZNS1_16scan_by_key_implILNS1_25lookback_scan_determinismE0ELb0ES3_N6thrust23THRUST_200600_302600_NS18transform_iteratorI9which_rowNS9_17counting_iteratorIiNS9_11use_defaultESD_SD_EESD_SD_EENS9_6detail15normal_iteratorINS9_10device_ptrIiEEEESK_iNS9_4plusIvEENS9_8equal_toIvEEiEE10hipError_tPvRmT2_T3_T4_T5_mT6_T7_P12ihipStream_tbENKUlT_T0_E_clISt17integral_constantIbLb1EES14_IbLb0EEEEDaS10_S11_EUlS10_E_NS1_11comp_targetILNS1_3genE9ELNS1_11target_archE1100ELNS1_3gpuE3ELNS1_3repE0EEENS1_30default_config_static_selectorELNS0_4arch9wavefront6targetE0EEEvT1_.has_indirect_call, 0
	.section	.AMDGPU.csdata,"",@progbits
; Kernel info:
; codeLenInByte = 0
; TotalNumSgprs: 0
; NumVgprs: 0
; ScratchSize: 0
; MemoryBound: 0
; FloatMode: 240
; IeeeMode: 1
; LDSByteSize: 0 bytes/workgroup (compile time only)
; SGPRBlocks: 0
; VGPRBlocks: 0
; NumSGPRsForWavesPerEU: 1
; NumVGPRsForWavesPerEU: 1
; NamedBarCnt: 0
; Occupancy: 16
; WaveLimiterHint : 0
; COMPUTE_PGM_RSRC2:SCRATCH_EN: 0
; COMPUTE_PGM_RSRC2:USER_SGPR: 2
; COMPUTE_PGM_RSRC2:TRAP_HANDLER: 0
; COMPUTE_PGM_RSRC2:TGID_X_EN: 1
; COMPUTE_PGM_RSRC2:TGID_Y_EN: 0
; COMPUTE_PGM_RSRC2:TGID_Z_EN: 0
; COMPUTE_PGM_RSRC2:TIDIG_COMP_CNT: 0
	.section	.text._ZN7rocprim17ROCPRIM_400000_NS6detail17trampoline_kernelINS0_14default_configENS1_27scan_by_key_config_selectorIiiEEZZNS1_16scan_by_key_implILNS1_25lookback_scan_determinismE0ELb0ES3_N6thrust23THRUST_200600_302600_NS18transform_iteratorI9which_rowNS9_17counting_iteratorIiNS9_11use_defaultESD_SD_EESD_SD_EENS9_6detail15normal_iteratorINS9_10device_ptrIiEEEESK_iNS9_4plusIvEENS9_8equal_toIvEEiEE10hipError_tPvRmT2_T3_T4_T5_mT6_T7_P12ihipStream_tbENKUlT_T0_E_clISt17integral_constantIbLb1EES14_IbLb0EEEEDaS10_S11_EUlS10_E_NS1_11comp_targetILNS1_3genE8ELNS1_11target_archE1030ELNS1_3gpuE2ELNS1_3repE0EEENS1_30default_config_static_selectorELNS0_4arch9wavefront6targetE0EEEvT1_,"axG",@progbits,_ZN7rocprim17ROCPRIM_400000_NS6detail17trampoline_kernelINS0_14default_configENS1_27scan_by_key_config_selectorIiiEEZZNS1_16scan_by_key_implILNS1_25lookback_scan_determinismE0ELb0ES3_N6thrust23THRUST_200600_302600_NS18transform_iteratorI9which_rowNS9_17counting_iteratorIiNS9_11use_defaultESD_SD_EESD_SD_EENS9_6detail15normal_iteratorINS9_10device_ptrIiEEEESK_iNS9_4plusIvEENS9_8equal_toIvEEiEE10hipError_tPvRmT2_T3_T4_T5_mT6_T7_P12ihipStream_tbENKUlT_T0_E_clISt17integral_constantIbLb1EES14_IbLb0EEEEDaS10_S11_EUlS10_E_NS1_11comp_targetILNS1_3genE8ELNS1_11target_archE1030ELNS1_3gpuE2ELNS1_3repE0EEENS1_30default_config_static_selectorELNS0_4arch9wavefront6targetE0EEEvT1_,comdat
	.protected	_ZN7rocprim17ROCPRIM_400000_NS6detail17trampoline_kernelINS0_14default_configENS1_27scan_by_key_config_selectorIiiEEZZNS1_16scan_by_key_implILNS1_25lookback_scan_determinismE0ELb0ES3_N6thrust23THRUST_200600_302600_NS18transform_iteratorI9which_rowNS9_17counting_iteratorIiNS9_11use_defaultESD_SD_EESD_SD_EENS9_6detail15normal_iteratorINS9_10device_ptrIiEEEESK_iNS9_4plusIvEENS9_8equal_toIvEEiEE10hipError_tPvRmT2_T3_T4_T5_mT6_T7_P12ihipStream_tbENKUlT_T0_E_clISt17integral_constantIbLb1EES14_IbLb0EEEEDaS10_S11_EUlS10_E_NS1_11comp_targetILNS1_3genE8ELNS1_11target_archE1030ELNS1_3gpuE2ELNS1_3repE0EEENS1_30default_config_static_selectorELNS0_4arch9wavefront6targetE0EEEvT1_ ; -- Begin function _ZN7rocprim17ROCPRIM_400000_NS6detail17trampoline_kernelINS0_14default_configENS1_27scan_by_key_config_selectorIiiEEZZNS1_16scan_by_key_implILNS1_25lookback_scan_determinismE0ELb0ES3_N6thrust23THRUST_200600_302600_NS18transform_iteratorI9which_rowNS9_17counting_iteratorIiNS9_11use_defaultESD_SD_EESD_SD_EENS9_6detail15normal_iteratorINS9_10device_ptrIiEEEESK_iNS9_4plusIvEENS9_8equal_toIvEEiEE10hipError_tPvRmT2_T3_T4_T5_mT6_T7_P12ihipStream_tbENKUlT_T0_E_clISt17integral_constantIbLb1EES14_IbLb0EEEEDaS10_S11_EUlS10_E_NS1_11comp_targetILNS1_3genE8ELNS1_11target_archE1030ELNS1_3gpuE2ELNS1_3repE0EEENS1_30default_config_static_selectorELNS0_4arch9wavefront6targetE0EEEvT1_
	.globl	_ZN7rocprim17ROCPRIM_400000_NS6detail17trampoline_kernelINS0_14default_configENS1_27scan_by_key_config_selectorIiiEEZZNS1_16scan_by_key_implILNS1_25lookback_scan_determinismE0ELb0ES3_N6thrust23THRUST_200600_302600_NS18transform_iteratorI9which_rowNS9_17counting_iteratorIiNS9_11use_defaultESD_SD_EESD_SD_EENS9_6detail15normal_iteratorINS9_10device_ptrIiEEEESK_iNS9_4plusIvEENS9_8equal_toIvEEiEE10hipError_tPvRmT2_T3_T4_T5_mT6_T7_P12ihipStream_tbENKUlT_T0_E_clISt17integral_constantIbLb1EES14_IbLb0EEEEDaS10_S11_EUlS10_E_NS1_11comp_targetILNS1_3genE8ELNS1_11target_archE1030ELNS1_3gpuE2ELNS1_3repE0EEENS1_30default_config_static_selectorELNS0_4arch9wavefront6targetE0EEEvT1_
	.p2align	8
	.type	_ZN7rocprim17ROCPRIM_400000_NS6detail17trampoline_kernelINS0_14default_configENS1_27scan_by_key_config_selectorIiiEEZZNS1_16scan_by_key_implILNS1_25lookback_scan_determinismE0ELb0ES3_N6thrust23THRUST_200600_302600_NS18transform_iteratorI9which_rowNS9_17counting_iteratorIiNS9_11use_defaultESD_SD_EESD_SD_EENS9_6detail15normal_iteratorINS9_10device_ptrIiEEEESK_iNS9_4plusIvEENS9_8equal_toIvEEiEE10hipError_tPvRmT2_T3_T4_T5_mT6_T7_P12ihipStream_tbENKUlT_T0_E_clISt17integral_constantIbLb1EES14_IbLb0EEEEDaS10_S11_EUlS10_E_NS1_11comp_targetILNS1_3genE8ELNS1_11target_archE1030ELNS1_3gpuE2ELNS1_3repE0EEENS1_30default_config_static_selectorELNS0_4arch9wavefront6targetE0EEEvT1_,@function
_ZN7rocprim17ROCPRIM_400000_NS6detail17trampoline_kernelINS0_14default_configENS1_27scan_by_key_config_selectorIiiEEZZNS1_16scan_by_key_implILNS1_25lookback_scan_determinismE0ELb0ES3_N6thrust23THRUST_200600_302600_NS18transform_iteratorI9which_rowNS9_17counting_iteratorIiNS9_11use_defaultESD_SD_EESD_SD_EENS9_6detail15normal_iteratorINS9_10device_ptrIiEEEESK_iNS9_4plusIvEENS9_8equal_toIvEEiEE10hipError_tPvRmT2_T3_T4_T5_mT6_T7_P12ihipStream_tbENKUlT_T0_E_clISt17integral_constantIbLb1EES14_IbLb0EEEEDaS10_S11_EUlS10_E_NS1_11comp_targetILNS1_3genE8ELNS1_11target_archE1030ELNS1_3gpuE2ELNS1_3repE0EEENS1_30default_config_static_selectorELNS0_4arch9wavefront6targetE0EEEvT1_: ; @_ZN7rocprim17ROCPRIM_400000_NS6detail17trampoline_kernelINS0_14default_configENS1_27scan_by_key_config_selectorIiiEEZZNS1_16scan_by_key_implILNS1_25lookback_scan_determinismE0ELb0ES3_N6thrust23THRUST_200600_302600_NS18transform_iteratorI9which_rowNS9_17counting_iteratorIiNS9_11use_defaultESD_SD_EESD_SD_EENS9_6detail15normal_iteratorINS9_10device_ptrIiEEEESK_iNS9_4plusIvEENS9_8equal_toIvEEiEE10hipError_tPvRmT2_T3_T4_T5_mT6_T7_P12ihipStream_tbENKUlT_T0_E_clISt17integral_constantIbLb1EES14_IbLb0EEEEDaS10_S11_EUlS10_E_NS1_11comp_targetILNS1_3genE8ELNS1_11target_archE1030ELNS1_3gpuE2ELNS1_3repE0EEENS1_30default_config_static_selectorELNS0_4arch9wavefront6targetE0EEEvT1_
; %bb.0:
	.section	.rodata,"a",@progbits
	.p2align	6, 0x0
	.amdhsa_kernel _ZN7rocprim17ROCPRIM_400000_NS6detail17trampoline_kernelINS0_14default_configENS1_27scan_by_key_config_selectorIiiEEZZNS1_16scan_by_key_implILNS1_25lookback_scan_determinismE0ELb0ES3_N6thrust23THRUST_200600_302600_NS18transform_iteratorI9which_rowNS9_17counting_iteratorIiNS9_11use_defaultESD_SD_EESD_SD_EENS9_6detail15normal_iteratorINS9_10device_ptrIiEEEESK_iNS9_4plusIvEENS9_8equal_toIvEEiEE10hipError_tPvRmT2_T3_T4_T5_mT6_T7_P12ihipStream_tbENKUlT_T0_E_clISt17integral_constantIbLb1EES14_IbLb0EEEEDaS10_S11_EUlS10_E_NS1_11comp_targetILNS1_3genE8ELNS1_11target_archE1030ELNS1_3gpuE2ELNS1_3repE0EEENS1_30default_config_static_selectorELNS0_4arch9wavefront6targetE0EEEvT1_
		.amdhsa_group_segment_fixed_size 0
		.amdhsa_private_segment_fixed_size 0
		.amdhsa_kernarg_size 112
		.amdhsa_user_sgpr_count 2
		.amdhsa_user_sgpr_dispatch_ptr 0
		.amdhsa_user_sgpr_queue_ptr 0
		.amdhsa_user_sgpr_kernarg_segment_ptr 1
		.amdhsa_user_sgpr_dispatch_id 0
		.amdhsa_user_sgpr_kernarg_preload_length 0
		.amdhsa_user_sgpr_kernarg_preload_offset 0
		.amdhsa_user_sgpr_private_segment_size 0
		.amdhsa_wavefront_size32 1
		.amdhsa_uses_dynamic_stack 0
		.amdhsa_enable_private_segment 0
		.amdhsa_system_sgpr_workgroup_id_x 1
		.amdhsa_system_sgpr_workgroup_id_y 0
		.amdhsa_system_sgpr_workgroup_id_z 0
		.amdhsa_system_sgpr_workgroup_info 0
		.amdhsa_system_vgpr_workitem_id 0
		.amdhsa_next_free_vgpr 1
		.amdhsa_next_free_sgpr 1
		.amdhsa_named_barrier_count 0
		.amdhsa_reserve_vcc 0
		.amdhsa_float_round_mode_32 0
		.amdhsa_float_round_mode_16_64 0
		.amdhsa_float_denorm_mode_32 3
		.amdhsa_float_denorm_mode_16_64 3
		.amdhsa_fp16_overflow 0
		.amdhsa_memory_ordered 1
		.amdhsa_forward_progress 1
		.amdhsa_inst_pref_size 0
		.amdhsa_round_robin_scheduling 0
		.amdhsa_exception_fp_ieee_invalid_op 0
		.amdhsa_exception_fp_denorm_src 0
		.amdhsa_exception_fp_ieee_div_zero 0
		.amdhsa_exception_fp_ieee_overflow 0
		.amdhsa_exception_fp_ieee_underflow 0
		.amdhsa_exception_fp_ieee_inexact 0
		.amdhsa_exception_int_div_zero 0
	.end_amdhsa_kernel
	.section	.text._ZN7rocprim17ROCPRIM_400000_NS6detail17trampoline_kernelINS0_14default_configENS1_27scan_by_key_config_selectorIiiEEZZNS1_16scan_by_key_implILNS1_25lookback_scan_determinismE0ELb0ES3_N6thrust23THRUST_200600_302600_NS18transform_iteratorI9which_rowNS9_17counting_iteratorIiNS9_11use_defaultESD_SD_EESD_SD_EENS9_6detail15normal_iteratorINS9_10device_ptrIiEEEESK_iNS9_4plusIvEENS9_8equal_toIvEEiEE10hipError_tPvRmT2_T3_T4_T5_mT6_T7_P12ihipStream_tbENKUlT_T0_E_clISt17integral_constantIbLb1EES14_IbLb0EEEEDaS10_S11_EUlS10_E_NS1_11comp_targetILNS1_3genE8ELNS1_11target_archE1030ELNS1_3gpuE2ELNS1_3repE0EEENS1_30default_config_static_selectorELNS0_4arch9wavefront6targetE0EEEvT1_,"axG",@progbits,_ZN7rocprim17ROCPRIM_400000_NS6detail17trampoline_kernelINS0_14default_configENS1_27scan_by_key_config_selectorIiiEEZZNS1_16scan_by_key_implILNS1_25lookback_scan_determinismE0ELb0ES3_N6thrust23THRUST_200600_302600_NS18transform_iteratorI9which_rowNS9_17counting_iteratorIiNS9_11use_defaultESD_SD_EESD_SD_EENS9_6detail15normal_iteratorINS9_10device_ptrIiEEEESK_iNS9_4plusIvEENS9_8equal_toIvEEiEE10hipError_tPvRmT2_T3_T4_T5_mT6_T7_P12ihipStream_tbENKUlT_T0_E_clISt17integral_constantIbLb1EES14_IbLb0EEEEDaS10_S11_EUlS10_E_NS1_11comp_targetILNS1_3genE8ELNS1_11target_archE1030ELNS1_3gpuE2ELNS1_3repE0EEENS1_30default_config_static_selectorELNS0_4arch9wavefront6targetE0EEEvT1_,comdat
.Lfunc_end116:
	.size	_ZN7rocprim17ROCPRIM_400000_NS6detail17trampoline_kernelINS0_14default_configENS1_27scan_by_key_config_selectorIiiEEZZNS1_16scan_by_key_implILNS1_25lookback_scan_determinismE0ELb0ES3_N6thrust23THRUST_200600_302600_NS18transform_iteratorI9which_rowNS9_17counting_iteratorIiNS9_11use_defaultESD_SD_EESD_SD_EENS9_6detail15normal_iteratorINS9_10device_ptrIiEEEESK_iNS9_4plusIvEENS9_8equal_toIvEEiEE10hipError_tPvRmT2_T3_T4_T5_mT6_T7_P12ihipStream_tbENKUlT_T0_E_clISt17integral_constantIbLb1EES14_IbLb0EEEEDaS10_S11_EUlS10_E_NS1_11comp_targetILNS1_3genE8ELNS1_11target_archE1030ELNS1_3gpuE2ELNS1_3repE0EEENS1_30default_config_static_selectorELNS0_4arch9wavefront6targetE0EEEvT1_, .Lfunc_end116-_ZN7rocprim17ROCPRIM_400000_NS6detail17trampoline_kernelINS0_14default_configENS1_27scan_by_key_config_selectorIiiEEZZNS1_16scan_by_key_implILNS1_25lookback_scan_determinismE0ELb0ES3_N6thrust23THRUST_200600_302600_NS18transform_iteratorI9which_rowNS9_17counting_iteratorIiNS9_11use_defaultESD_SD_EESD_SD_EENS9_6detail15normal_iteratorINS9_10device_ptrIiEEEESK_iNS9_4plusIvEENS9_8equal_toIvEEiEE10hipError_tPvRmT2_T3_T4_T5_mT6_T7_P12ihipStream_tbENKUlT_T0_E_clISt17integral_constantIbLb1EES14_IbLb0EEEEDaS10_S11_EUlS10_E_NS1_11comp_targetILNS1_3genE8ELNS1_11target_archE1030ELNS1_3gpuE2ELNS1_3repE0EEENS1_30default_config_static_selectorELNS0_4arch9wavefront6targetE0EEEvT1_
                                        ; -- End function
	.set _ZN7rocprim17ROCPRIM_400000_NS6detail17trampoline_kernelINS0_14default_configENS1_27scan_by_key_config_selectorIiiEEZZNS1_16scan_by_key_implILNS1_25lookback_scan_determinismE0ELb0ES3_N6thrust23THRUST_200600_302600_NS18transform_iteratorI9which_rowNS9_17counting_iteratorIiNS9_11use_defaultESD_SD_EESD_SD_EENS9_6detail15normal_iteratorINS9_10device_ptrIiEEEESK_iNS9_4plusIvEENS9_8equal_toIvEEiEE10hipError_tPvRmT2_T3_T4_T5_mT6_T7_P12ihipStream_tbENKUlT_T0_E_clISt17integral_constantIbLb1EES14_IbLb0EEEEDaS10_S11_EUlS10_E_NS1_11comp_targetILNS1_3genE8ELNS1_11target_archE1030ELNS1_3gpuE2ELNS1_3repE0EEENS1_30default_config_static_selectorELNS0_4arch9wavefront6targetE0EEEvT1_.num_vgpr, 0
	.set _ZN7rocprim17ROCPRIM_400000_NS6detail17trampoline_kernelINS0_14default_configENS1_27scan_by_key_config_selectorIiiEEZZNS1_16scan_by_key_implILNS1_25lookback_scan_determinismE0ELb0ES3_N6thrust23THRUST_200600_302600_NS18transform_iteratorI9which_rowNS9_17counting_iteratorIiNS9_11use_defaultESD_SD_EESD_SD_EENS9_6detail15normal_iteratorINS9_10device_ptrIiEEEESK_iNS9_4plusIvEENS9_8equal_toIvEEiEE10hipError_tPvRmT2_T3_T4_T5_mT6_T7_P12ihipStream_tbENKUlT_T0_E_clISt17integral_constantIbLb1EES14_IbLb0EEEEDaS10_S11_EUlS10_E_NS1_11comp_targetILNS1_3genE8ELNS1_11target_archE1030ELNS1_3gpuE2ELNS1_3repE0EEENS1_30default_config_static_selectorELNS0_4arch9wavefront6targetE0EEEvT1_.num_agpr, 0
	.set _ZN7rocprim17ROCPRIM_400000_NS6detail17trampoline_kernelINS0_14default_configENS1_27scan_by_key_config_selectorIiiEEZZNS1_16scan_by_key_implILNS1_25lookback_scan_determinismE0ELb0ES3_N6thrust23THRUST_200600_302600_NS18transform_iteratorI9which_rowNS9_17counting_iteratorIiNS9_11use_defaultESD_SD_EESD_SD_EENS9_6detail15normal_iteratorINS9_10device_ptrIiEEEESK_iNS9_4plusIvEENS9_8equal_toIvEEiEE10hipError_tPvRmT2_T3_T4_T5_mT6_T7_P12ihipStream_tbENKUlT_T0_E_clISt17integral_constantIbLb1EES14_IbLb0EEEEDaS10_S11_EUlS10_E_NS1_11comp_targetILNS1_3genE8ELNS1_11target_archE1030ELNS1_3gpuE2ELNS1_3repE0EEENS1_30default_config_static_selectorELNS0_4arch9wavefront6targetE0EEEvT1_.numbered_sgpr, 0
	.set _ZN7rocprim17ROCPRIM_400000_NS6detail17trampoline_kernelINS0_14default_configENS1_27scan_by_key_config_selectorIiiEEZZNS1_16scan_by_key_implILNS1_25lookback_scan_determinismE0ELb0ES3_N6thrust23THRUST_200600_302600_NS18transform_iteratorI9which_rowNS9_17counting_iteratorIiNS9_11use_defaultESD_SD_EESD_SD_EENS9_6detail15normal_iteratorINS9_10device_ptrIiEEEESK_iNS9_4plusIvEENS9_8equal_toIvEEiEE10hipError_tPvRmT2_T3_T4_T5_mT6_T7_P12ihipStream_tbENKUlT_T0_E_clISt17integral_constantIbLb1EES14_IbLb0EEEEDaS10_S11_EUlS10_E_NS1_11comp_targetILNS1_3genE8ELNS1_11target_archE1030ELNS1_3gpuE2ELNS1_3repE0EEENS1_30default_config_static_selectorELNS0_4arch9wavefront6targetE0EEEvT1_.num_named_barrier, 0
	.set _ZN7rocprim17ROCPRIM_400000_NS6detail17trampoline_kernelINS0_14default_configENS1_27scan_by_key_config_selectorIiiEEZZNS1_16scan_by_key_implILNS1_25lookback_scan_determinismE0ELb0ES3_N6thrust23THRUST_200600_302600_NS18transform_iteratorI9which_rowNS9_17counting_iteratorIiNS9_11use_defaultESD_SD_EESD_SD_EENS9_6detail15normal_iteratorINS9_10device_ptrIiEEEESK_iNS9_4plusIvEENS9_8equal_toIvEEiEE10hipError_tPvRmT2_T3_T4_T5_mT6_T7_P12ihipStream_tbENKUlT_T0_E_clISt17integral_constantIbLb1EES14_IbLb0EEEEDaS10_S11_EUlS10_E_NS1_11comp_targetILNS1_3genE8ELNS1_11target_archE1030ELNS1_3gpuE2ELNS1_3repE0EEENS1_30default_config_static_selectorELNS0_4arch9wavefront6targetE0EEEvT1_.private_seg_size, 0
	.set _ZN7rocprim17ROCPRIM_400000_NS6detail17trampoline_kernelINS0_14default_configENS1_27scan_by_key_config_selectorIiiEEZZNS1_16scan_by_key_implILNS1_25lookback_scan_determinismE0ELb0ES3_N6thrust23THRUST_200600_302600_NS18transform_iteratorI9which_rowNS9_17counting_iteratorIiNS9_11use_defaultESD_SD_EESD_SD_EENS9_6detail15normal_iteratorINS9_10device_ptrIiEEEESK_iNS9_4plusIvEENS9_8equal_toIvEEiEE10hipError_tPvRmT2_T3_T4_T5_mT6_T7_P12ihipStream_tbENKUlT_T0_E_clISt17integral_constantIbLb1EES14_IbLb0EEEEDaS10_S11_EUlS10_E_NS1_11comp_targetILNS1_3genE8ELNS1_11target_archE1030ELNS1_3gpuE2ELNS1_3repE0EEENS1_30default_config_static_selectorELNS0_4arch9wavefront6targetE0EEEvT1_.uses_vcc, 0
	.set _ZN7rocprim17ROCPRIM_400000_NS6detail17trampoline_kernelINS0_14default_configENS1_27scan_by_key_config_selectorIiiEEZZNS1_16scan_by_key_implILNS1_25lookback_scan_determinismE0ELb0ES3_N6thrust23THRUST_200600_302600_NS18transform_iteratorI9which_rowNS9_17counting_iteratorIiNS9_11use_defaultESD_SD_EESD_SD_EENS9_6detail15normal_iteratorINS9_10device_ptrIiEEEESK_iNS9_4plusIvEENS9_8equal_toIvEEiEE10hipError_tPvRmT2_T3_T4_T5_mT6_T7_P12ihipStream_tbENKUlT_T0_E_clISt17integral_constantIbLb1EES14_IbLb0EEEEDaS10_S11_EUlS10_E_NS1_11comp_targetILNS1_3genE8ELNS1_11target_archE1030ELNS1_3gpuE2ELNS1_3repE0EEENS1_30default_config_static_selectorELNS0_4arch9wavefront6targetE0EEEvT1_.uses_flat_scratch, 0
	.set _ZN7rocprim17ROCPRIM_400000_NS6detail17trampoline_kernelINS0_14default_configENS1_27scan_by_key_config_selectorIiiEEZZNS1_16scan_by_key_implILNS1_25lookback_scan_determinismE0ELb0ES3_N6thrust23THRUST_200600_302600_NS18transform_iteratorI9which_rowNS9_17counting_iteratorIiNS9_11use_defaultESD_SD_EESD_SD_EENS9_6detail15normal_iteratorINS9_10device_ptrIiEEEESK_iNS9_4plusIvEENS9_8equal_toIvEEiEE10hipError_tPvRmT2_T3_T4_T5_mT6_T7_P12ihipStream_tbENKUlT_T0_E_clISt17integral_constantIbLb1EES14_IbLb0EEEEDaS10_S11_EUlS10_E_NS1_11comp_targetILNS1_3genE8ELNS1_11target_archE1030ELNS1_3gpuE2ELNS1_3repE0EEENS1_30default_config_static_selectorELNS0_4arch9wavefront6targetE0EEEvT1_.has_dyn_sized_stack, 0
	.set _ZN7rocprim17ROCPRIM_400000_NS6detail17trampoline_kernelINS0_14default_configENS1_27scan_by_key_config_selectorIiiEEZZNS1_16scan_by_key_implILNS1_25lookback_scan_determinismE0ELb0ES3_N6thrust23THRUST_200600_302600_NS18transform_iteratorI9which_rowNS9_17counting_iteratorIiNS9_11use_defaultESD_SD_EESD_SD_EENS9_6detail15normal_iteratorINS9_10device_ptrIiEEEESK_iNS9_4plusIvEENS9_8equal_toIvEEiEE10hipError_tPvRmT2_T3_T4_T5_mT6_T7_P12ihipStream_tbENKUlT_T0_E_clISt17integral_constantIbLb1EES14_IbLb0EEEEDaS10_S11_EUlS10_E_NS1_11comp_targetILNS1_3genE8ELNS1_11target_archE1030ELNS1_3gpuE2ELNS1_3repE0EEENS1_30default_config_static_selectorELNS0_4arch9wavefront6targetE0EEEvT1_.has_recursion, 0
	.set _ZN7rocprim17ROCPRIM_400000_NS6detail17trampoline_kernelINS0_14default_configENS1_27scan_by_key_config_selectorIiiEEZZNS1_16scan_by_key_implILNS1_25lookback_scan_determinismE0ELb0ES3_N6thrust23THRUST_200600_302600_NS18transform_iteratorI9which_rowNS9_17counting_iteratorIiNS9_11use_defaultESD_SD_EESD_SD_EENS9_6detail15normal_iteratorINS9_10device_ptrIiEEEESK_iNS9_4plusIvEENS9_8equal_toIvEEiEE10hipError_tPvRmT2_T3_T4_T5_mT6_T7_P12ihipStream_tbENKUlT_T0_E_clISt17integral_constantIbLb1EES14_IbLb0EEEEDaS10_S11_EUlS10_E_NS1_11comp_targetILNS1_3genE8ELNS1_11target_archE1030ELNS1_3gpuE2ELNS1_3repE0EEENS1_30default_config_static_selectorELNS0_4arch9wavefront6targetE0EEEvT1_.has_indirect_call, 0
	.section	.AMDGPU.csdata,"",@progbits
; Kernel info:
; codeLenInByte = 0
; TotalNumSgprs: 0
; NumVgprs: 0
; ScratchSize: 0
; MemoryBound: 0
; FloatMode: 240
; IeeeMode: 1
; LDSByteSize: 0 bytes/workgroup (compile time only)
; SGPRBlocks: 0
; VGPRBlocks: 0
; NumSGPRsForWavesPerEU: 1
; NumVGPRsForWavesPerEU: 1
; NamedBarCnt: 0
; Occupancy: 16
; WaveLimiterHint : 0
; COMPUTE_PGM_RSRC2:SCRATCH_EN: 0
; COMPUTE_PGM_RSRC2:USER_SGPR: 2
; COMPUTE_PGM_RSRC2:TRAP_HANDLER: 0
; COMPUTE_PGM_RSRC2:TGID_X_EN: 1
; COMPUTE_PGM_RSRC2:TGID_Y_EN: 0
; COMPUTE_PGM_RSRC2:TGID_Z_EN: 0
; COMPUTE_PGM_RSRC2:TIDIG_COMP_CNT: 0
	.section	.text._ZN7rocprim17ROCPRIM_400000_NS6detail30init_device_scan_by_key_kernelINS1_19lookback_scan_stateINS0_5tupleIJibEEELb0ELb1EEEN6thrust23THRUST_200600_302600_NS18transform_iteratorI9which_rowNS8_17counting_iteratorIiNS8_11use_defaultESC_SC_EESC_SC_EEjNS1_16block_id_wrapperIjLb1EEEEEvT_jjPNSH_10value_typeET0_PNSt15iterator_traitsISK_E10value_typeEmT1_T2_,"axG",@progbits,_ZN7rocprim17ROCPRIM_400000_NS6detail30init_device_scan_by_key_kernelINS1_19lookback_scan_stateINS0_5tupleIJibEEELb0ELb1EEEN6thrust23THRUST_200600_302600_NS18transform_iteratorI9which_rowNS8_17counting_iteratorIiNS8_11use_defaultESC_SC_EESC_SC_EEjNS1_16block_id_wrapperIjLb1EEEEEvT_jjPNSH_10value_typeET0_PNSt15iterator_traitsISK_E10value_typeEmT1_T2_,comdat
	.protected	_ZN7rocprim17ROCPRIM_400000_NS6detail30init_device_scan_by_key_kernelINS1_19lookback_scan_stateINS0_5tupleIJibEEELb0ELb1EEEN6thrust23THRUST_200600_302600_NS18transform_iteratorI9which_rowNS8_17counting_iteratorIiNS8_11use_defaultESC_SC_EESC_SC_EEjNS1_16block_id_wrapperIjLb1EEEEEvT_jjPNSH_10value_typeET0_PNSt15iterator_traitsISK_E10value_typeEmT1_T2_ ; -- Begin function _ZN7rocprim17ROCPRIM_400000_NS6detail30init_device_scan_by_key_kernelINS1_19lookback_scan_stateINS0_5tupleIJibEEELb0ELb1EEEN6thrust23THRUST_200600_302600_NS18transform_iteratorI9which_rowNS8_17counting_iteratorIiNS8_11use_defaultESC_SC_EESC_SC_EEjNS1_16block_id_wrapperIjLb1EEEEEvT_jjPNSH_10value_typeET0_PNSt15iterator_traitsISK_E10value_typeEmT1_T2_
	.globl	_ZN7rocprim17ROCPRIM_400000_NS6detail30init_device_scan_by_key_kernelINS1_19lookback_scan_stateINS0_5tupleIJibEEELb0ELb1EEEN6thrust23THRUST_200600_302600_NS18transform_iteratorI9which_rowNS8_17counting_iteratorIiNS8_11use_defaultESC_SC_EESC_SC_EEjNS1_16block_id_wrapperIjLb1EEEEEvT_jjPNSH_10value_typeET0_PNSt15iterator_traitsISK_E10value_typeEmT1_T2_
	.p2align	8
	.type	_ZN7rocprim17ROCPRIM_400000_NS6detail30init_device_scan_by_key_kernelINS1_19lookback_scan_stateINS0_5tupleIJibEEELb0ELb1EEEN6thrust23THRUST_200600_302600_NS18transform_iteratorI9which_rowNS8_17counting_iteratorIiNS8_11use_defaultESC_SC_EESC_SC_EEjNS1_16block_id_wrapperIjLb1EEEEEvT_jjPNSH_10value_typeET0_PNSt15iterator_traitsISK_E10value_typeEmT1_T2_,@function
_ZN7rocprim17ROCPRIM_400000_NS6detail30init_device_scan_by_key_kernelINS1_19lookback_scan_stateINS0_5tupleIJibEEELb0ELb1EEEN6thrust23THRUST_200600_302600_NS18transform_iteratorI9which_rowNS8_17counting_iteratorIiNS8_11use_defaultESC_SC_EESC_SC_EEjNS1_16block_id_wrapperIjLb1EEEEEvT_jjPNSH_10value_typeET0_PNSt15iterator_traitsISK_E10value_typeEmT1_T2_: ; @_ZN7rocprim17ROCPRIM_400000_NS6detail30init_device_scan_by_key_kernelINS1_19lookback_scan_stateINS0_5tupleIJibEEELb0ELb1EEEN6thrust23THRUST_200600_302600_NS18transform_iteratorI9which_rowNS8_17counting_iteratorIiNS8_11use_defaultESC_SC_EESC_SC_EEjNS1_16block_id_wrapperIjLb1EEEEEvT_jjPNSH_10value_typeET0_PNSt15iterator_traitsISK_E10value_typeEmT1_T2_
; %bb.0:
	s_clause 0x2
	s_load_b32 s2, s[0:1], 0x4c
	s_load_b32 s14, s[0:1], 0x40
	s_load_b256 s[4:11], s[0:1], 0x0
	s_bfe_u32 s3, ttmp6, 0x4000c
	s_and_b32 s12, ttmp6, 15
	s_add_co_i32 s3, s3, 1
	s_getreg_b32 s13, hwreg(HW_REG_IB_STS2, 6, 4)
	s_mul_i32 s3, ttmp9, s3
	s_delay_alu instid0(SALU_CYCLE_1)
	s_add_co_i32 s12, s12, s3
	s_wait_kmcnt 0x0
	s_and_b32 s15, s2, 0xffff
	s_cmp_eq_u32 s13, 0
	s_cselect_b32 s2, ttmp9, s12
	s_cmp_eq_u64 s[8:9], 0
	v_mad_u32 v4, s2, s15, v0
	s_cbranch_scc1 .LBB117_8
; %bb.1:
	s_cmp_lt_u32 s7, s6
	s_mov_b32 s16, exec_lo
	s_cselect_b32 s2, s7, 0
	s_delay_alu instid0(VALU_DEP_1) | instid1(SALU_CYCLE_1)
	v_cmpx_eq_u32_e64 s2, v4
	s_cbranch_execz .LBB117_7
; %bb.2:
	s_add_co_i32 s2, s7, 32
	s_mov_b32 s3, 0
	v_mov_b32_e32 v7, 0
	s_lshl_b64 s[12:13], s[2:3], 4
	s_mov_b32 s2, exec_lo
	s_add_nc_u64 s[12:13], s[4:5], s[12:13]
	s_delay_alu instid0(SALU_CYCLE_1) | instskip(SKIP_2) | instid1(VALU_DEP_1)
	v_mov_b64_e32 v[0:1], s[12:13]
	;;#ASMSTART
	global_load_b128 v[0:3], v[0:1] off scope:SCOPE_DEV	
s_wait_loadcnt 0x0
	;;#ASMEND
	v_and_b32_e32 v6, 0xff, v2
	v_cmpx_eq_u64_e32 0, v[6:7]
	s_cbranch_execz .LBB117_6
; %bb.3:
	v_mov_b64_e32 v[8:9], s[12:13]
.LBB117_4:                              ; =>This Inner Loop Header: Depth=1
	;;#ASMSTART
	global_load_b128 v[0:3], v[8:9] off scope:SCOPE_DEV	
s_wait_loadcnt 0x0
	;;#ASMEND
	v_and_b32_e32 v6, 0xff, v2
	s_delay_alu instid0(VALU_DEP_1) | instskip(SKIP_1) | instid1(SALU_CYCLE_1)
	v_cmp_ne_u64_e32 vcc_lo, 0, v[6:7]
	s_or_b32 s3, vcc_lo, s3
	s_and_not1_b32 exec_lo, exec_lo, s3
	s_cbranch_execnz .LBB117_4
; %bb.5:
	s_or_b32 exec_lo, exec_lo, s3
.LBB117_6:
	s_delay_alu instid0(SALU_CYCLE_1)
	s_or_b32 exec_lo, exec_lo, s2
	v_mov_b32_e32 v2, 0
	s_clause 0x1
	global_store_b32 v2, v0, s[8:9]
	global_store_b8 v2, v1, s[8:9] offset:4
.LBB117_7:
	s_wait_xcnt 0x0
	s_or_b32 exec_lo, exec_lo, s16
.LBB117_8:
	s_delay_alu instid0(SALU_CYCLE_1) | instskip(NEXT) | instid1(VALU_DEP_1)
	s_mov_b32 s2, exec_lo
	v_cmpx_eq_u32_e32 0, v4
	s_cbranch_execz .LBB117_10
; %bb.9:
	s_load_b64 s[8:9], s[0:1], 0x38
	v_mov_b32_e32 v0, 0
	s_wait_kmcnt 0x0
	global_store_b32 v0, v0, s[8:9]
.LBB117_10:
	s_wait_xcnt 0x0
	s_or_b32 exec_lo, exec_lo, s2
	s_delay_alu instid0(SALU_CYCLE_1)
	s_mov_b32 s2, exec_lo
	v_cmpx_gt_u32_e64 s6, v4
	s_cbranch_execz .LBB117_12
; %bb.11:
	v_dual_mov_b32 v0, 0 :: v_dual_add_nc_u32 v5, 32, v4
	s_delay_alu instid0(VALU_DEP_1)
	v_dual_mov_b32 v1, v0 :: v_dual_mov_b32 v2, v0
	v_mov_b32_e32 v3, v0
	global_store_b128 v5, v[0:3], s[4:5] scale_offset
.LBB117_12:
	s_wait_xcnt 0x0
	s_or_b32 exec_lo, exec_lo, s2
	v_mov_b32_e32 v5, 0
	s_mov_b32 s2, exec_lo
	v_cmpx_gt_u32_e32 32, v4
	s_cbranch_execz .LBB117_14
; %bb.13:
	s_delay_alu instid0(VALU_DEP_2)
	v_lshl_add_u64 v[6:7], v[4:5], 4, s[4:5]
	v_dual_mov_b32 v2, 0xff :: v_dual_mov_b32 v1, v5
	v_dual_mov_b32 v0, v5 :: v_dual_mov_b32 v3, v5
	global_store_b128 v[6:7], v[0:3], off
.LBB117_14:
	s_wait_xcnt 0x0
	s_or_b32 exec_lo, exec_lo, s2
	s_load_b64 s[2:3], s[0:1], 0x28
	s_mov_b32 s4, exec_lo
	s_wait_kmcnt 0x0
	v_cmpx_gt_u64_e64 s[2:3], v[4:5]
	s_cbranch_execz .LBB117_17
; %bb.15:
	s_clause 0x1
	s_load_b32 s12, s[0:1], 0x30
	s_load_b64 s[6:7], s[0:1], 0x20
	s_abs_i32 s8, s11
	s_ashr_i32 s9, s11, 31
	s_cvt_f32_u32 s4, s8
	s_sub_co_i32 s11, 0, s8
	v_mov_b32_e32 v3, 0
	s_wait_xcnt 0x0
	s_mov_b32 s1, 0
	v_rcp_iflag_f32_e32 v0, s4
	s_mov_b32 s5, s1
	v_nop
	s_delay_alu instid0(TRANS32_DEP_1)
	v_readfirstlane_b32 s0, v0
	s_mul_f32 s4, s0, 0x4f7ffffe
	s_wait_kmcnt 0x0
	v_mul_lo_u32 v2, s12, v4
	v_lshl_add_u64 v[0:1], v[4:5], 2, s[6:7]
	s_add_co_i32 s7, s10, s12
	s_cvt_u32_f32 s4, s4
	s_mul_i32 s0, s14, s15
	s_delay_alu instid0(SALU_CYCLE_1) | instskip(NEXT) | instid1(SALU_CYCLE_1)
	s_mul_i32 s10, s0, s12
	s_mul_i32 s11, s11, s4
	s_delay_alu instid0(SALU_CYCLE_1) | instskip(SKIP_1) | instid1(VALU_DEP_2)
	s_mul_hi_u32 s6, s4, s11
	s_mov_b32 s11, s1
	v_add3_u32 v6, s7, v2, -1
	s_add_co_i32 s4, s4, s6
	s_lshl_b64 s[6:7], s[0:1], 2
.LBB117_16:                             ; =>This Inner Loop Header: Depth=1
	s_delay_alu instid0(VALU_DEP_1) | instskip(SKIP_1) | instid1(VALU_DEP_2)
	v_sub_nc_u32_e32 v2, 0, v6
	v_add_nc_u64_e32 v[4:5], s[0:1], v[4:5]
	v_max_i32_e32 v2, v6, v2
	s_delay_alu instid0(VALU_DEP_1) | instskip(NEXT) | instid1(VALU_DEP_1)
	v_mul_u64_e32 v[8:9], s[4:5], v[2:3]
	v_mul_lo_u32 v7, v9, s8
	s_delay_alu instid0(VALU_DEP_1) | instskip(NEXT) | instid1(VALU_DEP_1)
	v_dual_add_nc_u32 v8, 1, v9 :: v_dual_sub_nc_u32 v2, v2, v7
	v_cmp_le_u32_e32 vcc_lo, s8, v2
	s_delay_alu instid0(VALU_DEP_2) | instskip(SKIP_1) | instid1(VALU_DEP_1)
	v_dual_cndmask_b32 v8, v9, v8 :: v_dual_ashrrev_i32 v9, 31, v6
	v_subrev_nc_u32_e32 v7, s8, v2
	v_dual_add_nc_u32 v6, s10, v6 :: v_dual_cndmask_b32 v2, v2, v7, vcc_lo
	s_delay_alu instid0(VALU_DEP_3) | instskip(NEXT) | instid1(VALU_DEP_2)
	v_add_nc_u32_e32 v7, 1, v8
	v_cmp_le_u32_e32 vcc_lo, s8, v2
	s_delay_alu instid0(VALU_DEP_2) | instskip(SKIP_1) | instid1(VALU_DEP_2)
	v_dual_cndmask_b32 v2, v8, v7, vcc_lo :: v_dual_bitop2_b32 v9, s9, v9 bitop3:0x14
	v_cmp_le_u64_e32 vcc_lo, s[2:3], v[4:5]
	v_xor_b32_e32 v2, v2, v9
	s_or_b32 s11, vcc_lo, s11
	s_delay_alu instid0(VALU_DEP_1)
	v_sub_nc_u32_e32 v2, v2, v9
	global_store_b32 v[0:1], v2, off
	s_wait_xcnt 0x0
	v_add_nc_u64_e32 v[0:1], s[6:7], v[0:1]
	s_and_not1_b32 exec_lo, exec_lo, s11
	s_cbranch_execnz .LBB117_16
.LBB117_17:
	s_endpgm
	.section	.rodata,"a",@progbits
	.p2align	6, 0x0
	.amdhsa_kernel _ZN7rocprim17ROCPRIM_400000_NS6detail30init_device_scan_by_key_kernelINS1_19lookback_scan_stateINS0_5tupleIJibEEELb0ELb1EEEN6thrust23THRUST_200600_302600_NS18transform_iteratorI9which_rowNS8_17counting_iteratorIiNS8_11use_defaultESC_SC_EESC_SC_EEjNS1_16block_id_wrapperIjLb1EEEEEvT_jjPNSH_10value_typeET0_PNSt15iterator_traitsISK_E10value_typeEmT1_T2_
		.amdhsa_group_segment_fixed_size 0
		.amdhsa_private_segment_fixed_size 0
		.amdhsa_kernarg_size 320
		.amdhsa_user_sgpr_count 2
		.amdhsa_user_sgpr_dispatch_ptr 0
		.amdhsa_user_sgpr_queue_ptr 0
		.amdhsa_user_sgpr_kernarg_segment_ptr 1
		.amdhsa_user_sgpr_dispatch_id 0
		.amdhsa_user_sgpr_kernarg_preload_length 0
		.amdhsa_user_sgpr_kernarg_preload_offset 0
		.amdhsa_user_sgpr_private_segment_size 0
		.amdhsa_wavefront_size32 1
		.amdhsa_uses_dynamic_stack 0
		.amdhsa_enable_private_segment 0
		.amdhsa_system_sgpr_workgroup_id_x 1
		.amdhsa_system_sgpr_workgroup_id_y 0
		.amdhsa_system_sgpr_workgroup_id_z 0
		.amdhsa_system_sgpr_workgroup_info 0
		.amdhsa_system_vgpr_workitem_id 0
		.amdhsa_next_free_vgpr 10
		.amdhsa_next_free_sgpr 17
		.amdhsa_named_barrier_count 0
		.amdhsa_reserve_vcc 1
		.amdhsa_float_round_mode_32 0
		.amdhsa_float_round_mode_16_64 0
		.amdhsa_float_denorm_mode_32 3
		.amdhsa_float_denorm_mode_16_64 3
		.amdhsa_fp16_overflow 0
		.amdhsa_memory_ordered 1
		.amdhsa_forward_progress 1
		.amdhsa_inst_pref_size 7
		.amdhsa_round_robin_scheduling 0
		.amdhsa_exception_fp_ieee_invalid_op 0
		.amdhsa_exception_fp_denorm_src 0
		.amdhsa_exception_fp_ieee_div_zero 0
		.amdhsa_exception_fp_ieee_overflow 0
		.amdhsa_exception_fp_ieee_underflow 0
		.amdhsa_exception_fp_ieee_inexact 0
		.amdhsa_exception_int_div_zero 0
	.end_amdhsa_kernel
	.section	.text._ZN7rocprim17ROCPRIM_400000_NS6detail30init_device_scan_by_key_kernelINS1_19lookback_scan_stateINS0_5tupleIJibEEELb0ELb1EEEN6thrust23THRUST_200600_302600_NS18transform_iteratorI9which_rowNS8_17counting_iteratorIiNS8_11use_defaultESC_SC_EESC_SC_EEjNS1_16block_id_wrapperIjLb1EEEEEvT_jjPNSH_10value_typeET0_PNSt15iterator_traitsISK_E10value_typeEmT1_T2_,"axG",@progbits,_ZN7rocprim17ROCPRIM_400000_NS6detail30init_device_scan_by_key_kernelINS1_19lookback_scan_stateINS0_5tupleIJibEEELb0ELb1EEEN6thrust23THRUST_200600_302600_NS18transform_iteratorI9which_rowNS8_17counting_iteratorIiNS8_11use_defaultESC_SC_EESC_SC_EEjNS1_16block_id_wrapperIjLb1EEEEEvT_jjPNSH_10value_typeET0_PNSt15iterator_traitsISK_E10value_typeEmT1_T2_,comdat
.Lfunc_end117:
	.size	_ZN7rocprim17ROCPRIM_400000_NS6detail30init_device_scan_by_key_kernelINS1_19lookback_scan_stateINS0_5tupleIJibEEELb0ELb1EEEN6thrust23THRUST_200600_302600_NS18transform_iteratorI9which_rowNS8_17counting_iteratorIiNS8_11use_defaultESC_SC_EESC_SC_EEjNS1_16block_id_wrapperIjLb1EEEEEvT_jjPNSH_10value_typeET0_PNSt15iterator_traitsISK_E10value_typeEmT1_T2_, .Lfunc_end117-_ZN7rocprim17ROCPRIM_400000_NS6detail30init_device_scan_by_key_kernelINS1_19lookback_scan_stateINS0_5tupleIJibEEELb0ELb1EEEN6thrust23THRUST_200600_302600_NS18transform_iteratorI9which_rowNS8_17counting_iteratorIiNS8_11use_defaultESC_SC_EESC_SC_EEjNS1_16block_id_wrapperIjLb1EEEEEvT_jjPNSH_10value_typeET0_PNSt15iterator_traitsISK_E10value_typeEmT1_T2_
                                        ; -- End function
	.set _ZN7rocprim17ROCPRIM_400000_NS6detail30init_device_scan_by_key_kernelINS1_19lookback_scan_stateINS0_5tupleIJibEEELb0ELb1EEEN6thrust23THRUST_200600_302600_NS18transform_iteratorI9which_rowNS8_17counting_iteratorIiNS8_11use_defaultESC_SC_EESC_SC_EEjNS1_16block_id_wrapperIjLb1EEEEEvT_jjPNSH_10value_typeET0_PNSt15iterator_traitsISK_E10value_typeEmT1_T2_.num_vgpr, 10
	.set _ZN7rocprim17ROCPRIM_400000_NS6detail30init_device_scan_by_key_kernelINS1_19lookback_scan_stateINS0_5tupleIJibEEELb0ELb1EEEN6thrust23THRUST_200600_302600_NS18transform_iteratorI9which_rowNS8_17counting_iteratorIiNS8_11use_defaultESC_SC_EESC_SC_EEjNS1_16block_id_wrapperIjLb1EEEEEvT_jjPNSH_10value_typeET0_PNSt15iterator_traitsISK_E10value_typeEmT1_T2_.num_agpr, 0
	.set _ZN7rocprim17ROCPRIM_400000_NS6detail30init_device_scan_by_key_kernelINS1_19lookback_scan_stateINS0_5tupleIJibEEELb0ELb1EEEN6thrust23THRUST_200600_302600_NS18transform_iteratorI9which_rowNS8_17counting_iteratorIiNS8_11use_defaultESC_SC_EESC_SC_EEjNS1_16block_id_wrapperIjLb1EEEEEvT_jjPNSH_10value_typeET0_PNSt15iterator_traitsISK_E10value_typeEmT1_T2_.numbered_sgpr, 17
	.set _ZN7rocprim17ROCPRIM_400000_NS6detail30init_device_scan_by_key_kernelINS1_19lookback_scan_stateINS0_5tupleIJibEEELb0ELb1EEEN6thrust23THRUST_200600_302600_NS18transform_iteratorI9which_rowNS8_17counting_iteratorIiNS8_11use_defaultESC_SC_EESC_SC_EEjNS1_16block_id_wrapperIjLb1EEEEEvT_jjPNSH_10value_typeET0_PNSt15iterator_traitsISK_E10value_typeEmT1_T2_.num_named_barrier, 0
	.set _ZN7rocprim17ROCPRIM_400000_NS6detail30init_device_scan_by_key_kernelINS1_19lookback_scan_stateINS0_5tupleIJibEEELb0ELb1EEEN6thrust23THRUST_200600_302600_NS18transform_iteratorI9which_rowNS8_17counting_iteratorIiNS8_11use_defaultESC_SC_EESC_SC_EEjNS1_16block_id_wrapperIjLb1EEEEEvT_jjPNSH_10value_typeET0_PNSt15iterator_traitsISK_E10value_typeEmT1_T2_.private_seg_size, 0
	.set _ZN7rocprim17ROCPRIM_400000_NS6detail30init_device_scan_by_key_kernelINS1_19lookback_scan_stateINS0_5tupleIJibEEELb0ELb1EEEN6thrust23THRUST_200600_302600_NS18transform_iteratorI9which_rowNS8_17counting_iteratorIiNS8_11use_defaultESC_SC_EESC_SC_EEjNS1_16block_id_wrapperIjLb1EEEEEvT_jjPNSH_10value_typeET0_PNSt15iterator_traitsISK_E10value_typeEmT1_T2_.uses_vcc, 1
	.set _ZN7rocprim17ROCPRIM_400000_NS6detail30init_device_scan_by_key_kernelINS1_19lookback_scan_stateINS0_5tupleIJibEEELb0ELb1EEEN6thrust23THRUST_200600_302600_NS18transform_iteratorI9which_rowNS8_17counting_iteratorIiNS8_11use_defaultESC_SC_EESC_SC_EEjNS1_16block_id_wrapperIjLb1EEEEEvT_jjPNSH_10value_typeET0_PNSt15iterator_traitsISK_E10value_typeEmT1_T2_.uses_flat_scratch, 0
	.set _ZN7rocprim17ROCPRIM_400000_NS6detail30init_device_scan_by_key_kernelINS1_19lookback_scan_stateINS0_5tupleIJibEEELb0ELb1EEEN6thrust23THRUST_200600_302600_NS18transform_iteratorI9which_rowNS8_17counting_iteratorIiNS8_11use_defaultESC_SC_EESC_SC_EEjNS1_16block_id_wrapperIjLb1EEEEEvT_jjPNSH_10value_typeET0_PNSt15iterator_traitsISK_E10value_typeEmT1_T2_.has_dyn_sized_stack, 0
	.set _ZN7rocprim17ROCPRIM_400000_NS6detail30init_device_scan_by_key_kernelINS1_19lookback_scan_stateINS0_5tupleIJibEEELb0ELb1EEEN6thrust23THRUST_200600_302600_NS18transform_iteratorI9which_rowNS8_17counting_iteratorIiNS8_11use_defaultESC_SC_EESC_SC_EEjNS1_16block_id_wrapperIjLb1EEEEEvT_jjPNSH_10value_typeET0_PNSt15iterator_traitsISK_E10value_typeEmT1_T2_.has_recursion, 0
	.set _ZN7rocprim17ROCPRIM_400000_NS6detail30init_device_scan_by_key_kernelINS1_19lookback_scan_stateINS0_5tupleIJibEEELb0ELb1EEEN6thrust23THRUST_200600_302600_NS18transform_iteratorI9which_rowNS8_17counting_iteratorIiNS8_11use_defaultESC_SC_EESC_SC_EEjNS1_16block_id_wrapperIjLb1EEEEEvT_jjPNSH_10value_typeET0_PNSt15iterator_traitsISK_E10value_typeEmT1_T2_.has_indirect_call, 0
	.section	.AMDGPU.csdata,"",@progbits
; Kernel info:
; codeLenInByte = 776
; TotalNumSgprs: 19
; NumVgprs: 10
; ScratchSize: 0
; MemoryBound: 0
; FloatMode: 240
; IeeeMode: 1
; LDSByteSize: 0 bytes/workgroup (compile time only)
; SGPRBlocks: 0
; VGPRBlocks: 0
; NumSGPRsForWavesPerEU: 19
; NumVGPRsForWavesPerEU: 10
; NamedBarCnt: 0
; Occupancy: 16
; WaveLimiterHint : 0
; COMPUTE_PGM_RSRC2:SCRATCH_EN: 0
; COMPUTE_PGM_RSRC2:USER_SGPR: 2
; COMPUTE_PGM_RSRC2:TRAP_HANDLER: 0
; COMPUTE_PGM_RSRC2:TGID_X_EN: 1
; COMPUTE_PGM_RSRC2:TGID_Y_EN: 0
; COMPUTE_PGM_RSRC2:TGID_Z_EN: 0
; COMPUTE_PGM_RSRC2:TIDIG_COMP_CNT: 0
	.section	.text._ZN7rocprim17ROCPRIM_400000_NS6detail30init_device_scan_by_key_kernelINS1_19lookback_scan_stateINS0_5tupleIJibEEELb0ELb1EEENS1_16block_id_wrapperIjLb1EEEEEvT_jjPNS9_10value_typeET0_,"axG",@progbits,_ZN7rocprim17ROCPRIM_400000_NS6detail30init_device_scan_by_key_kernelINS1_19lookback_scan_stateINS0_5tupleIJibEEELb0ELb1EEENS1_16block_id_wrapperIjLb1EEEEEvT_jjPNS9_10value_typeET0_,comdat
	.protected	_ZN7rocprim17ROCPRIM_400000_NS6detail30init_device_scan_by_key_kernelINS1_19lookback_scan_stateINS0_5tupleIJibEEELb0ELb1EEENS1_16block_id_wrapperIjLb1EEEEEvT_jjPNS9_10value_typeET0_ ; -- Begin function _ZN7rocprim17ROCPRIM_400000_NS6detail30init_device_scan_by_key_kernelINS1_19lookback_scan_stateINS0_5tupleIJibEEELb0ELb1EEENS1_16block_id_wrapperIjLb1EEEEEvT_jjPNS9_10value_typeET0_
	.globl	_ZN7rocprim17ROCPRIM_400000_NS6detail30init_device_scan_by_key_kernelINS1_19lookback_scan_stateINS0_5tupleIJibEEELb0ELb1EEENS1_16block_id_wrapperIjLb1EEEEEvT_jjPNS9_10value_typeET0_
	.p2align	8
	.type	_ZN7rocprim17ROCPRIM_400000_NS6detail30init_device_scan_by_key_kernelINS1_19lookback_scan_stateINS0_5tupleIJibEEELb0ELb1EEENS1_16block_id_wrapperIjLb1EEEEEvT_jjPNS9_10value_typeET0_,@function
_ZN7rocprim17ROCPRIM_400000_NS6detail30init_device_scan_by_key_kernelINS1_19lookback_scan_stateINS0_5tupleIJibEEELb0ELb1EEENS1_16block_id_wrapperIjLb1EEEEEvT_jjPNS9_10value_typeET0_: ; @_ZN7rocprim17ROCPRIM_400000_NS6detail30init_device_scan_by_key_kernelINS1_19lookback_scan_stateINS0_5tupleIJibEEELb0ELb1EEENS1_16block_id_wrapperIjLb1EEEEEvT_jjPNS9_10value_typeET0_
; %bb.0:
	s_clause 0x1
	s_load_b32 s2, s[0:1], 0x2c
	s_load_b256 s[4:11], s[0:1], 0x0
	s_wait_xcnt 0x0
	s_bfe_u32 s0, ttmp6, 0x4000c
	s_and_b32 s1, ttmp6, 15
	s_add_co_i32 s0, s0, 1
	s_getreg_b32 s3, hwreg(HW_REG_IB_STS2, 6, 4)
	s_mul_i32 s0, ttmp9, s0
	s_delay_alu instid0(SALU_CYCLE_1)
	s_add_co_i32 s1, s1, s0
	s_wait_kmcnt 0x0
	s_and_b32 s2, s2, 0xffff
	s_cmp_eq_u32 s3, 0
	s_cselect_b32 s0, ttmp9, s1
	s_cmp_eq_u64 s[8:9], 0
	v_mad_u32 v8, s0, s2, v0
	s_cbranch_scc1 .LBB118_8
; %bb.1:
	s_cmp_lt_u32 s7, s6
	s_mov_b32 s12, exec_lo
	s_cselect_b32 s0, s7, 0
	s_delay_alu instid0(VALU_DEP_1) | instid1(SALU_CYCLE_1)
	v_cmpx_eq_u32_e64 s0, v8
	s_cbranch_execz .LBB118_7
; %bb.2:
	s_add_co_i32 s0, s7, 32
	s_mov_b32 s1, 0
	v_mov_b32_e32 v5, 0
	s_lshl_b64 s[2:3], s[0:1], 4
	s_mov_b32 s0, exec_lo
	s_add_nc_u64 s[2:3], s[4:5], s[2:3]
	s_delay_alu instid0(SALU_CYCLE_1) | instskip(SKIP_2) | instid1(VALU_DEP_1)
	v_mov_b64_e32 v[0:1], s[2:3]
	;;#ASMSTART
	global_load_b128 v[0:3], v[0:1] off scope:SCOPE_DEV	
s_wait_loadcnt 0x0
	;;#ASMEND
	v_and_b32_e32 v4, 0xff, v2
	v_cmpx_eq_u64_e32 0, v[4:5]
	s_cbranch_execz .LBB118_6
; %bb.3:
	v_mov_b64_e32 v[6:7], s[2:3]
.LBB118_4:                              ; =>This Inner Loop Header: Depth=1
	;;#ASMSTART
	global_load_b128 v[0:3], v[6:7] off scope:SCOPE_DEV	
s_wait_loadcnt 0x0
	;;#ASMEND
	v_and_b32_e32 v4, 0xff, v2
	s_delay_alu instid0(VALU_DEP_1) | instskip(SKIP_1) | instid1(SALU_CYCLE_1)
	v_cmp_ne_u64_e32 vcc_lo, 0, v[4:5]
	s_or_b32 s1, vcc_lo, s1
	s_and_not1_b32 exec_lo, exec_lo, s1
	s_cbranch_execnz .LBB118_4
; %bb.5:
	s_or_b32 exec_lo, exec_lo, s1
.LBB118_6:
	s_delay_alu instid0(SALU_CYCLE_1)
	s_or_b32 exec_lo, exec_lo, s0
	v_mov_b32_e32 v2, 0
	s_clause 0x1
	global_store_b32 v2, v0, s[8:9]
	global_store_b8 v2, v1, s[8:9] offset:4
.LBB118_7:
	s_wait_xcnt 0x0
	s_or_b32 exec_lo, exec_lo, s12
.LBB118_8:
	s_delay_alu instid0(SALU_CYCLE_1) | instskip(NEXT) | instid1(VALU_DEP_1)
	s_mov_b32 s0, exec_lo
	v_cmpx_eq_u32_e32 0, v8
	s_cbranch_execz .LBB118_10
; %bb.9:
	v_mov_b32_e32 v0, 0
	global_store_b32 v0, v0, s[10:11]
.LBB118_10:
	s_wait_xcnt 0x0
	s_or_b32 exec_lo, exec_lo, s0
	s_delay_alu instid0(SALU_CYCLE_1)
	s_mov_b32 s0, exec_lo
	v_cmpx_gt_u32_e64 s6, v8
	s_cbranch_execz .LBB118_12
; %bb.11:
	v_dual_mov_b32 v0, 0 :: v_dual_add_nc_u32 v4, 32, v8
	s_delay_alu instid0(VALU_DEP_1)
	v_dual_mov_b32 v1, v0 :: v_dual_mov_b32 v2, v0
	v_mov_b32_e32 v3, v0
	global_store_b128 v4, v[0:3], s[4:5] scale_offset
.LBB118_12:
	s_wait_xcnt 0x0
	s_or_b32 exec_lo, exec_lo, s0
	s_delay_alu instid0(SALU_CYCLE_1)
	s_mov_b32 s0, exec_lo
	v_cmpx_gt_u32_e32 32, v8
	s_cbranch_execz .LBB118_14
; %bb.13:
	v_mov_b32_e32 v0, 0
	s_delay_alu instid0(VALU_DEP_1)
	v_dual_mov_b32 v2, 0xff :: v_dual_mov_b32 v1, v0
	v_mov_b32_e32 v3, v0
	global_store_b128 v8, v[0:3], s[4:5] scale_offset
.LBB118_14:
	s_endpgm
	.section	.rodata,"a",@progbits
	.p2align	6, 0x0
	.amdhsa_kernel _ZN7rocprim17ROCPRIM_400000_NS6detail30init_device_scan_by_key_kernelINS1_19lookback_scan_stateINS0_5tupleIJibEEELb0ELb1EEENS1_16block_id_wrapperIjLb1EEEEEvT_jjPNS9_10value_typeET0_
		.amdhsa_group_segment_fixed_size 0
		.amdhsa_private_segment_fixed_size 0
		.amdhsa_kernarg_size 288
		.amdhsa_user_sgpr_count 2
		.amdhsa_user_sgpr_dispatch_ptr 0
		.amdhsa_user_sgpr_queue_ptr 0
		.amdhsa_user_sgpr_kernarg_segment_ptr 1
		.amdhsa_user_sgpr_dispatch_id 0
		.amdhsa_user_sgpr_kernarg_preload_length 0
		.amdhsa_user_sgpr_kernarg_preload_offset 0
		.amdhsa_user_sgpr_private_segment_size 0
		.amdhsa_wavefront_size32 1
		.amdhsa_uses_dynamic_stack 0
		.amdhsa_enable_private_segment 0
		.amdhsa_system_sgpr_workgroup_id_x 1
		.amdhsa_system_sgpr_workgroup_id_y 0
		.amdhsa_system_sgpr_workgroup_id_z 0
		.amdhsa_system_sgpr_workgroup_info 0
		.amdhsa_system_vgpr_workitem_id 0
		.amdhsa_next_free_vgpr 9
		.amdhsa_next_free_sgpr 13
		.amdhsa_named_barrier_count 0
		.amdhsa_reserve_vcc 1
		.amdhsa_float_round_mode_32 0
		.amdhsa_float_round_mode_16_64 0
		.amdhsa_float_denorm_mode_32 3
		.amdhsa_float_denorm_mode_16_64 3
		.amdhsa_fp16_overflow 0
		.amdhsa_memory_ordered 1
		.amdhsa_forward_progress 1
		.amdhsa_inst_pref_size 4
		.amdhsa_round_robin_scheduling 0
		.amdhsa_exception_fp_ieee_invalid_op 0
		.amdhsa_exception_fp_denorm_src 0
		.amdhsa_exception_fp_ieee_div_zero 0
		.amdhsa_exception_fp_ieee_overflow 0
		.amdhsa_exception_fp_ieee_underflow 0
		.amdhsa_exception_fp_ieee_inexact 0
		.amdhsa_exception_int_div_zero 0
	.end_amdhsa_kernel
	.section	.text._ZN7rocprim17ROCPRIM_400000_NS6detail30init_device_scan_by_key_kernelINS1_19lookback_scan_stateINS0_5tupleIJibEEELb0ELb1EEENS1_16block_id_wrapperIjLb1EEEEEvT_jjPNS9_10value_typeET0_,"axG",@progbits,_ZN7rocprim17ROCPRIM_400000_NS6detail30init_device_scan_by_key_kernelINS1_19lookback_scan_stateINS0_5tupleIJibEEELb0ELb1EEENS1_16block_id_wrapperIjLb1EEEEEvT_jjPNS9_10value_typeET0_,comdat
.Lfunc_end118:
	.size	_ZN7rocprim17ROCPRIM_400000_NS6detail30init_device_scan_by_key_kernelINS1_19lookback_scan_stateINS0_5tupleIJibEEELb0ELb1EEENS1_16block_id_wrapperIjLb1EEEEEvT_jjPNS9_10value_typeET0_, .Lfunc_end118-_ZN7rocprim17ROCPRIM_400000_NS6detail30init_device_scan_by_key_kernelINS1_19lookback_scan_stateINS0_5tupleIJibEEELb0ELb1EEENS1_16block_id_wrapperIjLb1EEEEEvT_jjPNS9_10value_typeET0_
                                        ; -- End function
	.set _ZN7rocprim17ROCPRIM_400000_NS6detail30init_device_scan_by_key_kernelINS1_19lookback_scan_stateINS0_5tupleIJibEEELb0ELb1EEENS1_16block_id_wrapperIjLb1EEEEEvT_jjPNS9_10value_typeET0_.num_vgpr, 9
	.set _ZN7rocprim17ROCPRIM_400000_NS6detail30init_device_scan_by_key_kernelINS1_19lookback_scan_stateINS0_5tupleIJibEEELb0ELb1EEENS1_16block_id_wrapperIjLb1EEEEEvT_jjPNS9_10value_typeET0_.num_agpr, 0
	.set _ZN7rocprim17ROCPRIM_400000_NS6detail30init_device_scan_by_key_kernelINS1_19lookback_scan_stateINS0_5tupleIJibEEELb0ELb1EEENS1_16block_id_wrapperIjLb1EEEEEvT_jjPNS9_10value_typeET0_.numbered_sgpr, 13
	.set _ZN7rocprim17ROCPRIM_400000_NS6detail30init_device_scan_by_key_kernelINS1_19lookback_scan_stateINS0_5tupleIJibEEELb0ELb1EEENS1_16block_id_wrapperIjLb1EEEEEvT_jjPNS9_10value_typeET0_.num_named_barrier, 0
	.set _ZN7rocprim17ROCPRIM_400000_NS6detail30init_device_scan_by_key_kernelINS1_19lookback_scan_stateINS0_5tupleIJibEEELb0ELb1EEENS1_16block_id_wrapperIjLb1EEEEEvT_jjPNS9_10value_typeET0_.private_seg_size, 0
	.set _ZN7rocprim17ROCPRIM_400000_NS6detail30init_device_scan_by_key_kernelINS1_19lookback_scan_stateINS0_5tupleIJibEEELb0ELb1EEENS1_16block_id_wrapperIjLb1EEEEEvT_jjPNS9_10value_typeET0_.uses_vcc, 1
	.set _ZN7rocprim17ROCPRIM_400000_NS6detail30init_device_scan_by_key_kernelINS1_19lookback_scan_stateINS0_5tupleIJibEEELb0ELb1EEENS1_16block_id_wrapperIjLb1EEEEEvT_jjPNS9_10value_typeET0_.uses_flat_scratch, 0
	.set _ZN7rocprim17ROCPRIM_400000_NS6detail30init_device_scan_by_key_kernelINS1_19lookback_scan_stateINS0_5tupleIJibEEELb0ELb1EEENS1_16block_id_wrapperIjLb1EEEEEvT_jjPNS9_10value_typeET0_.has_dyn_sized_stack, 0
	.set _ZN7rocprim17ROCPRIM_400000_NS6detail30init_device_scan_by_key_kernelINS1_19lookback_scan_stateINS0_5tupleIJibEEELb0ELb1EEENS1_16block_id_wrapperIjLb1EEEEEvT_jjPNS9_10value_typeET0_.has_recursion, 0
	.set _ZN7rocprim17ROCPRIM_400000_NS6detail30init_device_scan_by_key_kernelINS1_19lookback_scan_stateINS0_5tupleIJibEEELb0ELb1EEENS1_16block_id_wrapperIjLb1EEEEEvT_jjPNS9_10value_typeET0_.has_indirect_call, 0
	.section	.AMDGPU.csdata,"",@progbits
; Kernel info:
; codeLenInByte = 416
; TotalNumSgprs: 15
; NumVgprs: 9
; ScratchSize: 0
; MemoryBound: 0
; FloatMode: 240
; IeeeMode: 1
; LDSByteSize: 0 bytes/workgroup (compile time only)
; SGPRBlocks: 0
; VGPRBlocks: 0
; NumSGPRsForWavesPerEU: 15
; NumVGPRsForWavesPerEU: 9
; NamedBarCnt: 0
; Occupancy: 16
; WaveLimiterHint : 0
; COMPUTE_PGM_RSRC2:SCRATCH_EN: 0
; COMPUTE_PGM_RSRC2:USER_SGPR: 2
; COMPUTE_PGM_RSRC2:TRAP_HANDLER: 0
; COMPUTE_PGM_RSRC2:TGID_X_EN: 1
; COMPUTE_PGM_RSRC2:TGID_Y_EN: 0
; COMPUTE_PGM_RSRC2:TGID_Z_EN: 0
; COMPUTE_PGM_RSRC2:TIDIG_COMP_CNT: 0
	.section	.text._ZN7rocprim17ROCPRIM_400000_NS6detail17trampoline_kernelINS0_14default_configENS1_27scan_by_key_config_selectorIiiEEZZNS1_16scan_by_key_implILNS1_25lookback_scan_determinismE0ELb0ES3_N6thrust23THRUST_200600_302600_NS18transform_iteratorI9which_rowNS9_17counting_iteratorIiNS9_11use_defaultESD_SD_EESD_SD_EENS9_6detail15normal_iteratorINS9_10device_ptrIiEEEESK_iNS9_4plusIvEENS9_8equal_toIvEEiEE10hipError_tPvRmT2_T3_T4_T5_mT6_T7_P12ihipStream_tbENKUlT_T0_E_clISt17integral_constantIbLb0EES14_IbLb1EEEEDaS10_S11_EUlS10_E_NS1_11comp_targetILNS1_3genE0ELNS1_11target_archE4294967295ELNS1_3gpuE0ELNS1_3repE0EEENS1_30default_config_static_selectorELNS0_4arch9wavefront6targetE0EEEvT1_,"axG",@progbits,_ZN7rocprim17ROCPRIM_400000_NS6detail17trampoline_kernelINS0_14default_configENS1_27scan_by_key_config_selectorIiiEEZZNS1_16scan_by_key_implILNS1_25lookback_scan_determinismE0ELb0ES3_N6thrust23THRUST_200600_302600_NS18transform_iteratorI9which_rowNS9_17counting_iteratorIiNS9_11use_defaultESD_SD_EESD_SD_EENS9_6detail15normal_iteratorINS9_10device_ptrIiEEEESK_iNS9_4plusIvEENS9_8equal_toIvEEiEE10hipError_tPvRmT2_T3_T4_T5_mT6_T7_P12ihipStream_tbENKUlT_T0_E_clISt17integral_constantIbLb0EES14_IbLb1EEEEDaS10_S11_EUlS10_E_NS1_11comp_targetILNS1_3genE0ELNS1_11target_archE4294967295ELNS1_3gpuE0ELNS1_3repE0EEENS1_30default_config_static_selectorELNS0_4arch9wavefront6targetE0EEEvT1_,comdat
	.protected	_ZN7rocprim17ROCPRIM_400000_NS6detail17trampoline_kernelINS0_14default_configENS1_27scan_by_key_config_selectorIiiEEZZNS1_16scan_by_key_implILNS1_25lookback_scan_determinismE0ELb0ES3_N6thrust23THRUST_200600_302600_NS18transform_iteratorI9which_rowNS9_17counting_iteratorIiNS9_11use_defaultESD_SD_EESD_SD_EENS9_6detail15normal_iteratorINS9_10device_ptrIiEEEESK_iNS9_4plusIvEENS9_8equal_toIvEEiEE10hipError_tPvRmT2_T3_T4_T5_mT6_T7_P12ihipStream_tbENKUlT_T0_E_clISt17integral_constantIbLb0EES14_IbLb1EEEEDaS10_S11_EUlS10_E_NS1_11comp_targetILNS1_3genE0ELNS1_11target_archE4294967295ELNS1_3gpuE0ELNS1_3repE0EEENS1_30default_config_static_selectorELNS0_4arch9wavefront6targetE0EEEvT1_ ; -- Begin function _ZN7rocprim17ROCPRIM_400000_NS6detail17trampoline_kernelINS0_14default_configENS1_27scan_by_key_config_selectorIiiEEZZNS1_16scan_by_key_implILNS1_25lookback_scan_determinismE0ELb0ES3_N6thrust23THRUST_200600_302600_NS18transform_iteratorI9which_rowNS9_17counting_iteratorIiNS9_11use_defaultESD_SD_EESD_SD_EENS9_6detail15normal_iteratorINS9_10device_ptrIiEEEESK_iNS9_4plusIvEENS9_8equal_toIvEEiEE10hipError_tPvRmT2_T3_T4_T5_mT6_T7_P12ihipStream_tbENKUlT_T0_E_clISt17integral_constantIbLb0EES14_IbLb1EEEEDaS10_S11_EUlS10_E_NS1_11comp_targetILNS1_3genE0ELNS1_11target_archE4294967295ELNS1_3gpuE0ELNS1_3repE0EEENS1_30default_config_static_selectorELNS0_4arch9wavefront6targetE0EEEvT1_
	.globl	_ZN7rocprim17ROCPRIM_400000_NS6detail17trampoline_kernelINS0_14default_configENS1_27scan_by_key_config_selectorIiiEEZZNS1_16scan_by_key_implILNS1_25lookback_scan_determinismE0ELb0ES3_N6thrust23THRUST_200600_302600_NS18transform_iteratorI9which_rowNS9_17counting_iteratorIiNS9_11use_defaultESD_SD_EESD_SD_EENS9_6detail15normal_iteratorINS9_10device_ptrIiEEEESK_iNS9_4plusIvEENS9_8equal_toIvEEiEE10hipError_tPvRmT2_T3_T4_T5_mT6_T7_P12ihipStream_tbENKUlT_T0_E_clISt17integral_constantIbLb0EES14_IbLb1EEEEDaS10_S11_EUlS10_E_NS1_11comp_targetILNS1_3genE0ELNS1_11target_archE4294967295ELNS1_3gpuE0ELNS1_3repE0EEENS1_30default_config_static_selectorELNS0_4arch9wavefront6targetE0EEEvT1_
	.p2align	8
	.type	_ZN7rocprim17ROCPRIM_400000_NS6detail17trampoline_kernelINS0_14default_configENS1_27scan_by_key_config_selectorIiiEEZZNS1_16scan_by_key_implILNS1_25lookback_scan_determinismE0ELb0ES3_N6thrust23THRUST_200600_302600_NS18transform_iteratorI9which_rowNS9_17counting_iteratorIiNS9_11use_defaultESD_SD_EESD_SD_EENS9_6detail15normal_iteratorINS9_10device_ptrIiEEEESK_iNS9_4plusIvEENS9_8equal_toIvEEiEE10hipError_tPvRmT2_T3_T4_T5_mT6_T7_P12ihipStream_tbENKUlT_T0_E_clISt17integral_constantIbLb0EES14_IbLb1EEEEDaS10_S11_EUlS10_E_NS1_11comp_targetILNS1_3genE0ELNS1_11target_archE4294967295ELNS1_3gpuE0ELNS1_3repE0EEENS1_30default_config_static_selectorELNS0_4arch9wavefront6targetE0EEEvT1_,@function
_ZN7rocprim17ROCPRIM_400000_NS6detail17trampoline_kernelINS0_14default_configENS1_27scan_by_key_config_selectorIiiEEZZNS1_16scan_by_key_implILNS1_25lookback_scan_determinismE0ELb0ES3_N6thrust23THRUST_200600_302600_NS18transform_iteratorI9which_rowNS9_17counting_iteratorIiNS9_11use_defaultESD_SD_EESD_SD_EENS9_6detail15normal_iteratorINS9_10device_ptrIiEEEESK_iNS9_4plusIvEENS9_8equal_toIvEEiEE10hipError_tPvRmT2_T3_T4_T5_mT6_T7_P12ihipStream_tbENKUlT_T0_E_clISt17integral_constantIbLb0EES14_IbLb1EEEEDaS10_S11_EUlS10_E_NS1_11comp_targetILNS1_3genE0ELNS1_11target_archE4294967295ELNS1_3gpuE0ELNS1_3repE0EEENS1_30default_config_static_selectorELNS0_4arch9wavefront6targetE0EEEvT1_: ; @_ZN7rocprim17ROCPRIM_400000_NS6detail17trampoline_kernelINS0_14default_configENS1_27scan_by_key_config_selectorIiiEEZZNS1_16scan_by_key_implILNS1_25lookback_scan_determinismE0ELb0ES3_N6thrust23THRUST_200600_302600_NS18transform_iteratorI9which_rowNS9_17counting_iteratorIiNS9_11use_defaultESD_SD_EESD_SD_EENS9_6detail15normal_iteratorINS9_10device_ptrIiEEEESK_iNS9_4plusIvEENS9_8equal_toIvEEiEE10hipError_tPvRmT2_T3_T4_T5_mT6_T7_P12ihipStream_tbENKUlT_T0_E_clISt17integral_constantIbLb0EES14_IbLb1EEEEDaS10_S11_EUlS10_E_NS1_11comp_targetILNS1_3genE0ELNS1_11target_archE4294967295ELNS1_3gpuE0ELNS1_3repE0EEENS1_30default_config_static_selectorELNS0_4arch9wavefront6targetE0EEEvT1_
; %bb.0:
	s_clause 0x3
	s_load_b128 s[36:39], s[0:1], 0x28
	s_load_b64 s[34:35], s[0:1], 0x38
	s_load_b64 s[4:5], s[0:1], 0x68
	s_load_b256 s[24:31], s[0:1], 0x48
	v_cmp_ne_u32_e64 s3, 0, v0
	v_cmp_eq_u32_e64 s2, 0, v0
	s_and_saveexec_b32 s6, s2
	s_cbranch_execz .LBB119_4
; %bb.1:
	s_mov_b32 s8, exec_lo
	s_mov_b32 s7, exec_lo
	v_mbcnt_lo_u32_b32 v1, s8, 0
                                        ; implicit-def: $vgpr2
	s_delay_alu instid0(VALU_DEP_1)
	v_cmpx_eq_u32_e32 0, v1
	s_cbranch_execz .LBB119_3
; %bb.2:
	s_bcnt1_i32_b32 s8, s8
	s_delay_alu instid0(SALU_CYCLE_1)
	v_dual_mov_b32 v2, 0 :: v_dual_mov_b32 v3, s8
	s_wait_xcnt 0x0
	s_wait_kmcnt 0x0
	global_atomic_add_u32 v2, v2, v3, s[4:5] th:TH_ATOMIC_RETURN scope:SCOPE_DEV
.LBB119_3:
	s_wait_xcnt 0x0
	s_or_b32 exec_lo, exec_lo, s7
	s_wait_loadcnt 0x0
	s_wait_kmcnt 0x0
	v_readfirstlane_b32 s4, v2
	s_delay_alu instid0(VALU_DEP_1)
	v_dual_mov_b32 v2, 0 :: v_dual_add_nc_u32 v1, s4, v1
	ds_store_b32 v2, v1
.LBB119_4:
	s_or_b32 exec_lo, exec_lo, s6
	v_mov_b32_e32 v1, 0
	s_clause 0x1
	s_load_b256 s[16:23], s[0:1], 0x0
	s_load_b32 s40, s[0:1], 0x40
	s_wait_dscnt 0x0
	s_barrier_signal -1
	s_barrier_wait -1
	ds_load_b32 v1, v1
	s_mov_b32 s41, 0
	s_wait_dscnt 0x0
	s_mov_b32 s7, s41
	s_barrier_signal -1
	s_barrier_wait -1
	s_barrier_signal -1
	s_barrier_wait -1
	s_wait_kmcnt 0x0
	s_add_co_i32 s16, s18, s16
	s_mul_u64 s[4:5], s[34:35], s[40:41]
	s_lshl_b64 s[18:19], s[18:19], 2
	s_cmp_lg_u64 s[28:29], 0
	s_add_nc_u64 s[0:1], s[20:21], s[18:19]
	s_cselect_b32 s42, -1, 0
	v_readfirstlane_b32 s40, v1
	s_add_nc_u64 s[28:29], s[4:5], s[40:41]
	s_add_nc_u64 s[4:5], s[24:25], -1
	s_mul_i32 s6, s40, 0xc00
	v_cmp_ge_u64_e64 s33, s[28:29], s[4:5]
	s_lshl_b64 s[20:21], s[6:7], 2
	s_add_co_i32 s16, s16, s6
	s_add_nc_u64 s[14:15], s[0:1], s[20:21]
	s_mul_i32 s39, s4, 0xfffff400
	s_and_b32 vcc_lo, exec_lo, s33
	s_cbranch_vccz .LBB119_71
; %bb.5:
	s_abs_i32 s41, s17
	s_abs_i32 s4, s16
	s_cvt_f32_u32 s0, s41
	s_sub_co_i32 s1, 0, s41
	s_ashr_i32 s44, s17, 31
	s_add_co_i32 s43, s39, s38
	v_rcp_iflag_f32_e32 v1, s0
	s_mov_b32 s25, 0
	v_nop
	s_delay_alu instid0(TRANS32_DEP_1) | instskip(SKIP_1) | instid1(SALU_CYCLE_3)
	v_readfirstlane_b32 s0, v1
	s_mul_f32 s0, s0, 0x4f7ffffe
	s_cvt_u32_f32 s0, s0
	s_delay_alu instid0(SALU_CYCLE_3) | instskip(NEXT) | instid1(SALU_CYCLE_1)
	s_mul_i32 s1, s1, s0
	s_mul_hi_u32 s1, s0, s1
	s_delay_alu instid0(SALU_CYCLE_1) | instskip(SKIP_4) | instid1(SALU_CYCLE_1)
	s_add_co_i32 s24, s0, s1
	s_ashr_i32 s0, s16, 31
	s_mul_hi_u32 s1, s4, s24
	s_xor_b32 s0, s0, s44
	s_mul_i32 s5, s1, s41
	s_sub_co_i32 s4, s4, s5
	s_add_co_i32 s5, s1, 1
	s_sub_co_i32 s6, s4, s41
	s_cmp_ge_u32 s4, s41
	s_cselect_b32 s1, s5, s1
	s_cselect_b32 s4, s6, s4
	s_add_co_i32 s5, s1, 1
	s_cmp_ge_u32 s4, s41
	s_cselect_b32 s1, s5, s1
	s_delay_alu instid0(SALU_CYCLE_1) | instskip(NEXT) | instid1(SALU_CYCLE_1)
	s_xor_b32 s1, s1, s0
	s_sub_co_i32 s45, s1, s0
	v_cmp_gt_u32_e64 s0, s43, v0
	v_mov_b32_e32 v1, s45
	s_and_saveexec_b32 s1, s0
	s_cbranch_execz .LBB119_7
; %bb.6:
	v_dual_add_nc_u32 v1, s16, v0 :: v_dual_mov_b32 v3, 0
	s_delay_alu instid0(VALU_DEP_1) | instskip(NEXT) | instid1(VALU_DEP_1)
	v_sub_nc_u32_e32 v2, 0, v1
	v_dual_ashrrev_i32 v1, 31, v1 :: v_dual_max_i32 v2, v1, v2
	s_delay_alu instid0(VALU_DEP_1) | instskip(NEXT) | instid1(VALU_DEP_1)
	v_mul_u64_e32 v[4:5], s[24:25], v[2:3]
	v_mul_lo_u32 v3, v5, s41
	s_delay_alu instid0(VALU_DEP_1) | instskip(NEXT) | instid1(VALU_DEP_1)
	v_dual_sub_nc_u32 v2, v2, v3 :: v_dual_add_nc_u32 v3, 1, v5
	v_subrev_nc_u32_e32 v4, s41, v2
	v_cmp_le_u32_e32 vcc_lo, s41, v2
	s_delay_alu instid0(VALU_DEP_2) | instskip(NEXT) | instid1(VALU_DEP_1)
	v_dual_cndmask_b32 v3, v5, v3 :: v_dual_cndmask_b32 v2, v2, v4
	v_add_nc_u32_e32 v4, 1, v3
	s_delay_alu instid0(VALU_DEP_2) | instskip(NEXT) | instid1(VALU_DEP_2)
	v_cmp_le_u32_e32 vcc_lo, s41, v2
	v_dual_cndmask_b32 v2, v3, v4, vcc_lo :: v_dual_bitop2_b32 v1, s44, v1 bitop3:0x14
	s_delay_alu instid0(VALU_DEP_1) | instskip(NEXT) | instid1(VALU_DEP_1)
	v_xor_b32_e32 v2, v2, v1
	v_sub_nc_u32_e32 v1, v2, v1
.LBB119_7:
	s_or_b32 exec_lo, exec_lo, s1
	v_or_b32_e32 v3, 0x100, v0
	v_mov_b32_e32 v2, s45
	s_delay_alu instid0(VALU_DEP_2)
	v_cmp_gt_u32_e64 s1, s43, v3
	s_and_saveexec_b32 s4, s1
	s_cbranch_execz .LBB119_9
; %bb.8:
	v_dual_mov_b32 v3, 0 :: v_dual_add_nc_u32 v6, s16, v3
	s_delay_alu instid0(VALU_DEP_1) | instskip(NEXT) | instid1(VALU_DEP_1)
	v_sub_nc_u32_e32 v2, 0, v6
	v_max_i32_e32 v2, v6, v2
	s_delay_alu instid0(VALU_DEP_1) | instskip(NEXT) | instid1(VALU_DEP_1)
	v_mul_u64_e32 v[4:5], s[24:25], v[2:3]
	v_mul_lo_u32 v3, v5, s41
	s_delay_alu instid0(VALU_DEP_1) | instskip(NEXT) | instid1(VALU_DEP_1)
	v_dual_sub_nc_u32 v2, v2, v3 :: v_dual_add_nc_u32 v3, 1, v5
	v_cmp_le_u32_e32 vcc_lo, s41, v2
	s_delay_alu instid0(VALU_DEP_2) | instskip(SKIP_1) | instid1(VALU_DEP_1)
	v_dual_cndmask_b32 v3, v5, v3, vcc_lo :: v_dual_ashrrev_i32 v5, 31, v6
	v_subrev_nc_u32_e32 v4, s41, v2
	v_dual_cndmask_b32 v2, v2, v4, vcc_lo :: v_dual_add_nc_u32 v4, 1, v3
	s_delay_alu instid0(VALU_DEP_1) | instskip(NEXT) | instid1(VALU_DEP_2)
	v_cmp_le_u32_e32 vcc_lo, s41, v2
	v_dual_cndmask_b32 v2, v3, v4, vcc_lo :: v_dual_bitop2_b32 v5, s44, v5 bitop3:0x14
	s_delay_alu instid0(VALU_DEP_1) | instskip(NEXT) | instid1(VALU_DEP_1)
	v_xor_b32_e32 v2, v2, v5
	v_sub_nc_u32_e32 v2, v2, v5
.LBB119_9:
	s_or_b32 exec_lo, exec_lo, s4
	v_or_b32_e32 v4, 0x200, v0
	v_mov_b32_e32 v3, s45
	s_delay_alu instid0(VALU_DEP_2)
	v_cmp_gt_u32_e64 s4, s43, v4
	s_and_saveexec_b32 s5, s4
	s_cbranch_execz .LBB119_11
; %bb.10:
	v_dual_add_nc_u32 v3, s16, v4 :: v_dual_mov_b32 v5, 0
	s_delay_alu instid0(VALU_DEP_1) | instskip(NEXT) | instid1(VALU_DEP_1)
	v_sub_nc_u32_e32 v4, 0, v3
	v_dual_ashrrev_i32 v3, 31, v3 :: v_dual_max_i32 v4, v3, v4
	s_delay_alu instid0(VALU_DEP_1) | instskip(NEXT) | instid1(VALU_DEP_1)
	v_mul_u64_e32 v[6:7], s[24:25], v[4:5]
	v_mul_lo_u32 v5, v7, s41
	s_delay_alu instid0(VALU_DEP_1) | instskip(NEXT) | instid1(VALU_DEP_1)
	v_dual_sub_nc_u32 v4, v4, v5 :: v_dual_add_nc_u32 v5, 1, v7
	v_subrev_nc_u32_e32 v6, s41, v4
	v_cmp_le_u32_e32 vcc_lo, s41, v4
	s_delay_alu instid0(VALU_DEP_2) | instskip(NEXT) | instid1(VALU_DEP_1)
	v_dual_cndmask_b32 v5, v7, v5 :: v_dual_cndmask_b32 v4, v4, v6
	v_add_nc_u32_e32 v6, 1, v5
	s_delay_alu instid0(VALU_DEP_2) | instskip(NEXT) | instid1(VALU_DEP_2)
	v_cmp_le_u32_e32 vcc_lo, s41, v4
	v_dual_cndmask_b32 v4, v5, v6, vcc_lo :: v_dual_bitop2_b32 v3, s44, v3 bitop3:0x14
	s_delay_alu instid0(VALU_DEP_1) | instskip(NEXT) | instid1(VALU_DEP_1)
	v_xor_b32_e32 v4, v4, v3
	v_sub_nc_u32_e32 v3, v4, v3
.LBB119_11:
	s_or_b32 exec_lo, exec_lo, s5
	v_or_b32_e32 v5, 0x300, v0
	v_mov_b32_e32 v4, s45
	s_delay_alu instid0(VALU_DEP_2)
	v_cmp_gt_u32_e64 s5, s43, v5
	s_and_saveexec_b32 s6, s5
	s_cbranch_execz .LBB119_13
; %bb.12:
	v_dual_mov_b32 v5, 0 :: v_dual_add_nc_u32 v8, s16, v5
	s_delay_alu instid0(VALU_DEP_1) | instskip(NEXT) | instid1(VALU_DEP_1)
	v_sub_nc_u32_e32 v4, 0, v8
	v_max_i32_e32 v4, v8, v4
	s_delay_alu instid0(VALU_DEP_1) | instskip(NEXT) | instid1(VALU_DEP_1)
	v_mul_u64_e32 v[6:7], s[24:25], v[4:5]
	v_mul_lo_u32 v5, v7, s41
	s_delay_alu instid0(VALU_DEP_1) | instskip(NEXT) | instid1(VALU_DEP_1)
	v_dual_sub_nc_u32 v4, v4, v5 :: v_dual_add_nc_u32 v5, 1, v7
	v_cmp_le_u32_e32 vcc_lo, s41, v4
	s_delay_alu instid0(VALU_DEP_2) | instskip(SKIP_1) | instid1(VALU_DEP_1)
	v_dual_cndmask_b32 v5, v7, v5, vcc_lo :: v_dual_ashrrev_i32 v7, 31, v8
	v_subrev_nc_u32_e32 v6, s41, v4
	v_dual_cndmask_b32 v4, v4, v6, vcc_lo :: v_dual_add_nc_u32 v6, 1, v5
	s_delay_alu instid0(VALU_DEP_1) | instskip(NEXT) | instid1(VALU_DEP_2)
	v_cmp_le_u32_e32 vcc_lo, s41, v4
	v_dual_cndmask_b32 v4, v5, v6, vcc_lo :: v_dual_bitop2_b32 v7, s44, v7 bitop3:0x14
	s_delay_alu instid0(VALU_DEP_1) | instskip(NEXT) | instid1(VALU_DEP_1)
	v_xor_b32_e32 v4, v4, v7
	v_sub_nc_u32_e32 v4, v4, v7
.LBB119_13:
	s_or_b32 exec_lo, exec_lo, s6
	v_or_b32_e32 v6, 0x400, v0
	v_mov_b32_e32 v5, s45
	s_delay_alu instid0(VALU_DEP_2)
	v_cmp_gt_u32_e64 s6, s43, v6
	;; [unrolled: 58-line block ×5, first 2 shown]
	s_and_saveexec_b32 s13, s12
	s_cbranch_execz .LBB119_27
; %bb.26:
	v_dual_add_nc_u32 v11, s16, v12 :: v_dual_mov_b32 v13, 0
	s_delay_alu instid0(VALU_DEP_1) | instskip(NEXT) | instid1(VALU_DEP_1)
	v_sub_nc_u32_e32 v12, 0, v11
	v_dual_ashrrev_i32 v11, 31, v11 :: v_dual_max_i32 v12, v11, v12
	s_delay_alu instid0(VALU_DEP_1) | instskip(NEXT) | instid1(VALU_DEP_1)
	v_mul_u64_e32 v[14:15], s[24:25], v[12:13]
	v_mul_lo_u32 v13, v15, s41
	s_delay_alu instid0(VALU_DEP_1) | instskip(NEXT) | instid1(VALU_DEP_1)
	v_dual_sub_nc_u32 v12, v12, v13 :: v_dual_add_nc_u32 v13, 1, v15
	v_subrev_nc_u32_e32 v14, s41, v12
	v_cmp_le_u32_e32 vcc_lo, s41, v12
	s_delay_alu instid0(VALU_DEP_2) | instskip(NEXT) | instid1(VALU_DEP_1)
	v_dual_cndmask_b32 v13, v15, v13 :: v_dual_cndmask_b32 v12, v12, v14
	v_add_nc_u32_e32 v14, 1, v13
	s_delay_alu instid0(VALU_DEP_2) | instskip(NEXT) | instid1(VALU_DEP_2)
	v_cmp_le_u32_e32 vcc_lo, s41, v12
	v_dual_cndmask_b32 v12, v13, v14, vcc_lo :: v_dual_bitop2_b32 v11, s44, v11 bitop3:0x14
	s_delay_alu instid0(VALU_DEP_1) | instskip(NEXT) | instid1(VALU_DEP_1)
	v_xor_b32_e32 v12, v12, v11
	v_sub_nc_u32_e32 v11, v12, v11
.LBB119_27:
	s_or_b32 exec_lo, exec_lo, s13
	v_or_b32_e32 v13, 0xb00, v0
	v_mov_b32_e32 v12, s45
	s_delay_alu instid0(VALU_DEP_2)
	v_cmp_gt_u32_e64 s13, s43, v13
	s_and_saveexec_b32 s46, s13
	s_cbranch_execz .LBB119_29
; %bb.28:
	v_dual_mov_b32 v13, 0 :: v_dual_add_nc_u32 v16, s16, v13
	s_delay_alu instid0(VALU_DEP_1) | instskip(NEXT) | instid1(VALU_DEP_1)
	v_sub_nc_u32_e32 v12, 0, v16
	v_max_i32_e32 v12, v16, v12
	s_delay_alu instid0(VALU_DEP_1) | instskip(NEXT) | instid1(VALU_DEP_1)
	v_mul_u64_e32 v[14:15], s[24:25], v[12:13]
	v_mul_lo_u32 v13, v15, s41
	s_delay_alu instid0(VALU_DEP_1) | instskip(NEXT) | instid1(VALU_DEP_1)
	v_dual_sub_nc_u32 v12, v12, v13 :: v_dual_add_nc_u32 v13, 1, v15
	v_cmp_le_u32_e32 vcc_lo, s41, v12
	s_delay_alu instid0(VALU_DEP_2) | instskip(SKIP_1) | instid1(VALU_DEP_1)
	v_dual_cndmask_b32 v13, v15, v13, vcc_lo :: v_dual_ashrrev_i32 v15, 31, v16
	v_subrev_nc_u32_e32 v14, s41, v12
	v_dual_cndmask_b32 v12, v12, v14, vcc_lo :: v_dual_add_nc_u32 v14, 1, v13
	s_delay_alu instid0(VALU_DEP_1) | instskip(NEXT) | instid1(VALU_DEP_2)
	v_cmp_le_u32_e32 vcc_lo, s41, v12
	v_dual_cndmask_b32 v12, v13, v14, vcc_lo :: v_dual_bitop2_b32 v15, s44, v15 bitop3:0x14
	s_delay_alu instid0(VALU_DEP_1) | instskip(NEXT) | instid1(VALU_DEP_1)
	v_xor_b32_e32 v12, v12, v15
	v_sub_nc_u32_e32 v12, v12, v15
.LBB119_29:
	s_or_b32 exec_lo, exec_lo, s46
	v_lshlrev_b32_e32 v18, 2, v0
	s_cmp_eq_u64 s[28:29], 0
	ds_store_2addr_stride64_b32 v18, v1, v2 offset1:4
	ds_store_2addr_stride64_b32 v18, v3, v4 offset0:8 offset1:12
	ds_store_2addr_stride64_b32 v18, v5, v6 offset0:16 offset1:20
	;; [unrolled: 1-line block ×5, first 2 shown]
	v_mad_u32_u24 v1, v0, 44, v18
	s_wait_dscnt 0x0
	s_barrier_signal -1
	s_barrier_wait -1
	ds_load_b128 v[14:17], v1
	ds_load_b128 v[10:13], v1 offset:16
	ds_load_b128 v[6:9], v1 offset:32
	s_cbranch_scc1 .LBB119_33
; %bb.30:
	s_and_not1_b32 vcc_lo, exec_lo, s42
	s_cbranch_vccnz .LBB119_191
; %bb.31:
	s_lshl_b64 s[46:47], s[28:29], 2
	s_delay_alu instid0(SALU_CYCLE_1) | instskip(NEXT) | instid1(SALU_CYCLE_1)
	s_add_nc_u64 s[46:47], s[30:31], s[46:47]
	s_add_nc_u64 s[46:47], s[46:47], -4
	s_load_b32 s45, s[46:47], 0x0
	s_wait_xcnt 0x0
	s_cbranch_execnz .LBB119_33
.LBB119_32:
	s_wait_kmcnt 0x0
	s_add_co_i32 s45, s16, -1
	s_sub_co_i32 s46, 1, s16
	s_mov_b32 s47, 0
	s_max_i32 s46, s45, s46
	s_delay_alu instid0(SALU_CYCLE_1)
	s_mul_u64 s[24:25], s[46:47], s[24:25]
	s_ashr_i32 s24, s45, 31
	s_mul_i32 s45, s25, s41
	s_xor_b32 s24, s24, s44
	s_sub_co_i32 s44, s46, s45
	s_add_co_i32 s45, s25, 1
	s_sub_co_i32 s46, s44, s41
	s_cmp_ge_u32 s44, s41
	s_cselect_b32 s25, s45, s25
	s_cselect_b32 s44, s46, s44
	s_add_co_i32 s45, s25, 1
	s_cmp_ge_u32 s44, s41
	s_cselect_b32 s25, s45, s25
	s_delay_alu instid0(SALU_CYCLE_1) | instskip(NEXT) | instid1(SALU_CYCLE_1)
	s_xor_b32 s25, s25, s24
	s_sub_co_i32 s45, s25, s24
.LBB119_33:
	v_mad_i32_i24 v3, 0xffffffd4, v0, v1
	s_wait_kmcnt 0x0
	v_mov_b32_e32 v2, s45
	s_wait_dscnt 0x0
	ds_store_b32 v3, v9 offset:12288
	s_wait_dscnt 0x0
	s_barrier_signal -1
	s_barrier_wait -1
	s_and_saveexec_b32 s24, s3
; %bb.34:
	v_mul_i32_i24_e32 v2, 0xffffffd4, v0
	s_delay_alu instid0(VALU_DEP_1)
	v_add_nc_u32_e32 v2, v1, v2
	ds_load_b32 v2, v2 offset:12284
; %bb.35:
	s_or_b32 exec_lo, exec_lo, s24
	s_wait_dscnt 0x0
	s_barrier_signal -1
	s_barrier_wait -1
                                        ; implicit-def: $vgpr3
	s_and_saveexec_b32 s24, s0
	s_cbranch_execnz .LBB119_179
; %bb.36:
	s_or_b32 exec_lo, exec_lo, s24
                                        ; implicit-def: $vgpr5
	s_and_saveexec_b32 s0, s1
	s_cbranch_execnz .LBB119_180
.LBB119_37:
	s_or_b32 exec_lo, exec_lo, s0
                                        ; implicit-def: $vgpr19
	s_and_saveexec_b32 s0, s4
	s_cbranch_execnz .LBB119_181
.LBB119_38:
	s_or_b32 exec_lo, exec_lo, s0
                                        ; implicit-def: $vgpr20
	s_and_saveexec_b32 s0, s5
	s_cbranch_execnz .LBB119_182
.LBB119_39:
	s_or_b32 exec_lo, exec_lo, s0
                                        ; implicit-def: $vgpr21
	s_and_saveexec_b32 s0, s6
	s_cbranch_execnz .LBB119_183
.LBB119_40:
	s_or_b32 exec_lo, exec_lo, s0
                                        ; implicit-def: $vgpr22
	s_and_saveexec_b32 s0, s7
	s_cbranch_execnz .LBB119_184
.LBB119_41:
	s_or_b32 exec_lo, exec_lo, s0
                                        ; implicit-def: $vgpr23
	s_and_saveexec_b32 s0, s8
	s_cbranch_execnz .LBB119_185
.LBB119_42:
	s_or_b32 exec_lo, exec_lo, s0
                                        ; implicit-def: $vgpr24
	s_and_saveexec_b32 s0, s9
	s_cbranch_execnz .LBB119_186
.LBB119_43:
	s_or_b32 exec_lo, exec_lo, s0
                                        ; implicit-def: $vgpr25
	s_and_saveexec_b32 s0, s10
	s_cbranch_execnz .LBB119_187
.LBB119_44:
	s_or_b32 exec_lo, exec_lo, s0
                                        ; implicit-def: $vgpr26
	s_and_saveexec_b32 s0, s11
	s_cbranch_execnz .LBB119_188
.LBB119_45:
	s_or_b32 exec_lo, exec_lo, s0
                                        ; implicit-def: $vgpr27
	s_and_saveexec_b32 s0, s12
	s_cbranch_execnz .LBB119_189
.LBB119_46:
	s_or_b32 exec_lo, exec_lo, s0
                                        ; implicit-def: $vgpr28
	s_and_saveexec_b32 s0, s13
	s_cbranch_execz .LBB119_48
.LBB119_47:
	flat_load_b32 v28, v0, s[14:15] offset:11264 scale_offset
.LBB119_48:
	s_wait_xcnt 0x0
	s_or_b32 exec_lo, exec_lo, s0
	s_wait_loadcnt_dscnt 0x0
	ds_store_2addr_stride64_b32 v18, v3, v5 offset1:4
	ds_store_2addr_stride64_b32 v18, v19, v20 offset0:8 offset1:12
	ds_store_2addr_stride64_b32 v18, v21, v22 offset0:16 offset1:20
	;; [unrolled: 1-line block ×5, first 2 shown]
	v_mov_b64_e32 v[18:19], 0
	v_mov_b64_e32 v[42:43], 0
	;; [unrolled: 1-line block ×20, first 2 shown]
	v_mul_u32_u24_e32 v4, 12, v0
	s_mov_b32 s1, 0
	s_mov_b32 s41, 0
	s_mov_b32 s5, exec_lo
	s_wait_dscnt 0x0
	s_barrier_signal -1
	s_barrier_wait -1
                                        ; implicit-def: $sgpr4
                                        ; implicit-def: $vgpr5
	v_cmpx_gt_u32_e64 s43, v4
	s_cbranch_execz .LBB119_70
; %bb.49:
	ds_load_b32 v18, v1
	v_cmp_ne_u32_e32 vcc_lo, v2, v14
	v_mov_b64_e32 v[42:43], 0
	v_mov_b64_e32 v[46:47], 0
	;; [unrolled: 1-line block ×18, first 2 shown]
	v_or_b32_e32 v3, 1, v4
	v_cndmask_b32_e64 v19, 0, 1, vcc_lo
	s_mov_b32 s0, 0
	s_mov_b32 s6, exec_lo
                                        ; implicit-def: $sgpr4
                                        ; implicit-def: $vgpr5
	s_delay_alu instid0(VALU_DEP_2)
	v_cmpx_gt_u32_e64 s43, v3
	s_cbranch_execz .LBB119_69
; %bb.50:
	ds_load_2addr_b32 v[42:43], v1 offset0:1 offset1:2
	v_cmp_ne_u32_e32 vcc_lo, v14, v15
	v_mov_b64_e32 v[46:47], 0
	v_mov_b64_e32 v[44:45], 0
	;; [unrolled: 1-line block ×16, first 2 shown]
	v_or_b32_e32 v3, 2, v4
	v_cndmask_b32_e64 v2, 0, 1, vcc_lo
	s_mov_b32 s7, exec_lo
                                        ; implicit-def: $sgpr4
                                        ; implicit-def: $vgpr5
	s_delay_alu instid0(VALU_DEP_2)
	v_cmpx_gt_u32_e64 s43, v3
	s_cbranch_execz .LBB119_68
; %bb.51:
	v_cmp_ne_u32_e32 vcc_lo, v15, v16
	v_mov_b64_e32 v[44:45], 0
	v_mov_b64_e32 v[48:49], 0
	;; [unrolled: 1-line block ×14, first 2 shown]
	v_or_b32_e32 v3, 3, v4
	v_cndmask_b32_e64 v47, 0, 1, vcc_lo
	s_mov_b32 s8, exec_lo
                                        ; implicit-def: $sgpr4
                                        ; implicit-def: $vgpr5
	s_delay_alu instid0(VALU_DEP_2)
	v_cmpx_gt_u32_e64 s43, v3
	s_cbranch_execz .LBB119_67
; %bb.52:
	ds_load_2addr_b32 v[44:45], v1 offset0:3 offset1:4
	v_add_nc_u32_e32 v5, 4, v4
	v_cmp_ne_u32_e32 vcc_lo, v16, v17
	v_mov_b64_e32 v[48:49], 0
	v_mov_b64_e32 v[50:51], 0
	;; [unrolled: 1-line block ×12, first 2 shown]
	v_cndmask_b32_e64 v3, 0, 1, vcc_lo
	v_cmp_gt_u32_e32 vcc_lo, s43, v5
                                        ; implicit-def: $sgpr4
                                        ; implicit-def: $vgpr5
	s_and_saveexec_b32 s9, vcc_lo
	s_cbranch_execz .LBB119_66
; %bb.53:
	v_add_nc_u32_e32 v5, 5, v4
	v_cmp_ne_u32_e32 vcc_lo, v17, v10
	v_mov_b64_e32 v[50:51], 0
	v_mov_b64_e32 v[52:53], 0
	;; [unrolled: 1-line block ×10, first 2 shown]
	v_cndmask_b32_e64 v49, 0, 1, vcc_lo
	v_cmp_gt_u32_e32 vcc_lo, s43, v5
                                        ; implicit-def: $sgpr4
                                        ; implicit-def: $vgpr5
	s_and_saveexec_b32 s10, vcc_lo
	s_cbranch_execz .LBB119_65
; %bb.54:
	ds_load_2addr_b32 v[50:51], v1 offset0:5 offset1:6
	v_add_nc_u32_e32 v5, 6, v4
	v_cmp_ne_u32_e32 vcc_lo, v10, v11
	v_mov_b64_e32 v[52:53], 0
	v_mov_b64_e32 v[54:55], 0
	;; [unrolled: 1-line block ×8, first 2 shown]
	v_cndmask_b32_e64 v10, 0, 1, vcc_lo
	v_cmp_gt_u32_e32 vcc_lo, s43, v5
                                        ; implicit-def: $sgpr4
                                        ; implicit-def: $vgpr5
	s_and_saveexec_b32 s11, vcc_lo
	s_cbranch_execz .LBB119_64
; %bb.55:
	v_add_nc_u32_e32 v5, 7, v4
	v_cmp_ne_u32_e32 vcc_lo, v11, v12
	v_mov_b64_e32 v[54:55], 0
	v_mov_b64_e32 v[56:57], 0
	v_mov_b64_e32 v[58:59], 0
	v_mov_b64_e32 v[24:25], 0
	v_mov_b64_e32 v[22:23], 0
	v_mov_b64_e32 v[20:21], 0
	v_cndmask_b32_e64 v53, 0, 1, vcc_lo
	v_cmp_gt_u32_e32 vcc_lo, s43, v5
                                        ; implicit-def: $sgpr4
                                        ; implicit-def: $vgpr5
	s_and_saveexec_b32 s12, vcc_lo
	s_cbranch_execz .LBB119_63
; %bb.56:
	ds_load_2addr_b32 v[54:55], v1 offset0:7 offset1:8
	v_add_nc_u32_e32 v5, 8, v4
	v_cmp_ne_u32_e32 vcc_lo, v12, v13
	v_mov_b64_e32 v[56:57], 0
	v_mov_b64_e32 v[58:59], 0
	;; [unrolled: 1-line block ×4, first 2 shown]
	v_cndmask_b32_e64 v11, 0, 1, vcc_lo
	v_cmp_gt_u32_e32 vcc_lo, s43, v5
                                        ; implicit-def: $sgpr4
                                        ; implicit-def: $vgpr5
	s_and_saveexec_b32 s13, vcc_lo
	s_cbranch_execz .LBB119_62
; %bb.57:
	v_add_nc_u32_e32 v5, 9, v4
	v_cmp_ne_u32_e32 vcc_lo, v13, v6
	v_mov_b64_e32 v[58:59], 0
	v_mov_b64_e32 v[20:21], 0
                                        ; implicit-def: $sgpr4
	v_cndmask_b32_e64 v57, 0, 1, vcc_lo
	v_cmp_gt_u32_e32 vcc_lo, s43, v5
                                        ; implicit-def: $vgpr5
	s_and_saveexec_b32 s24, vcc_lo
	s_cbranch_execz .LBB119_61
; %bb.58:
	ds_load_2addr_b32 v[58:59], v1 offset0:9 offset1:10
	v_add_nc_u32_e32 v5, 10, v4
	v_cmp_ne_u32_e32 vcc_lo, v6, v7
	v_mov_b64_e32 v[20:21], 0
                                        ; implicit-def: $sgpr4
	v_cndmask_b32_e64 v6, 0, 1, vcc_lo
	s_delay_alu instid0(VALU_DEP_4) | instskip(SKIP_1) | instid1(SALU_CYCLE_1)
	v_cmp_gt_u32_e32 vcc_lo, s43, v5
                                        ; implicit-def: $vgpr5
	s_and_saveexec_b32 s25, vcc_lo
	s_xor_b32 s25, exec_lo, s25
	s_cbranch_execz .LBB119_60
; %bb.59:
	ds_load_b32 v5, v1 offset:44
	s_wait_dscnt 0x1
	v_dual_mov_b32 v20, v59 :: v_dual_add_nc_u32 v1, 11, v4
	v_cmp_ne_u32_e64 s0, v7, v8
	v_cmp_ne_u32_e64 s4, v8, v9
	s_delay_alu instid0(VALU_DEP_3) | instskip(NEXT) | instid1(VALU_DEP_3)
	v_cmp_gt_u32_e32 vcc_lo, s43, v1
	v_cndmask_b32_e64 v21, 0, 1, s0
	s_and_b32 s0, vcc_lo, exec_lo
.LBB119_60:
	s_or_b32 exec_lo, exec_lo, s25
	s_wait_dscnt 0x0
	v_mov_b32_e32 v59, v6
	s_and_b32 s0, s0, exec_lo
.LBB119_61:
	s_or_b32 exec_lo, exec_lo, s24
	s_delay_alu instid0(VALU_DEP_1)
	v_mov_b64_e32 v[22:23], v[58:59]
	s_wait_dscnt 0x0
	v_mov_b32_e32 v56, v55
	s_and_b32 s0, s0, exec_lo
.LBB119_62:
	s_or_b32 exec_lo, exec_lo, s13
	s_delay_alu instid0(VALU_DEP_1)
	v_mov_b64_e32 v[24:25], v[56:57]
	s_wait_dscnt 0x0
	v_mov_b32_e32 v55, v11
	s_and_b32 s0, s0, exec_lo
.LBB119_63:
	s_or_b32 exec_lo, exec_lo, s12
	s_delay_alu instid0(VALU_DEP_1)
	v_mov_b64_e32 v[26:27], v[54:55]
	s_wait_dscnt 0x0
	v_mov_b32_e32 v52, v51
	s_and_b32 s0, s0, exec_lo
.LBB119_64:
	s_or_b32 exec_lo, exec_lo, s11
	s_delay_alu instid0(VALU_DEP_1)
	v_mov_b64_e32 v[28:29], v[52:53]
	s_wait_dscnt 0x0
	v_mov_b32_e32 v51, v10
	s_and_b32 s0, s0, exec_lo
.LBB119_65:
	s_or_b32 exec_lo, exec_lo, s10
	s_delay_alu instid0(VALU_DEP_1)
	v_mov_b64_e32 v[30:31], v[50:51]
	s_wait_dscnt 0x0
	v_mov_b32_e32 v48, v45
	s_and_b32 s0, s0, exec_lo
.LBB119_66:
	s_or_b32 exec_lo, exec_lo, s9
	s_delay_alu instid0(VALU_DEP_1)
	v_mov_b64_e32 v[32:33], v[48:49]
	s_wait_dscnt 0x0
	v_mov_b32_e32 v45, v3
	s_and_b32 s0, s0, exec_lo
.LBB119_67:
	s_or_b32 exec_lo, exec_lo, s8
	s_delay_alu instid0(VALU_DEP_1)
	v_mov_b64_e32 v[34:35], v[44:45]
	s_wait_dscnt 0x0
	v_mov_b32_e32 v46, v43
	s_and_b32 s0, s0, exec_lo
.LBB119_68:
	s_or_b32 exec_lo, exec_lo, s7
	s_delay_alu instid0(VALU_DEP_1)
	v_mov_b64_e32 v[36:37], v[46:47]
	s_wait_dscnt 0x0
	v_mov_b32_e32 v43, v2
	s_and_b32 s0, s0, exec_lo
.LBB119_69:
	s_or_b32 exec_lo, exec_lo, s6
	s_delay_alu instid0(VALU_DEP_1)
	v_mov_b64_e32 v[38:39], v[42:43]
	s_and_b32 s41, s0, exec_lo
.LBB119_70:
	s_or_b32 exec_lo, exec_lo, s5
	v_lshlrev_b32_e32 v16, 2, v0
	s_and_b32 vcc_lo, exec_lo, s1
	s_cbranch_vccnz .LBB119_72
	s_branch .LBB119_81
.LBB119_71:
                                        ; implicit-def: $sgpr4
                                        ; implicit-def: $vgpr5
                                        ; implicit-def: $vgpr18_vgpr19
                                        ; implicit-def: $vgpr42_vgpr43
                                        ; implicit-def: $vgpr46_vgpr47
                                        ; implicit-def: $vgpr44_vgpr45
                                        ; implicit-def: $vgpr48_vgpr49
                                        ; implicit-def: $vgpr50_vgpr51
                                        ; implicit-def: $vgpr52_vgpr53
                                        ; implicit-def: $vgpr54_vgpr55
                                        ; implicit-def: $vgpr56_vgpr57
                                        ; implicit-def: $vgpr58_vgpr59
                                        ; implicit-def: $vgpr38_vgpr39
                                        ; implicit-def: $vgpr36_vgpr37
                                        ; implicit-def: $vgpr34_vgpr35
                                        ; implicit-def: $vgpr32_vgpr33
                                        ; implicit-def: $vgpr30_vgpr31
                                        ; implicit-def: $vgpr28_vgpr29
                                        ; implicit-def: $vgpr26_vgpr27
                                        ; implicit-def: $vgpr24_vgpr25
                                        ; implicit-def: $vgpr22_vgpr23
                                        ; implicit-def: $vgpr20_vgpr21
	v_lshlrev_b32_e32 v16, 2, v0
	s_cbranch_execz .LBB119_81
.LBB119_72:
	s_abs_i32 s6, s17
	v_add_nc_u32_e32 v2, s16, v0
	s_cvt_f32_u32 s0, s6
	s_ashr_i32 s7, s17, 31
	s_mov_b32 s5, 0
	s_delay_alu instid0(VALU_DEP_1) | instskip(SKIP_3) | instid1(VALU_DEP_1)
	v_add_nc_u32_e32 v4, 0x100, v2
	v_rcp_iflag_f32_e32 v1, s0
	v_sub_nc_u32_e32 v5, 0xffffff00, v2
	s_sub_co_i32 s0, 0, s6
	v_max_i32_e32 v5, v4, v5
	s_delay_alu instid0(TRANS32_DEP_1)
	v_readfirstlane_b32 s1, v1
	v_dual_ashrrev_i32 v3, 31, v2 :: v_dual_sub_nc_u32 v1, 0, v2
	v_sub_nc_u32_e32 v7, 0xfffffe00, v2
	v_sub_nc_u32_e32 v9, 0xfffffd00, v2
	s_mul_f32 s1, s1, 0x4f7ffffe
	v_sub_nc_u32_e32 v11, 0xfffffc00, v2
	v_max_i32_e32 v1, v2, v1
	s_delay_alu instid0(SALU_CYCLE_1) | instskip(NEXT) | instid1(SALU_CYCLE_3)
	s_cvt_u32_f32 s1, s1
	s_mul_i32 s0, s0, s1
	s_delay_alu instid0(SALU_CYCLE_1) | instskip(NEXT) | instid1(SALU_CYCLE_1)
	s_mul_hi_u32 s0, s1, s0
	s_add_co_i32 s4, s1, s0
	s_cmp_eq_u64 s[28:29], 0
	v_mul_hi_u32 v13, v1, s4
	v_mul_hi_u32 v15, v5, s4
	s_delay_alu instid0(VALU_DEP_2) | instskip(NEXT) | instid1(VALU_DEP_2)
	v_mul_lo_u32 v19, v13, s6
	v_mul_lo_u32 v21, v15, s6
	v_dual_add_nc_u32 v23, 1, v13 :: v_dual_add_nc_u32 v24, 1, v15
	s_delay_alu instid0(VALU_DEP_3) | instskip(NEXT) | instid1(VALU_DEP_3)
	v_sub_nc_u32_e32 v1, v1, v19
	v_sub_nc_u32_e32 v5, v5, v21
	s_delay_alu instid0(VALU_DEP_2) | instskip(SKIP_2) | instid1(VALU_DEP_4)
	v_cmp_le_u32_e32 vcc_lo, s6, v1
	v_subrev_nc_u32_e32 v21, s6, v1
	v_add_nc_u32_e32 v6, 0x200, v2
	v_cmp_le_u32_e64 s0, s6, v5
	v_cndmask_b32_e32 v13, v13, v23, vcc_lo
	s_delay_alu instid0(VALU_DEP_3) | instskip(SKIP_1) | instid1(VALU_DEP_3)
	v_dual_cndmask_b32 v1, v1, v21, vcc_lo :: v_dual_max_i32 v7, v6, v7
	v_dual_ashrrev_i32 v6, 31, v6 :: v_dual_ashrrev_i32 v4, 31, v4
	v_add_nc_u32_e32 v21, 1, v13
	s_delay_alu instid0(VALU_DEP_3) | instskip(SKIP_1) | instid1(VALU_DEP_4)
	v_cmp_le_u32_e32 vcc_lo, s6, v1
	v_add_nc_u32_e32 v8, 0x300, v2
	v_xor_b32_e32 v6, s7, v6
	v_mul_hi_u32 v17, v7, s4
	v_dual_cndmask_b32 v1, v13, v21, vcc_lo :: v_dual_bitop2_b32 v4, s7, v4 bitop3:0x14
	s_delay_alu instid0(VALU_DEP_4) | instskip(SKIP_3) | instid1(VALU_DEP_3)
	v_max_i32_e32 v9, v8, v9
	v_dual_ashrrev_i32 v8, 31, v8 :: v_dual_bitop2_b32 v3, s7, v3 bitop3:0x14
	v_cndmask_b32_e64 v15, v15, v24, s0
	s_wait_dscnt 0x0
	v_mul_hi_u32 v18, v9, s4
	s_delay_alu instid0(VALU_DEP_3) | instskip(SKIP_2) | instid1(VALU_DEP_4)
	v_xor_b32_e32 v1, v1, v3
	v_mul_lo_u32 v22, v17, s6
	v_add_nc_u32_e32 v25, 1, v17
	v_mul_lo_u32 v26, v18, s6
	v_add_nc_u32_e32 v19, 1, v18
	s_delay_alu instid0(VALU_DEP_4) | instskip(SKIP_1) | instid1(VALU_DEP_2)
	v_sub_nc_u32_e32 v7, v7, v22
	v_subrev_nc_u32_e32 v22, s6, v5
	v_cmp_le_u32_e64 s1, s6, v7
	s_delay_alu instid0(VALU_DEP_2) | instskip(SKIP_2) | instid1(VALU_DEP_4)
	v_cndmask_b32_e64 v5, v5, v22, s0
	v_subrev_nc_u32_e32 v23, s6, v7
	v_dual_add_nc_u32 v22, 1, v15 :: v_dual_sub_nc_u32 v9, v9, v26
	v_cndmask_b32_e64 v17, v17, v25, s1
	s_delay_alu instid0(VALU_DEP_4) | instskip(NEXT) | instid1(VALU_DEP_4)
	v_cmp_le_u32_e32 vcc_lo, s6, v5
	v_cndmask_b32_e64 v7, v7, v23, s1
	v_add_nc_u32_e32 v23, 0xb00, v2
	s_delay_alu instid0(VALU_DEP_4) | instskip(NEXT) | instid1(VALU_DEP_3)
	v_dual_add_nc_u32 v13, 1, v17 :: v_dual_cndmask_b32 v5, v15, v22, vcc_lo
	v_cmp_le_u32_e32 vcc_lo, s6, v7
	v_add_nc_u32_e32 v10, 0x400, v2
	v_subrev_nc_u32_e32 v15, s6, v9
	s_delay_alu instid0(VALU_DEP_4) | instskip(NEXT) | instid1(VALU_DEP_3)
	v_dual_cndmask_b32 v7, v17, v13 :: v_dual_sub_nc_u32 v22, 0xfffff600, v2
	v_max_i32_e32 v11, v10, v11
	v_cmp_le_u32_e32 vcc_lo, s6, v9
	v_add_nc_u32_e32 v12, 0x500, v2
	s_delay_alu instid0(VALU_DEP_4) | instskip(NEXT) | instid1(VALU_DEP_4)
	v_dual_sub_nc_u32 v1, v1, v3 :: v_dual_bitop2_b32 v7, v7, v6 bitop3:0x14
	v_mul_hi_u32 v20, v11, s4
	v_cndmask_b32_e32 v9, v9, v15, vcc_lo
	v_add_nc_u32_e32 v15, 0x600, v2
	v_sub_nc_u32_e32 v17, 0xfffffa00, v2
	v_dual_ashrrev_i32 v10, 31, v10 :: v_dual_bitop2_b32 v8, s7, v8 bitop3:0x14
	v_sub_nc_u32_e32 v6, v7, v6
	s_delay_alu instid0(VALU_DEP_3) | instskip(SKIP_1) | instid1(VALU_DEP_1)
	v_max_i32_e32 v17, v15, v17
	v_mul_lo_u32 v27, v20, s6
	v_dual_sub_nc_u32 v11, v11, v27 :: v_dual_bitop2_b32 v5, v5, v4 bitop3:0x14
	s_delay_alu instid0(VALU_DEP_1) | instskip(SKIP_2) | instid1(VALU_DEP_4)
	v_dual_cndmask_b32 v4, v18, v19 :: v_dual_sub_nc_u32 v3, v5, v4
	v_cmp_le_u32_e32 vcc_lo, s6, v9
	v_add_nc_u32_e32 v9, 1, v20
	v_subrev_nc_u32_e32 v18, s6, v11
	v_mul_hi_u32 v19, v17, s4
	v_add_nc_u32_e32 v13, 1, v4
	s_delay_alu instid0(VALU_DEP_1) | instskip(SKIP_2) | instid1(VALU_DEP_3)
	v_cndmask_b32_e32 v4, v4, v13, vcc_lo
	v_cmp_le_u32_e32 vcc_lo, s6, v11
	v_sub_nc_u32_e32 v14, 0xfffffb00, v2
	v_dual_cndmask_b32 v7, v11, v18, vcc_lo :: v_dual_bitop2_b32 v4, v4, v8 bitop3:0x14
	v_cndmask_b32_e32 v9, v20, v9, vcc_lo
	s_delay_alu instid0(VALU_DEP_3) | instskip(NEXT) | instid1(VALU_DEP_3)
	v_max_i32_e32 v14, v12, v14
	v_sub_nc_u32_e32 v4, v4, v8
	s_delay_alu instid0(VALU_DEP_4) | instskip(NEXT) | instid1(VALU_DEP_4)
	v_cmp_le_u32_e32 vcc_lo, s6, v7
	v_add_nc_u32_e32 v11, 1, v9
	s_delay_alu instid0(VALU_DEP_4) | instskip(NEXT) | instid1(VALU_DEP_2)
	v_mul_hi_u32 v5, v14, s4
	v_dual_cndmask_b32 v7, v9, v11, vcc_lo :: v_dual_ashrrev_i32 v9, 31, v12
	v_mul_lo_u32 v12, v19, s6
	s_delay_alu instid0(VALU_DEP_3) | instskip(NEXT) | instid1(VALU_DEP_2)
	v_mul_lo_u32 v13, v5, s6
	v_dual_sub_nc_u32 v12, v17, v12 :: v_dual_bitop2_b32 v10, s7, v10 bitop3:0x14
	s_delay_alu instid0(VALU_DEP_2) | instskip(NEXT) | instid1(VALU_DEP_2)
	v_sub_nc_u32_e32 v13, v14, v13
	v_dual_add_nc_u32 v11, 1, v5 :: v_dual_bitop2_b32 v7, v7, v10 bitop3:0x14
	s_delay_alu instid0(VALU_DEP_2) | instskip(SKIP_2) | instid1(VALU_DEP_4)
	v_subrev_nc_u32_e32 v14, s6, v13
	v_cmp_le_u32_e32 vcc_lo, s6, v13
	v_add_nc_u32_e32 v18, 0x700, v2
	v_dual_sub_nc_u32 v7, v7, v10 :: v_dual_bitop2_b32 v9, s7, v9 bitop3:0x14
	v_dual_cndmask_b32 v5, v5, v11 :: v_dual_add_nc_u32 v10, 0x900, v2
	s_delay_alu instid0(VALU_DEP_1) | instskip(NEXT) | instid1(VALU_DEP_1)
	v_dual_cndmask_b32 v13, v13, v14 :: v_dual_add_nc_u32 v14, 1, v5
	v_cmp_le_u32_e32 vcc_lo, s6, v13
	v_add_nc_u32_e32 v17, 1, v19
	v_subrev_nc_u32_e32 v13, s6, v12
	s_delay_alu instid0(VALU_DEP_4) | instskip(SKIP_1) | instid1(VALU_DEP_2)
	v_cndmask_b32_e32 v5, v5, v14, vcc_lo
	v_cmp_le_u32_e32 vcc_lo, s6, v12
	v_xor_b32_e32 v5, v5, v9
	v_dual_cndmask_b32 v14, v19, v17 :: v_dual_add_nc_u32 v17, 0x800, v2
	v_dual_cndmask_b32 v12, v12, v13 :: v_dual_sub_nc_u32 v19, 0xfffff800, v2
	s_delay_alu instid0(VALU_DEP_1) | instskip(NEXT) | instid1(VALU_DEP_2)
	v_dual_add_nc_u32 v13, 1, v14 :: v_dual_max_i32 v19, v17, v19
	v_cmp_le_u32_e32 vcc_lo, s6, v12
	s_delay_alu instid0(VALU_DEP_2) | instskip(NEXT) | instid1(VALU_DEP_3)
	v_cndmask_b32_e32 v12, v14, v13, vcc_lo
	v_mul_hi_u32 v13, v19, s4
	v_sub_nc_u32_e32 v20, 0xfffff900, v2
	s_delay_alu instid0(VALU_DEP_1) | instskip(NEXT) | instid1(VALU_DEP_1)
	v_dual_ashrrev_i32 v15, 31, v15 :: v_dual_max_i32 v11, v18, v20
	v_dual_sub_nc_u32 v5, v5, v9 :: v_dual_bitop2_b32 v15, s7, v15 bitop3:0x14
	s_delay_alu instid0(VALU_DEP_2) | instskip(NEXT) | instid1(VALU_DEP_2)
	v_mul_hi_u32 v20, v11, s4
	v_dual_ashrrev_i32 v12, 31, v18 :: v_dual_bitop2_b32 v8, v12, v15 bitop3:0x14
	s_delay_alu instid0(VALU_DEP_1) | instskip(NEXT) | instid1(VALU_DEP_3)
	v_xor_b32_e32 v12, s7, v12
	v_mul_lo_u32 v21, v20, s6
	s_delay_alu instid0(VALU_DEP_1) | instskip(SKIP_3) | instid1(VALU_DEP_4)
	v_sub_nc_u32_e32 v9, v11, v21
	v_sub_nc_u32_e32 v11, 0xfffff700, v2
	v_add_nc_u32_e32 v14, 1, v20
	v_mul_lo_u32 v21, v13, s6
	v_subrev_nc_u32_e32 v18, s6, v9
	s_delay_alu instid0(VALU_DEP_4) | instskip(SKIP_2) | instid1(VALU_DEP_3)
	v_max_i32_e32 v11, v10, v11
	v_cmp_le_u32_e32 vcc_lo, s6, v9
	v_sub_nc_u32_e32 v8, v8, v15
	v_mul_hi_u32 v15, v11, s4
	v_cndmask_b32_e32 v14, v20, v14, vcc_lo
	v_dual_cndmask_b32 v9, v9, v18, vcc_lo :: v_dual_sub_nc_u32 v19, v19, v21
	s_delay_alu instid0(VALU_DEP_2) | instskip(NEXT) | instid1(VALU_DEP_2)
	v_dual_add_nc_u32 v21, 1, v13 :: v_dual_add_nc_u32 v18, 1, v14
	v_cmp_le_u32_e64 s0, s6, v9
	s_delay_alu instid0(VALU_DEP_3) | instskip(SKIP_2) | instid1(VALU_DEP_4)
	v_cmp_le_u32_e32 vcc_lo, s6, v19
	v_subrev_nc_u32_e32 v25, s6, v19
	v_mul_lo_u32 v24, v15, s6
	v_dual_cndmask_b32 v9, v14, v18, s0 :: v_dual_cndmask_b32 v13, v13, v21, vcc_lo
	s_delay_alu instid0(VALU_DEP_3) | instskip(NEXT) | instid1(VALU_DEP_2)
	v_dual_cndmask_b32 v18, v19, v25 :: v_dual_add_nc_u32 v21, 1, v15
	v_add_nc_u32_e32 v19, 1, v13
	s_delay_alu instid0(VALU_DEP_2) | instskip(SKIP_1) | instid1(VALU_DEP_1)
	v_cmp_le_u32_e64 s0, s6, v18
	v_sub_nc_u32_e32 v11, v11, v24
	v_subrev_nc_u32_e32 v25, s6, v11
	v_cmp_le_u32_e32 vcc_lo, s6, v11
	v_add_nc_u32_e32 v20, 0xa00, v2
	s_delay_alu instid0(VALU_DEP_3) | instskip(NEXT) | instid1(VALU_DEP_2)
	v_dual_cndmask_b32 v11, v11, v25 :: v_dual_sub_nc_u32 v2, 0xfffff500, v2
	v_max_i32_e32 v22, v20, v22
	s_delay_alu instid0(VALU_DEP_2) | instskip(SKIP_2) | instid1(VALU_DEP_4)
	v_max_i32_e32 v2, v23, v2
	v_dual_cndmask_b32 v15, v15, v21 :: v_dual_ashrrev_i32 v10, 31, v10
	v_dual_cndmask_b32 v13, v13, v19, s0 :: v_dual_ashrrev_i32 v19, 31, v20
	v_mul_hi_u32 v26, v22, s4
	s_delay_alu instid0(VALU_DEP_4) | instskip(NEXT) | instid1(VALU_DEP_4)
	v_mul_hi_u32 v14, v2, s4
	v_dual_add_nc_u32 v18, 1, v15 :: v_dual_bitop2_b32 v10, s7, v10 bitop3:0x14
	v_cmp_le_u32_e32 vcc_lo, s6, v11
	s_delay_alu instid0(VALU_DEP_2) | instskip(SKIP_3) | instid1(VALU_DEP_2)
	v_dual_cndmask_b32 v11, v15, v18, vcc_lo :: v_dual_bitop2_b32 v15, s7, v19 bitop3:0x14
	v_add_nc_u32_e32 v18, 1, v26
	v_mul_lo_u32 v24, v26, s6
	v_mul_lo_u32 v21, v14, s6
	v_sub_nc_u32_e32 v20, v22, v24
	s_delay_alu instid0(VALU_DEP_2) | instskip(NEXT) | instid1(VALU_DEP_2)
	v_dual_sub_nc_u32 v2, v2, v21 :: v_dual_add_nc_u32 v21, 1, v14
	v_subrev_nc_u32_e32 v19, s6, v20
	v_cmp_le_u32_e32 vcc_lo, s6, v20
	s_delay_alu instid0(VALU_DEP_3) | instskip(SKIP_1) | instid1(VALU_DEP_4)
	v_cmp_le_u32_e64 s0, s6, v2
	v_subrev_nc_u32_e32 v22, s6, v2
	v_dual_cndmask_b32 v18, v26, v18 :: v_dual_cndmask_b32 v19, v20, v19
	s_delay_alu instid0(VALU_DEP_3) | instskip(NEXT) | instid1(VALU_DEP_3)
	v_dual_cndmask_b32 v14, v14, v21, s0 :: v_dual_ashrrev_i32 v21, 31, v23
	v_cndmask_b32_e64 v2, v2, v22, s0
	s_delay_alu instid0(VALU_DEP_3) | instskip(NEXT) | instid1(VALU_DEP_4)
	v_add_nc_u32_e32 v20, 1, v18
	v_cmp_le_u32_e32 vcc_lo, s6, v19
	s_delay_alu instid0(VALU_DEP_2) | instskip(SKIP_2) | instid1(VALU_DEP_2)
	v_dual_cndmask_b32 v18, v18, v20, vcc_lo :: v_dual_bitop2_b32 v19, s7, v21 bitop3:0x14
	v_ashrrev_i32_e32 v17, 31, v17
	v_cmp_le_u32_e32 vcc_lo, s6, v2
	v_dual_add_nc_u32 v22, 1, v14 :: v_dual_bitop2_b32 v17, s7, v17 bitop3:0x14
	v_xor_b32_e32 v9, v9, v12
	v_xor_b32_e32 v11, v11, v10
	s_delay_alu instid0(VALU_DEP_3) | instskip(NEXT) | instid1(VALU_DEP_3)
	v_dual_cndmask_b32 v2, v14, v22, vcc_lo :: v_dual_bitop2_b32 v13, v13, v17 bitop3:0x14
	v_dual_sub_nc_u32 v9, v9, v12 :: v_dual_bitop2_b32 v14, v18, v15 bitop3:0x14
	s_delay_alu instid0(VALU_DEP_2) | instskip(NEXT) | instid1(VALU_DEP_3)
	v_dual_sub_nc_u32 v10, v11, v10 :: v_dual_sub_nc_u32 v12, v13, v17
	v_xor_b32_e32 v2, v2, v19
	s_delay_alu instid0(VALU_DEP_3) | instskip(NEXT) | instid1(VALU_DEP_2)
	v_sub_nc_u32_e32 v11, v14, v15
	v_sub_nc_u32_e32 v2, v2, v19
	ds_store_2addr_stride64_b32 v16, v1, v3 offset1:4
	ds_store_2addr_stride64_b32 v16, v6, v4 offset0:8 offset1:12
	ds_store_2addr_stride64_b32 v16, v7, v5 offset0:16 offset1:20
	;; [unrolled: 1-line block ×5, first 2 shown]
	v_mad_u32_u24 v1, v0, 44, v16
	s_wait_dscnt 0x0
	s_barrier_signal -1
	s_barrier_wait -1
	ds_load_b128 v[2:5], v1
	ds_load_b128 v[10:13], v1 offset:16
	ds_load_b128 v[6:9], v1 offset:32
	s_cbranch_scc1 .LBB119_190
; %bb.73:
	s_and_not1_b32 vcc_lo, exec_lo, s42
	s_cbranch_vccnz .LBB119_192
; %bb.74:
	s_lshl_b64 s[0:1], s[28:29], 2
	s_delay_alu instid0(SALU_CYCLE_1) | instskip(NEXT) | instid1(SALU_CYCLE_1)
	s_add_nc_u64 s[0:1], s[30:31], s[0:1]
	s_add_nc_u64 s[0:1], s[0:1], -4
	s_load_b32 s0, s[0:1], 0x0
	s_wait_xcnt 0x0
	s_cbranch_execnz .LBB119_76
.LBB119_75:
	s_add_co_i32 s10, s16, -1
	s_wait_kmcnt 0x0
	s_sub_co_i32 s0, 1, s16
	s_mov_b32 s1, 0
	s_max_i32 s0, s10, s0
	s_delay_alu instid0(SALU_CYCLE_1)
	s_mul_u64 s[8:9], s[0:1], s[4:5]
	s_ashr_i32 s1, s10, 31
	s_mul_i32 s8, s9, s6
	s_xor_b32 s1, s1, s7
	s_sub_co_i32 s0, s0, s8
	s_add_co_i32 s8, s9, 1
	s_sub_co_i32 s10, s0, s6
	s_cmp_ge_u32 s0, s6
	s_cselect_b32 s8, s8, s9
	s_cselect_b32 s0, s10, s0
	s_add_co_i32 s9, s8, 1
	s_cmp_ge_u32 s0, s6
	s_cselect_b32 s0, s9, s8
	s_delay_alu instid0(SALU_CYCLE_1) | instskip(NEXT) | instid1(SALU_CYCLE_1)
	s_xor_b32 s0, s0, s1
	s_sub_co_i32 s0, s0, s1
.LBB119_76:
	s_cbranch_execnz .LBB119_78
.LBB119_77:
	s_wait_kmcnt 0x0
	s_abs_i32 s0, s16
	s_mov_b32 s1, 0
	s_delay_alu instid0(SALU_CYCLE_1)
	s_mul_u64 s[4:5], s[0:1], s[4:5]
	s_ashr_i32 s1, s16, 31
	s_mul_i32 s4, s5, s6
	s_xor_b32 s1, s1, s7
	s_sub_co_i32 s0, s0, s4
	s_add_co_i32 s4, s5, 1
	s_sub_co_i32 s7, s0, s6
	s_cmp_ge_u32 s0, s6
	s_cselect_b32 s4, s4, s5
	s_cselect_b32 s0, s7, s0
	s_add_co_i32 s5, s4, 1
	s_cmp_ge_u32 s0, s6
	s_cselect_b32 s0, s5, s4
	s_delay_alu instid0(SALU_CYCLE_1) | instskip(NEXT) | instid1(SALU_CYCLE_1)
	s_xor_b32 s0, s0, s1
	s_sub_co_i32 s0, s0, s1
.LBB119_78:
	v_mad_i32_i24 v15, 0xffffffd4, v0, v1
	s_wait_kmcnt 0x0
	v_mov_b32_e32 v14, s0
	s_wait_dscnt 0x0
	ds_store_b32 v15, v9 offset:12288
	s_wait_dscnt 0x0
	s_barrier_signal -1
	s_barrier_wait -1
	s_and_saveexec_b32 s0, s3
; %bb.79:
	v_mul_i32_i24_e32 v14, 0xffffffd4, v0
	s_delay_alu instid0(VALU_DEP_1)
	v_add_nc_u32_e32 v14, v1, v14
	ds_load_b32 v14, v14 offset:12284
; %bb.80:
	s_or_b32 exec_lo, exec_lo, s0
	s_wait_dscnt 0x0
	s_barrier_signal -1
	s_barrier_wait -1
	s_clause 0xb
	flat_load_b32 v15, v0, s[14:15] scale_offset
	flat_load_b32 v17, v0, s[14:15] offset:1024 scale_offset
	flat_load_b32 v18, v0, s[14:15] offset:2048 scale_offset
	;; [unrolled: 1-line block ×11, first 2 shown]
	v_cmp_ne_u32_e32 vcc_lo, v14, v2
	v_cmp_ne_u32_e64 s4, v8, v9
	s_mov_b32 s41, -1
	s_wait_loadcnt_dscnt 0xa0a
	ds_store_2addr_stride64_b32 v16, v15, v17 offset1:4
	s_wait_loadcnt_dscnt 0x809
	ds_store_2addr_stride64_b32 v16, v18, v20 offset0:8 offset1:12
	s_wait_loadcnt_dscnt 0x608
	ds_store_2addr_stride64_b32 v16, v21, v22 offset0:16 offset1:20
	;; [unrolled: 2-line block ×5, first 2 shown]
	v_cndmask_b32_e64 v19, 0, 1, vcc_lo
	v_cmp_ne_u32_e32 vcc_lo, v2, v3
	s_wait_dscnt 0x0
	s_barrier_signal -1
	s_barrier_wait -1
	v_cndmask_b32_e64 v43, 0, 1, vcc_lo
	v_cmp_ne_u32_e32 vcc_lo, v3, v4
	ds_load_b128 v[22:25], v1
	ds_load_b128 v[26:29], v1 offset:16
	v_cndmask_b32_e64 v47, 0, 1, vcc_lo
	v_cmp_ne_u32_e32 vcc_lo, v4, v5
	v_cndmask_b32_e64 v45, 0, 1, vcc_lo
	v_cmp_ne_u32_e32 vcc_lo, v5, v10
	ds_load_b128 v[2:5], v1 offset:32
	v_cndmask_b32_e64 v49, 0, 1, vcc_lo
	v_cmp_ne_u32_e32 vcc_lo, v10, v11
	s_wait_dscnt 0x2
	v_dual_mov_b32 v18, v22 :: v_dual_mov_b32 v42, v23
	v_cndmask_b32_e64 v51, 0, 1, vcc_lo
	v_cmp_ne_u32_e32 vcc_lo, v11, v12
	v_dual_mov_b32 v46, v24 :: v_dual_mov_b32 v44, v25
	s_wait_dscnt 0x1
	v_dual_mov_b32 v48, v26 :: v_dual_mov_b32 v50, v27
	v_cndmask_b32_e64 v53, 0, 1, vcc_lo
	v_cmp_ne_u32_e32 vcc_lo, v12, v13
	v_dual_mov_b32 v52, v28 :: v_dual_mov_b32 v54, v29
	s_wait_dscnt 0x0
	v_dual_mov_b32 v56, v2 :: v_dual_mov_b32 v58, v3
	v_cndmask_b32_e64 v55, 0, 1, vcc_lo
	v_cmp_ne_u32_e32 vcc_lo, v13, v6
	v_mov_b64_e32 v[38:39], v[42:43]
	v_mov_b64_e32 v[36:37], v[46:47]
	;; [unrolled: 1-line block ×4, first 2 shown]
	v_cndmask_b32_e64 v57, 0, 1, vcc_lo
	v_cmp_ne_u32_e32 vcc_lo, v6, v7
	v_mov_b64_e32 v[30:31], v[50:51]
	v_mov_b64_e32 v[28:29], v[52:53]
	;; [unrolled: 1-line block ×4, first 2 shown]
	v_cndmask_b32_e64 v59, 0, 1, vcc_lo
	v_cmp_ne_u32_e32 vcc_lo, v7, v8
	v_mov_b32_e32 v20, v4
	s_delay_alu instid0(VALU_DEP_3)
	v_mov_b64_e32 v[22:23], v[58:59]
	v_cndmask_b32_e64 v21, 0, 1, vcc_lo
.LBB119_81:
	v_mov_b64_e32 v[40:41], 0
	s_and_saveexec_b32 s0, s41
	s_cbranch_execz .LBB119_83
; %bb.82:
	v_mov_b64_e32 v[22:23], v[58:59]
	v_mov_b64_e32 v[24:25], v[56:57]
	;; [unrolled: 1-line block ×9, first 2 shown]
	v_cndmask_b32_e64 v41, 0, 1, s4
	v_mov_b32_e32 v40, v5
.LBB119_83:
	s_or_b32 exec_lo, exec_lo, s0
	v_dual_lshrrev_b32 v1, 2, v0 :: v_dual_bitop2_b32 v42, v27, v25 bitop3:0x54
	v_or_b32_e32 v17, v23, v21
	s_cmp_lg_u32 s40, 0
	s_wait_dscnt 0x0
	v_cmp_gt_u32_e32 vcc_lo, 32, v0
	s_barrier_signal -1
	s_barrier_wait -1
	s_cbranch_scc0 .LBB119_111
; %bb.84:
	s_mov_b64 s[12:13], 0x100000000
	v_or3_b32 v3, v42, v29, v31
	v_cmp_gt_u64_e64 s0, s[12:13], v[38:39]
	v_cmp_gt_u64_e64 s1, s[12:13], v[36:37]
	;; [unrolled: 1-line block ×7, first 2 shown]
	v_dual_cndmask_b32 v2, 0, v18, s0 :: v_dual_bitop2_b32 v5, 56, v1 bitop3:0x40
	v_cmp_gt_u64_e64 s9, s[12:13], v[24:25]
	v_cmp_gt_u64_e64 s10, s[12:13], v[22:23]
	;; [unrolled: 1-line block ×4, first 2 shown]
	v_add_nc_u32_e32 v2, v2, v38
	v_or3_b32 v3, v3, v33, v35
	v_lshl_add_u32 v5, v0, 3, v5
	s_delay_alu instid0(VALU_DEP_3) | instskip(NEXT) | instid1(VALU_DEP_3)
	v_cndmask_b32_e64 v2, 0, v2, s1
	v_or3_b32 v3, v3, v37, v39
	s_delay_alu instid0(VALU_DEP_2) | instskip(NEXT) | instid1(VALU_DEP_2)
	v_add_nc_u32_e32 v2, v2, v36
	v_or3_b32 v3, v41, v17, v3
	s_delay_alu instid0(VALU_DEP_2) | instskip(NEXT) | instid1(VALU_DEP_2)
	v_cndmask_b32_e64 v2, 0, v2, s4
	v_and_b32_e32 v3, 0xff, v3
	s_delay_alu instid0(VALU_DEP_2) | instskip(NEXT) | instid1(VALU_DEP_1)
	v_add_nc_u32_e32 v2, v2, v34
	v_cndmask_b32_e64 v2, 0, v2, s5
	s_delay_alu instid0(VALU_DEP_1) | instskip(NEXT) | instid1(VALU_DEP_1)
	v_add_nc_u32_e32 v2, v2, v32
	v_cndmask_b32_e64 v2, 0, v2, s6
	s_delay_alu instid0(VALU_DEP_1) | instskip(NEXT) | instid1(VALU_DEP_1)
	;; [unrolled: 3-line block ×7, first 2 shown]
	v_dual_add_nc_u32 v4, v2, v20 :: v_dual_mov_b32 v2, 0
	v_cndmask_b32_e64 v4, 0, v4, s12
	s_delay_alu instid0(VALU_DEP_2) | instskip(NEXT) | instid1(VALU_DEP_1)
	v_cmp_eq_u64_e64 s13, 0, v[2:3]
	v_dual_add_nc_u32 v12, v4, v40 :: v_dual_cndmask_b32 v13, 1, v19, s13
	ds_store_b32 v5, v12
	ds_store_b8 v5, v13 offset:4
	s_wait_dscnt 0x0
	s_barrier_signal -1
	s_barrier_wait -1
	s_and_saveexec_b32 s14, vcc_lo
	s_cbranch_execz .LBB119_94
; %bb.85:
	v_dual_lshlrev_b32 v2, 1, v0 :: v_dual_lshlrev_b32 v3, 6, v0
	s_mov_b32 s15, exec_lo
	s_delay_alu instid0(VALU_DEP_1) | instskip(NEXT) | instid1(VALU_DEP_1)
	v_and_b32_e32 v2, 0x1f8, v2
	v_add_nc_u32_e32 v4, v2, v3
	ds_load_u8 v5, v4 offset:12
	ds_load_b64 v[2:3], v4
	ds_load_2addr_b32 v[6:7], v4 offset0:2 offset1:4
	ds_load_u8 v10, v4 offset:20
	ds_load_u8 v11, v4 offset:28
	;; [unrolled: 1-line block ×5, first 2 shown]
	ds_load_b32 v44, v4 offset:56
	s_wait_dscnt 0x8
	v_cmp_eq_u16_e64 s13, 0, v5
	s_wait_dscnt 0x5
	s_delay_alu instid0(VALU_DEP_1)
	v_dual_cndmask_b32 v45, 0, v2, s13 :: v_dual_bitop2_b32 v5, v10, v5 bitop3:0x54
	ds_load_2addr_b32 v[8:9], v4 offset0:6 offset1:8
	v_cmp_eq_u16_e64 s13, 0, v10
	s_wait_dscnt 0x4
	v_bitop3_b16 v5, v5, v14, v11 bitop3:0xfe
	v_add_nc_u32_e32 v6, v45, v6
	s_delay_alu instid0(VALU_DEP_1) | instskip(SKIP_1) | instid1(VALU_DEP_2)
	v_cndmask_b32_e64 v6, 0, v6, s13
	v_cmp_eq_u16_e64 s13, 0, v11
	v_add_nc_u32_e32 v6, v6, v7
	s_delay_alu instid0(VALU_DEP_1)
	v_cndmask_b32_e64 v45, 0, v6, s13
	ds_load_2addr_b32 v[6:7], v4 offset0:10 offset1:12
	v_cmp_eq_u16_e64 s13, 0, v14
	s_wait_dscnt 0x1
	v_add_nc_u32_e32 v8, v45, v8
	ds_load_u8 v45, v4 offset:60
	v_cndmask_b32_e64 v8, 0, v8, s13
	v_cmp_eq_u16_e64 s13, 0, v15
	s_delay_alu instid0(VALU_DEP_2) | instskip(SKIP_1) | instid1(VALU_DEP_2)
	v_add_nc_u32_e32 v8, v8, v9
	v_bitop3_b16 v9, v5, v43, v15 bitop3:0xfe
	v_dual_cndmask_b32 v8, 0, v8, s13 :: v_dual_bitop2_b32 v5, 1, v3 bitop3:0x40
	s_delay_alu instid0(VALU_DEP_2) | instskip(SKIP_1) | instid1(VALU_DEP_2)
	v_cmp_eq_u16_e64 s13, 0, v9
	s_wait_dscnt 0x0
	v_dual_add_nc_u32 v6, v8, v6 :: v_dual_bitop2_b32 v8, 1, v45 bitop3:0x40
	s_delay_alu instid0(VALU_DEP_2) | instskip(SKIP_1) | instid1(VALU_DEP_1)
	v_cndmask_b32_e64 v9, 1, v5, s13
	v_cmp_eq_u16_e64 s13, 0, v43
	v_cndmask_b32_e64 v6, 0, v6, s13
	s_delay_alu instid0(VALU_DEP_4) | instskip(SKIP_1) | instid1(VALU_DEP_2)
	v_cmp_eq_u32_e64 s13, 1, v8
	v_mbcnt_lo_u32_b32 v8, -1, 0
	v_cndmask_b32_e64 v9, v9, 1, s13
	v_cmp_eq_u16_e64 s13, 0, v45
	s_delay_alu instid0(VALU_DEP_2) | instskip(SKIP_2) | instid1(VALU_DEP_1)
	v_and_b32_e32 v10, 0xffff, v9
	v_add_nc_u32_e32 v7, v6, v7
	v_and_b32_e32 v6, 0xffffff00, v3
	v_dual_cndmask_b32 v7, 0, v7, s13 :: v_dual_bitop2_b32 v11, v6, v10 bitop3:0x54
	v_and_b32_e32 v10, 15, v8
	s_delay_alu instid0(VALU_DEP_2) | instskip(NEXT) | instid1(VALU_DEP_3)
	v_mov_b32_dpp v15, v11 row_shr:1 row_mask:0xf bank_mask:0xf
	v_add_nc_u32_e32 v7, v7, v44
	s_delay_alu instid0(VALU_DEP_1) | instskip(NEXT) | instid1(VALU_DEP_4)
	v_mov_b32_dpp v14, v7 row_shr:1 row_mask:0xf bank_mask:0xf
	v_cmpx_ne_u32_e32 0, v10
	s_cbranch_execz .LBB119_87
; %bb.86:
	v_and_b32_e32 v11, 1, v9
	v_and_b32_e32 v15, 1, v15
	s_delay_alu instid0(VALU_DEP_2) | instskip(NEXT) | instid1(VALU_DEP_1)
	v_cmp_eq_u32_e64 s13, 1, v11
	v_cndmask_b32_e64 v15, v15, 1, s13
	v_cmp_eq_u16_e64 s13, 0, v9
	s_delay_alu instid0(VALU_DEP_2) | instskip(NEXT) | instid1(VALU_DEP_1)
	v_and_b32_e32 v11, 0xffff, v15
	v_dual_cndmask_b32 v9, 0, v14, s13 :: v_dual_bitop2_b32 v11, v6, v11 bitop3:0x54
	s_delay_alu instid0(VALU_DEP_1)
	v_dual_add_nc_u32 v7, v9, v7 :: v_dual_mov_b32 v9, v15
.LBB119_87:
	s_or_b32 exec_lo, exec_lo, s15
	s_delay_alu instid0(VALU_DEP_1) | instskip(NEXT) | instid1(VALU_DEP_3)
	v_mov_b32_dpp v14, v7 row_shr:2 row_mask:0xf bank_mask:0xf
	v_mov_b32_dpp v15, v11 row_shr:2 row_mask:0xf bank_mask:0xf
	s_mov_b32 s15, exec_lo
	v_cmpx_lt_u32_e32 1, v10
	s_cbranch_execz .LBB119_89
; %bb.88:
	v_and_b32_e32 v11, 1, v9
	v_and_b32_e32 v15, 1, v15
	s_delay_alu instid0(VALU_DEP_2) | instskip(NEXT) | instid1(VALU_DEP_1)
	v_cmp_eq_u32_e64 s13, 1, v11
	v_cndmask_b32_e64 v15, v15, 1, s13
	v_cmp_eq_u16_e64 s13, 0, v9
	s_delay_alu instid0(VALU_DEP_2) | instskip(NEXT) | instid1(VALU_DEP_1)
	v_and_b32_e32 v11, 0xffff, v15
	v_dual_cndmask_b32 v9, 0, v14, s13 :: v_dual_bitop2_b32 v11, v6, v11 bitop3:0x54
	s_delay_alu instid0(VALU_DEP_1)
	v_dual_add_nc_u32 v7, v9, v7 :: v_dual_mov_b32 v9, v15
.LBB119_89:
	s_or_b32 exec_lo, exec_lo, s15
	s_delay_alu instid0(VALU_DEP_1) | instskip(NEXT) | instid1(VALU_DEP_3)
	v_mov_b32_dpp v14, v7 row_shr:4 row_mask:0xf bank_mask:0xf
	v_mov_b32_dpp v15, v11 row_shr:4 row_mask:0xf bank_mask:0xf
	s_mov_b32 s15, exec_lo
	v_cmpx_lt_u32_e32 3, v10
	;; [unrolled: 20-line block ×3, first 2 shown]
	s_cbranch_execz .LBB119_93
; %bb.92:
	v_and_b32_e32 v10, 1, v9
	v_and_b32_e32 v11, 1, v15
	s_delay_alu instid0(VALU_DEP_2) | instskip(NEXT) | instid1(VALU_DEP_1)
	v_cmp_eq_u32_e64 s13, 1, v10
	v_cndmask_b32_e64 v10, v11, 1, s13
	v_cmp_eq_u16_e64 s13, 0, v9
	s_delay_alu instid0(VALU_DEP_2) | instskip(NEXT) | instid1(VALU_DEP_1)
	v_and_b32_e32 v11, 0xffff, v10
	v_dual_cndmask_b32 v9, 0, v14, s13 :: v_dual_bitop2_b32 v11, v6, v11 bitop3:0x54
	s_delay_alu instid0(VALU_DEP_1)
	v_dual_add_nc_u32 v7, v9, v7 :: v_dual_mov_b32 v9, v10
.LBB119_93:
	s_or_b32 exec_lo, exec_lo, s15
	ds_swizzle_b32 v10, v11 offset:swizzle(BROADCAST,32,15)
	ds_swizzle_b32 v11, v7 offset:swizzle(BROADCAST,32,15)
	v_and_b32_e32 v14, 1, v9
	v_bfe_i32 v43, v8, 4, 1
	v_and_b32_e32 v3, 0xff, v3
	; wave barrier
	s_delay_alu instid0(VALU_DEP_3) | instskip(SKIP_2) | instid1(VALU_DEP_1)
	v_cmp_eq_u32_e64 s13, 1, v14
	s_wait_dscnt 0x1
	v_dual_add_nc_u32 v14, -1, v8 :: v_dual_bitop2_b32 v10, 1, v10 bitop3:0x40
	v_cndmask_b32_e64 v10, v10, 1, s13
	v_and_b32_e32 v15, 16, v8
	v_cmp_eq_u16_e64 s13, 0, v9
	s_wait_dscnt 0x0
	s_delay_alu instid0(VALU_DEP_1) | instskip(NEXT) | instid1(VALU_DEP_3)
	v_cndmask_b32_e64 v11, 0, v11, s13
	v_cmp_eq_u32_e64 s13, 0, v15
	s_delay_alu instid0(VALU_DEP_1) | instskip(SKIP_1) | instid1(VALU_DEP_4)
	v_cndmask_b32_e64 v9, v10, v9, s13
	v_cmp_gt_i32_e64 s13, 0, v14
	v_and_b32_e32 v10, v43, v11
	s_delay_alu instid0(VALU_DEP_3) | instskip(NEXT) | instid1(VALU_DEP_3)
	v_and_b32_e32 v9, 0xffff, v9
	v_cndmask_b32_e64 v8, v14, v8, s13
	s_delay_alu instid0(VALU_DEP_3) | instskip(SKIP_1) | instid1(VALU_DEP_3)
	v_add_nc_u32_e32 v7, v10, v7
	v_cmp_eq_u16_e64 s13, 0, v3
	v_lshlrev_b32_e32 v8, 2, v8
	ds_bpermute_b32 v7, v8, v7
	s_wait_dscnt 0x0
	v_dual_cndmask_b32 v3, 0, v7, s13 :: v_dual_bitop2_b32 v6, v6, v9 bitop3:0x54
	ds_bpermute_b32 v6, v8, v6
	v_cmp_eq_u32_e64 s13, 1, v5
	v_add_nc_u32_e32 v2, v3, v2
	s_wait_dscnt 0x0
	s_delay_alu instid0(VALU_DEP_1) | instskip(NEXT) | instid1(VALU_DEP_1)
	v_dual_cndmask_b32 v5, v2, v12, s2 :: v_dual_bitop2_b32 v6, 1, v6 bitop3:0x40
	v_cndmask_b32_e64 v3, v6, 1, s13
	s_delay_alu instid0(VALU_DEP_1)
	v_cndmask_b32_e64 v8, v3, v13, s2
	ds_store_b32 v4, v5
	ds_store_b8 v4, v8 offset:4
	; wave barrier
	ds_load_u8 v9, v4 offset:12
	ds_load_2addr_b32 v[2:3], v4 offset0:2 offset1:4
	ds_load_u8 v10, v4 offset:20
	ds_load_u8 v11, v4 offset:28
	;; [unrolled: 1-line block ×5, first 2 shown]
	ds_load_b32 v44, v4 offset:56
	ds_load_u8 v45, v4 offset:60
	ds_load_2addr_b32 v[6:7], v4 offset0:6 offset1:8
	s_wait_dscnt 0x9
	v_cmp_eq_u16_e64 s13, 0, v9
	v_and_b32_e32 v9, 1, v9
	s_delay_alu instid0(VALU_DEP_2) | instskip(SKIP_2) | instid1(VALU_DEP_2)
	v_cndmask_b32_e64 v5, 0, v5, s13
	s_wait_dscnt 0x7
	v_cmp_eq_u16_e64 s13, 0, v10
	v_add_nc_u32_e32 v5, v5, v2
	s_delay_alu instid0(VALU_DEP_1) | instskip(SKIP_2) | instid1(VALU_DEP_2)
	v_cndmask_b32_e64 v2, 0, v5, s13
	s_wait_dscnt 0x6
	v_cmp_eq_u16_e64 s13, 0, v11
	v_add_nc_u32_e32 v46, v2, v3
	ds_load_2addr_b32 v[2:3], v4 offset0:10 offset1:12
	v_cndmask_b32_e64 v47, 0, v46, s13
	s_wait_dscnt 0x6
	v_cmp_eq_u16_e64 s13, 0, v14
	ds_store_2addr_b32 v4, v5, v46 offset0:2 offset1:4
	s_wait_dscnt 0x2
	v_add_nc_u32_e32 v6, v47, v6
	s_delay_alu instid0(VALU_DEP_1) | instskip(SKIP_3) | instid1(VALU_DEP_4)
	v_cndmask_b32_e64 v47, 0, v6, s13
	v_and_b32_e32 v10, 1, v10
	v_cmp_eq_u32_e64 s13, 1, v9
	v_and_b32_e32 v9, 1, v11
	v_dual_add_nc_u32 v7, v47, v7 :: v_dual_bitop2_b32 v11, 1, v14 bitop3:0x40
	s_delay_alu instid0(VALU_DEP_3) | instskip(SKIP_1) | instid1(VALU_DEP_1)
	v_cndmask_b32_e64 v8, v8, 1, s13
	v_cmp_eq_u32_e64 s13, 1, v10
	v_cndmask_b32_e64 v10, v8, 1, s13
	v_cmp_eq_u16_e64 s13, 0, v15
	s_delay_alu instid0(VALU_DEP_1) | instskip(SKIP_2) | instid1(VALU_DEP_2)
	v_cndmask_b32_e64 v14, 0, v7, s13
	v_cmp_eq_u32_e64 s13, 1, v9
	s_wait_dscnt 0x1
	v_dual_add_nc_u32 v2, v14, v2 :: v_dual_bitop2_b32 v15, 1, v15 bitop3:0x40
	s_delay_alu instid0(VALU_DEP_2) | instskip(SKIP_1) | instid1(VALU_DEP_1)
	v_cndmask_b32_e64 v9, v10, 1, s13
	v_cmp_eq_u32_e64 s13, 1, v11
	v_cndmask_b32_e64 v11, v9, 1, s13
	v_cmp_eq_u16_e64 s13, 0, v43
	s_delay_alu instid0(VALU_DEP_1) | instskip(SKIP_1) | instid1(VALU_DEP_2)
	v_dual_cndmask_b32 v43, 0, v2, s13 :: v_dual_bitop2_b32 v14, 1, v43 bitop3:0x40
	v_cmp_eq_u32_e64 s13, 1, v15
	v_add_nc_u32_e32 v3, v43, v3
	s_delay_alu instid0(VALU_DEP_2) | instskip(NEXT) | instid1(VALU_DEP_4)
	v_cndmask_b32_e64 v15, v11, 1, s13
	v_cmp_eq_u32_e64 s13, 1, v14
	ds_store_2addr_b32 v4, v6, v7 offset0:6 offset1:8
	ds_store_2addr_b32 v4, v2, v3 offset0:10 offset1:12
	v_cndmask_b32_e64 v14, v15, 1, s13
	v_cmp_eq_u16_e64 s13, 0, v45
	s_delay_alu instid0(VALU_DEP_1) | instskip(NEXT) | instid1(VALU_DEP_1)
	v_dual_cndmask_b32 v5, 0, v3, s13 :: v_dual_bitop2_b32 v47, 1, v45 bitop3:0x40
	v_cmp_eq_u32_e64 s13, 1, v47
	s_delay_alu instid0(VALU_DEP_2) | instskip(NEXT) | instid1(VALU_DEP_2)
	v_add_nc_u32_e32 v2, v5, v44
	v_cndmask_b32_e64 v43, v14, 1, s13
	ds_store_b8 v4, v8 offset:12
	ds_store_b8 v4, v10 offset:20
	;; [unrolled: 1-line block ×6, first 2 shown]
	ds_store_b32 v4, v2 offset:56
	ds_store_b8 v4, v43 offset:60
.LBB119_94:
	s_or_b32 exec_lo, exec_lo, s14
	s_wait_dscnt 0x0
	s_barrier_signal -1
	s_barrier_wait -1
	s_and_saveexec_b32 s13, s3
	s_cbranch_execz .LBB119_96
; %bb.95:
	v_add_nc_u32_e32 v2, -1, v0
	s_delay_alu instid0(VALU_DEP_1) | instskip(NEXT) | instid1(VALU_DEP_1)
	v_lshrrev_b32_e32 v3, 2, v2
	v_and_b32_e32 v3, 0x3ffffff8, v3
	s_delay_alu instid0(VALU_DEP_1)
	v_lshl_add_u32 v2, v2, 3, v3
	ds_load_b32 v12, v2
	ds_load_u8 v13, v2 offset:4
.LBB119_96:
	s_or_b32 exec_lo, exec_lo, s13
	s_and_saveexec_b32 s24, vcc_lo
	s_cbranch_execz .LBB119_156
; %bb.97:
	v_mov_b32_e32 v5, 0
	v_mbcnt_lo_u32_b32 v14, -1, 0
	s_mov_b32 s15, 0
	ds_load_b64 v[2:3], v5 offset:2096
	v_cmp_eq_u32_e64 s13, 0, v14
	s_and_saveexec_b32 s16, s13
	s_cbranch_execz .LBB119_99
; %bb.98:
	s_add_co_i32 s14, s40, 32
	v_mov_b32_e32 v4, 1
	s_lshl_b64 s[14:15], s[14:15], 4
	s_delay_alu instid0(SALU_CYCLE_1) | instskip(NEXT) | instid1(SALU_CYCLE_1)
	s_add_nc_u64 s[14:15], s[36:37], s[14:15]
	v_mov_b64_e32 v[6:7], s[14:15]
	s_wait_dscnt 0x0
	;;#ASMSTART
	global_store_b128 v[6:7], v[2:5] off scope:SCOPE_DEV	
s_wait_storecnt 0x0
	;;#ASMEND
.LBB119_99:
	s_or_b32 exec_lo, exec_lo, s16
	v_xad_u32 v8, v14, -1, s40
	s_mov_b32 s14, exec_lo
	s_delay_alu instid0(VALU_DEP_1) | instskip(NEXT) | instid1(VALU_DEP_1)
	v_add_nc_u32_e32 v4, 32, v8
	v_lshl_add_u64 v[10:11], v[4:5], 4, s[36:37]
	;;#ASMSTART
	global_load_b128 v[4:7], v[10:11] off scope:SCOPE_DEV	
s_wait_loadcnt 0x0
	;;#ASMEND
	v_and_b32_e32 v7, 0xff, v6
	v_and_b32_e32 v5, 0xff, v5
	s_delay_alu instid0(VALU_DEP_2)
	v_cmpx_eq_u16_e32 0, v7
	s_cbranch_execz .LBB119_103
; %bb.100:
	s_mov_b32 s15, 0
.LBB119_101:                            ; =>This Inner Loop Header: Depth=1
	;;#ASMSTART
	global_load_b128 v[4:7], v[10:11] off scope:SCOPE_DEV	
s_wait_loadcnt 0x0
	;;#ASMEND
	v_and_b32_e32 v7, 0xff, v6
	s_delay_alu instid0(VALU_DEP_1) | instskip(SKIP_1) | instid1(SALU_CYCLE_1)
	v_cmp_ne_u16_e32 vcc_lo, 0, v7
	s_or_b32 s15, vcc_lo, s15
	s_and_not1_b32 exec_lo, exec_lo, s15
	s_cbranch_execnz .LBB119_101
; %bb.102:
	s_or_b32 exec_lo, exec_lo, s15
	v_and_b32_e32 v5, 0xff, v5
.LBB119_103:
	s_or_b32 exec_lo, exec_lo, s14
	v_cmp_ne_u32_e32 vcc_lo, 31, v14
	v_and_b32_e32 v9, 0xff, v6
	v_lshlrev_b32_e64 v43, v14, -1
	s_mov_b64 s[16:17], 0x100000000
	v_lshl_or_b32 v52, v14, 2, 64
	v_add_co_ci_u32_e64 v7, null, 0, v14, vcc_lo
	v_cmp_eq_u16_e32 vcc_lo, 2, v9
	v_cmp_gt_u64_e64 s14, s[16:17], v[4:5]
	s_delay_alu instid0(VALU_DEP_3) | instskip(SKIP_1) | instid1(VALU_DEP_2)
	v_dual_lshlrev_b32 v15, 2, v7 :: v_dual_bitop2_b32 v10, 1, v5 bitop3:0x40
	v_and_or_b32 v9, vcc_lo, v43, 0x80000000
	v_cmp_eq_u32_e32 vcc_lo, 1, v10
	ds_bpermute_b32 v7, v15, v5
	ds_bpermute_b32 v10, v15, v4
	v_ctz_i32_b32_e32 v9, v9
	s_wait_dscnt 0x1
	v_and_b32_e32 v7, 1, v7
	s_delay_alu instid0(VALU_DEP_1) | instskip(SKIP_1) | instid1(VALU_DEP_2)
	v_cndmask_b32_e64 v7, v7, 1, vcc_lo
	v_cmp_gt_u32_e32 vcc_lo, 30, v14
	v_and_b32_e32 v45, 0xffff, v7
	v_cndmask_b32_e64 v11, 0, 2, vcc_lo
	v_cmp_lt_u32_e32 vcc_lo, v14, v9
	s_delay_alu instid0(VALU_DEP_2) | instskip(NEXT) | instid1(VALU_DEP_4)
	v_add_lshl_u32 v44, v11, v14, 2
	v_dual_cndmask_b32 v11, v5, v45, vcc_lo :: v_dual_cndmask_b32 v7, v5, v7, vcc_lo
	s_and_b32 vcc_lo, vcc_lo, s14
	v_add_nc_u32_e32 v45, 2, v14
	s_wait_dscnt 0x0
	v_cndmask_b32_e32 v10, 0, v10, vcc_lo
	ds_bpermute_b32 v5, v44, v11
	v_and_b32_e32 v46, 1, v7
	v_and_b32_e32 v48, 0xff, v7
	v_add_nc_u32_e32 v4, v10, v4
	s_delay_alu instid0(VALU_DEP_3) | instskip(NEXT) | instid1(VALU_DEP_3)
	v_cmp_eq_u32_e32 vcc_lo, 1, v46
	v_cmp_eq_u16_e64 s14, 0, v48
	ds_bpermute_b32 v10, v44, v4
	s_wait_dscnt 0x1
	v_and_b32_e32 v5, 1, v5
	s_delay_alu instid0(VALU_DEP_1) | instskip(SKIP_3) | instid1(VALU_DEP_3)
	v_cndmask_b32_e64 v5, v5, 1, vcc_lo
	v_cmp_gt_u32_e32 vcc_lo, 28, v14
	s_wait_dscnt 0x0
	v_cndmask_b32_e64 v10, 0, v10, s14
	v_and_b32_e32 v47, 0xffff, v5
	v_cndmask_b32_e64 v46, 0, 4, vcc_lo
	v_cmp_gt_u32_e32 vcc_lo, v45, v9
	s_delay_alu instid0(VALU_DEP_2) | instskip(SKIP_3) | instid1(VALU_DEP_2)
	v_add_lshl_u32 v46, v46, v14, 2
	v_cndmask_b32_e32 v5, v5, v7, vcc_lo
	v_cndmask_b32_e64 v10, v10, 0, vcc_lo
	v_dual_cndmask_b32 v7, v47, v11, vcc_lo :: v_dual_add_nc_u32 v47, 4, v14
	v_dual_add_nc_u32 v4, v10, v4 :: v_dual_bitop2_b32 v48, 1, v5 bitop3:0x40
	ds_bpermute_b32 v11, v46, v7
	v_cmp_eq_u32_e32 vcc_lo, 1, v48
	ds_bpermute_b32 v10, v46, v4
	v_and_b32_e32 v48, 0xff, v5
	s_delay_alu instid0(VALU_DEP_1) | instskip(SKIP_1) | instid1(VALU_DEP_1)
	v_cmp_eq_u16_e64 s14, 0, v48
	s_wait_dscnt 0x0
	v_dual_cndmask_b32 v10, 0, v10, s14 :: v_dual_bitop2_b32 v11, 1, v11 bitop3:0x40
	s_delay_alu instid0(VALU_DEP_1) | instskip(SKIP_1) | instid1(VALU_DEP_2)
	v_cndmask_b32_e64 v11, v11, 1, vcc_lo
	v_cmp_gt_u32_e32 vcc_lo, 24, v14
	v_and_b32_e32 v50, 0xffff, v11
	v_cndmask_b32_e64 v49, 0, 8, vcc_lo
	v_cmp_gt_u32_e32 vcc_lo, v47, v9
	s_delay_alu instid0(VALU_DEP_2) | instskip(NEXT) | instid1(VALU_DEP_4)
	v_add_lshl_u32 v48, v49, v14, 2
	v_dual_cndmask_b32 v5, v11, v5, vcc_lo :: v_dual_cndmask_b32 v7, v50, v7, vcc_lo
	v_cndmask_b32_e64 v10, v10, 0, vcc_lo
	s_delay_alu instid0(VALU_DEP_2)
	v_dual_add_nc_u32 v49, 8, v14 :: v_dual_bitop2_b32 v50, 1, v5 bitop3:0x40
	ds_bpermute_b32 v11, v48, v7
	v_add_nc_u32_e32 v4, v10, v4
	v_and_b32_e32 v51, 0xff, v5
	v_cmp_eq_u32_e32 vcc_lo, 1, v50
	ds_bpermute_b32 v10, v48, v4
	s_wait_dscnt 0x1
	v_and_b32_e32 v11, 1, v11
	s_delay_alu instid0(VALU_DEP_1) | instskip(SKIP_1) | instid1(VALU_DEP_2)
	v_cndmask_b32_e64 v11, v11, 1, vcc_lo
	v_cmp_eq_u16_e32 vcc_lo, 0, v51
	v_and_b32_e32 v50, 0xffff, v11
	s_wait_dscnt 0x0
	v_cndmask_b32_e32 v10, 0, v10, vcc_lo
	v_cmp_gt_u32_e32 vcc_lo, v49, v9
	s_delay_alu instid0(VALU_DEP_3) | instskip(NEXT) | instid1(VALU_DEP_3)
	v_dual_cndmask_b32 v5, v11, v5, vcc_lo :: v_dual_cndmask_b32 v7, v50, v7, vcc_lo
	v_cndmask_b32_e64 v10, v10, 0, vcc_lo
	s_delay_alu instid0(VALU_DEP_2) | instskip(SKIP_3) | instid1(VALU_DEP_1)
	v_and_b32_e32 v50, 1, v5
	ds_bpermute_b32 v7, v52, v7
	v_add_nc_u32_e32 v4, v10, v4
	v_and_b32_e32 v11, 0xff, v5
	v_cmp_eq_u16_e32 vcc_lo, 0, v11
	s_wait_dscnt 0x0
	v_and_b32_e32 v7, 1, v7
	ds_bpermute_b32 v10, v52, v4
	s_wait_dscnt 0x0
	v_cndmask_b32_e32 v10, 0, v10, vcc_lo
	v_cmp_eq_u32_e32 vcc_lo, 1, v50
	v_cndmask_b32_e64 v7, v7, 1, vcc_lo
	v_add_nc_u32_e32 v53, 16, v14
	s_delay_alu instid0(VALU_DEP_1) | instskip(NEXT) | instid1(VALU_DEP_3)
	v_cmp_gt_u32_e32 vcc_lo, v53, v9
	v_dual_mov_b32 v9, 0 :: v_dual_cndmask_b32 v5, v7, v5, vcc_lo
	v_cndmask_b32_e64 v7, v10, 0, vcc_lo
	s_delay_alu instid0(VALU_DEP_1)
	v_add_nc_u32_e32 v4, v7, v4
	s_branch .LBB119_107
.LBB119_104:                            ;   in Loop: Header=BB119_107 Depth=1
	s_or_b32 exec_lo, exec_lo, s15
	v_and_b32_e32 v5, 0xff, v5
.LBB119_105:                            ;   in Loop: Header=BB119_107 Depth=1
	s_or_b32 exec_lo, exec_lo, s14
	ds_bpermute_b32 v7, v15, v5
	v_and_b32_e32 v10, 0xff, v6
	v_cmp_gt_u64_e64 s14, s[16:17], v[4:5]
	v_subrev_nc_u32_e32 v8, 32, v8
	s_delay_alu instid0(VALU_DEP_3) | instskip(SKIP_2) | instid1(VALU_DEP_2)
	v_cmp_eq_u16_e32 vcc_lo, 2, v10
	v_and_b32_e32 v10, 1, v5
	v_and_or_b32 v11, vcc_lo, v43, 0x80000000
	v_cmp_eq_u32_e32 vcc_lo, 1, v10
	s_delay_alu instid0(VALU_DEP_2) | instskip(SKIP_3) | instid1(VALU_DEP_1)
	v_ctz_i32_b32_e32 v10, v11
	ds_bpermute_b32 v11, v15, v4
	s_wait_dscnt 0x1
	v_and_b32_e32 v7, 1, v7
	v_cndmask_b32_e64 v7, v7, 1, vcc_lo
	v_cmp_lt_u32_e32 vcc_lo, v14, v10
	s_delay_alu instid0(VALU_DEP_2) | instskip(NEXT) | instid1(VALU_DEP_1)
	v_and_b32_e32 v54, 0xffff, v7
	v_dual_cndmask_b32 v7, v5, v7 :: v_dual_cndmask_b32 v54, v5, v54
	s_and_b32 vcc_lo, vcc_lo, s14
	s_delay_alu instid0(VALU_DEP_1)
	v_and_b32_e32 v56, 0xff, v7
	v_and_b32_e32 v55, 1, v7
	ds_bpermute_b32 v5, v44, v54
	s_wait_dscnt 0x1
	v_cndmask_b32_e32 v11, 0, v11, vcc_lo
	v_cmp_eq_u16_e64 s14, 0, v56
	v_cmp_eq_u32_e32 vcc_lo, 1, v55
	s_wait_dscnt 0x0
	s_delay_alu instid0(VALU_DEP_3) | instskip(NEXT) | instid1(VALU_DEP_1)
	v_dual_add_nc_u32 v4, v11, v4 :: v_dual_bitop2_b32 v5, 1, v5 bitop3:0x40
	v_cndmask_b32_e64 v5, v5, 1, vcc_lo
	ds_bpermute_b32 v11, v44, v4
	v_cmp_gt_u32_e32 vcc_lo, v45, v10
	v_and_b32_e32 v55, 0xffff, v5
	s_delay_alu instid0(VALU_DEP_1) | instskip(NEXT) | instid1(VALU_DEP_1)
	v_dual_cndmask_b32 v5, v5, v7, vcc_lo :: v_dual_cndmask_b32 v7, v55, v54, vcc_lo
	v_and_b32_e32 v55, 1, v5
	ds_bpermute_b32 v54, v46, v7
	s_wait_dscnt 0x1
	v_cndmask_b32_e64 v11, 0, v11, s14
	s_delay_alu instid0(VALU_DEP_1) | instskip(SKIP_2) | instid1(VALU_DEP_3)
	v_cndmask_b32_e64 v11, v11, 0, vcc_lo
	v_cmp_eq_u32_e32 vcc_lo, 1, v55
	v_and_b32_e32 v55, 0xff, v5
	v_add_nc_u32_e32 v4, v11, v4
	s_delay_alu instid0(VALU_DEP_2)
	v_cmp_eq_u16_e64 s14, 0, v55
	s_wait_dscnt 0x0
	v_and_b32_e32 v54, 1, v54
	ds_bpermute_b32 v11, v46, v4
	v_cndmask_b32_e64 v54, v54, 1, vcc_lo
	v_cmp_gt_u32_e32 vcc_lo, v47, v10
	s_delay_alu instid0(VALU_DEP_2) | instskip(SKIP_3) | instid1(VALU_DEP_1)
	v_and_b32_e32 v56, 0xffff, v54
	s_wait_dscnt 0x0
	v_dual_cndmask_b32 v5, v54, v5, vcc_lo :: v_dual_cndmask_b32 v11, 0, v11, s14
	s_mov_b32 s14, 0
	v_cndmask_b32_e64 v11, v11, 0, vcc_lo
	v_cndmask_b32_e32 v7, v56, v7, vcc_lo
	s_delay_alu instid0(VALU_DEP_3) | instskip(NEXT) | instid1(VALU_DEP_3)
	v_and_b32_e32 v56, 0xff, v5
	v_add_nc_u32_e32 v4, v11, v4
	ds_bpermute_b32 v54, v48, v7
	ds_bpermute_b32 v11, v48, v4
	v_and_b32_e32 v55, 1, v5
	s_delay_alu instid0(VALU_DEP_1) | instskip(SKIP_2) | instid1(VALU_DEP_1)
	v_cmp_eq_u32_e32 vcc_lo, 1, v55
	s_wait_dscnt 0x1
	v_and_b32_e32 v54, 1, v54
	v_cndmask_b32_e64 v54, v54, 1, vcc_lo
	v_cmp_eq_u16_e32 vcc_lo, 0, v56
	s_delay_alu instid0(VALU_DEP_2) | instskip(SKIP_3) | instid1(VALU_DEP_2)
	v_and_b32_e32 v55, 0xffff, v54
	s_wait_dscnt 0x0
	v_cndmask_b32_e32 v11, 0, v11, vcc_lo
	v_cmp_gt_u32_e32 vcc_lo, v49, v10
	v_cndmask_b32_e64 v11, v11, 0, vcc_lo
	v_dual_cndmask_b32 v7, v55, v7, vcc_lo :: v_dual_cndmask_b32 v5, v54, v5, vcc_lo
	s_delay_alu instid0(VALU_DEP_2) | instskip(SKIP_4) | instid1(VALU_DEP_1)
	v_add_nc_u32_e32 v4, v11, v4
	ds_bpermute_b32 v7, v52, v7
	v_and_b32_e32 v55, 0xff, v5
	ds_bpermute_b32 v11, v52, v4
	v_and_b32_e32 v54, 1, v5
	v_cmp_eq_u32_e32 vcc_lo, 1, v54
	s_wait_dscnt 0x1
	v_cndmask_b32_e64 v7, v7, 1, vcc_lo
	v_cmp_eq_u16_e32 vcc_lo, 0, v55
	s_wait_dscnt 0x0
	v_cndmask_b32_e32 v11, 0, v11, vcc_lo
	v_cmp_gt_u32_e32 vcc_lo, v53, v10
	v_and_b32_e32 v10, 0xff, v50
	v_cndmask_b32_e32 v5, v7, v5, vcc_lo
	s_delay_alu instid0(VALU_DEP_4) | instskip(NEXT) | instid1(VALU_DEP_3)
	v_cndmask_b32_e64 v7, v11, 0, vcc_lo
	v_cmp_eq_u16_e32 vcc_lo, 0, v10
	s_delay_alu instid0(VALU_DEP_2) | instskip(NEXT) | instid1(VALU_DEP_1)
	v_dual_add_nc_u32 v4, v7, v4 :: v_dual_bitop2_b32 v7, 1, v50 bitop3:0x40
	v_dual_cndmask_b32 v4, 0, v4, vcc_lo :: v_dual_bitop2_b32 v5, 1, v5 bitop3:0x40
	s_delay_alu instid0(VALU_DEP_2) | instskip(NEXT) | instid1(VALU_DEP_2)
	v_cmp_eq_u32_e32 vcc_lo, 1, v7
	v_add_nc_u32_e32 v4, v4, v51
	s_delay_alu instid0(VALU_DEP_3)
	v_cndmask_b32_e64 v5, v5, 1, vcc_lo
.LBB119_106:                            ;   in Loop: Header=BB119_107 Depth=1
	s_and_b32 vcc_lo, exec_lo, s14
	s_cbranch_vccnz .LBB119_152
.LBB119_107:                            ; =>This Loop Header: Depth=1
                                        ;     Child Loop BB119_110 Depth 2
	v_and_b32_e32 v6, 0xff, v6
	s_delay_alu instid0(VALU_DEP_2) | instskip(SKIP_1) | instid1(VALU_DEP_2)
	v_dual_mov_b32 v50, v5 :: v_dual_mov_b32 v51, v4
	s_mov_b32 s14, -1
                                        ; implicit-def: $vgpr5
                                        ; implicit-def: $vgpr4
	v_cmp_ne_u16_e32 vcc_lo, 2, v6
                                        ; implicit-def: $vgpr6
	s_cmp_lg_u32 vcc_lo, exec_lo
	s_cbranch_scc1 .LBB119_106
; %bb.108:                              ;   in Loop: Header=BB119_107 Depth=1
	v_lshl_add_u64 v[10:11], v[8:9], 4, s[36:37]
	;;#ASMSTART
	global_load_b128 v[4:7], v[10:11] off scope:SCOPE_DEV	
s_wait_loadcnt 0x0
	;;#ASMEND
	v_and_b32_e32 v7, 0xff, v6
	v_and_b32_e32 v5, 0xff, v5
	s_mov_b32 s14, exec_lo
	s_delay_alu instid0(VALU_DEP_2)
	v_cmpx_eq_u16_e32 0, v7
	s_cbranch_execz .LBB119_105
; %bb.109:                              ;   in Loop: Header=BB119_107 Depth=1
	s_mov_b32 s15, 0
.LBB119_110:                            ;   Parent Loop BB119_107 Depth=1
                                        ; =>  This Inner Loop Header: Depth=2
	;;#ASMSTART
	global_load_b128 v[4:7], v[10:11] off scope:SCOPE_DEV	
s_wait_loadcnt 0x0
	;;#ASMEND
	v_and_b32_e32 v7, 0xff, v6
	s_delay_alu instid0(VALU_DEP_1) | instskip(SKIP_1) | instid1(SALU_CYCLE_1)
	v_cmp_ne_u16_e32 vcc_lo, 0, v7
	s_or_b32 s15, vcc_lo, s15
	s_and_not1_b32 exec_lo, exec_lo, s15
	s_cbranch_execnz .LBB119_110
	s_branch .LBB119_104
.LBB119_111:
                                        ; implicit-def: $vgpr13
                                        ; implicit-def: $vgpr5
                                        ; implicit-def: $vgpr9
                                        ; implicit-def: $vgpr14_vgpr15
	s_cbranch_execnz .LBB119_157
.LBB119_112:
	s_add_nc_u64 s[0:1], s[22:23], s[18:19]
	s_and_b32 vcc_lo, exec_lo, s33
	s_add_nc_u64 s[0:1], s[0:1], s[20:21]
	s_cbranch_vccz .LBB119_174
.LBB119_113:
	v_mul_u32_u24_e32 v1, 12, v0
	s_add_co_i32 s39, s39, s38
	s_mov_b32 s2, exec_lo
	s_delay_alu instid0(VALU_DEP_1)
	v_cmpx_gt_u32_e64 s39, v1
	s_cbranch_execz .LBB119_129
; %bb.114:
	v_or_b32_e32 v17, 1, v1
	s_mov_b32 s3, exec_lo
	s_delay_alu instid0(VALU_DEP_1)
	v_cmpx_gt_u32_e64 s39, v17
	s_cbranch_execz .LBB119_128
; %bb.115:
	v_or_b32_e32 v17, 2, v1
	;; [unrolled: 6-line block ×3, first 2 shown]
	s_mov_b32 s5, exec_lo
	s_delay_alu instid0(VALU_DEP_1)
	v_cmpx_gt_u32_e64 s39, v17
	s_cbranch_execz .LBB119_126
; %bb.117:
	v_add_nc_u32_e32 v17, 4, v1
	s_mov_b32 s6, exec_lo
	s_delay_alu instid0(VALU_DEP_1)
	v_cmpx_gt_u32_e64 s39, v17
	s_cbranch_execz .LBB119_125
; %bb.118:
	v_add_nc_u32_e32 v17, 5, v1
	;; [unrolled: 6-line block ×4, first 2 shown]
	s_mov_b32 s9, exec_lo
	s_delay_alu instid0(VALU_DEP_1)
	v_cmpx_gt_u32_e64 s39, v17
; %bb.121:
	v_add_nc_u32_e32 v17, 8, v1
	s_mov_b32 s10, exec_lo
	s_delay_alu instid0(VALU_DEP_1)
	v_cmpx_gt_u32_e64 s39, v17
	s_or_b32 exec_lo, exec_lo, s10
; %bb.122:
	s_delay_alu instid0(SALU_CYCLE_1)
	s_or_b32 exec_lo, exec_lo, s9
.LBB119_123:
	s_delay_alu instid0(SALU_CYCLE_1)
	s_or_b32 exec_lo, exec_lo, s8
.LBB119_124:
	s_delay_alu instid0(SALU_CYCLE_1)
	s_or_b32 exec_lo, exec_lo, s7
.LBB119_125:
	s_delay_alu instid0(SALU_CYCLE_1)
	s_or_b32 exec_lo, exec_lo, s6
.LBB119_126:
	s_delay_alu instid0(SALU_CYCLE_1)
	s_or_b32 exec_lo, exec_lo, s5
.LBB119_127:
	s_delay_alu instid0(SALU_CYCLE_1)
	s_or_b32 exec_lo, exec_lo, s4
.LBB119_128:
	s_delay_alu instid0(SALU_CYCLE_1)
	s_or_b32 exec_lo, exec_lo, s3
.LBB119_129:
	s_delay_alu instid0(SALU_CYCLE_1)
	s_or_b32 exec_lo, exec_lo, s2
	v_dual_lshlrev_b32 v1, 2, v1 :: v_dual_mov_b32 v17, 0
	s_barrier_signal -1
	s_barrier_wait -1
	ds_store_b128 v1, v[6:9]
	ds_store_b128 v1, v[2:5] offset:16
	ds_store_b128 v1, v[10:13] offset:32
	v_mad_i32_i24 v6, 0xffffffd4, v0, v1
	s_wait_dscnt 0x0
	s_barrier_signal -1
	s_barrier_wait -1
	ds_load_2addr_stride64_b32 v[26:27], v6 offset0:4 offset1:8
	ds_load_2addr_stride64_b32 v[24:25], v6 offset0:12 offset1:16
	;; [unrolled: 1-line block ×5, first 2 shown]
	ds_load_b32 v7, v6 offset:11264
	v_add_nc_u64_e32 v[16:17], s[0:1], v[16:17]
	s_mov_b32 s2, exec_lo
	v_cmpx_gt_u32_e64 s39, v0
	s_cbranch_execz .LBB119_131
; %bb.130:
	v_mul_i32_i24_e32 v6, 0xffffffd4, v0
	s_delay_alu instid0(VALU_DEP_1)
	v_add_nc_u32_e32 v1, v1, v6
	ds_load_b32 v1, v1
	s_wait_dscnt 0x0
	flat_store_b32 v[16:17], v1
.LBB119_131:
	s_wait_xcnt 0x0
	s_or_b32 exec_lo, exec_lo, s2
	v_or_b32_e32 v1, 0x100, v0
	s_mov_b32 s2, exec_lo
	s_delay_alu instid0(VALU_DEP_1)
	v_cmpx_gt_u32_e64 s39, v1
	s_cbranch_execz .LBB119_133
; %bb.132:
	s_wait_dscnt 0x5
	flat_store_b32 v[16:17], v26 offset:1024
.LBB119_133:
	s_wait_xcnt 0x0
	s_or_b32 exec_lo, exec_lo, s2
	v_or_b32_e32 v1, 0x200, v0
	s_mov_b32 s2, exec_lo
	s_delay_alu instid0(VALU_DEP_1)
	v_cmpx_gt_u32_e64 s39, v1
	s_cbranch_execz .LBB119_135
; %bb.134:
	s_wait_dscnt 0x5
	flat_store_b32 v[16:17], v27 offset:2048
.LBB119_135:
	;; [unrolled: 11-line block ×10, first 2 shown]
	s_wait_xcnt 0x0
	s_or_b32 exec_lo, exec_lo, s2
	v_or_b32_e32 v1, 0xb00, v0
	s_delay_alu instid0(VALU_DEP_1)
	v_cmp_gt_u32_e64 s2, s39, v1
	s_branch .LBB119_176
.LBB119_152:
	s_and_saveexec_b32 s14, s13
	s_cbranch_execz .LBB119_154
; %bb.153:
	v_and_b32_e32 v4, 0xff, v3
	s_mov_b32 s17, 0
	s_add_co_i32 s16, s40, 32
	v_and_b32_e32 v5, 1, v50
	s_lshl_b64 s[16:17], s[16:17], 4
	v_cmp_eq_u32_e32 vcc_lo, 0, v4
	s_add_nc_u64 s[16:17], s[36:37], s[16:17]
	s_delay_alu instid0(SALU_CYCLE_1) | instskip(SKIP_1) | instid1(VALU_DEP_1)
	v_mov_b64_e32 v[6:7], s[16:17]
	v_cndmask_b32_e32 v4, 0, v51, vcc_lo
	v_dual_add_nc_u32 v2, v4, v2 :: v_dual_bitop2_b32 v3, 1, v3 bitop3:0x40
	s_delay_alu instid0(VALU_DEP_1)
	v_cmp_eq_u32_e32 vcc_lo, 1, v3
	v_mov_b32_e32 v4, 2
	v_cndmask_b32_e64 v3, v5, 1, vcc_lo
	v_mov_b32_e32 v5, 0
	;;#ASMSTART
	global_store_b128 v[6:7], v[2:5] off scope:SCOPE_DEV	
s_wait_storecnt 0x0
	;;#ASMEND
.LBB119_154:
	s_or_b32 exec_lo, exec_lo, s14
	s_delay_alu instid0(SALU_CYCLE_1)
	s_and_b32 exec_lo, exec_lo, s2
	s_cbranch_execz .LBB119_156
; %bb.155:
	v_mov_b32_e32 v2, 0
	ds_store_b32 v2, v51
	ds_store_b8 v2, v50 offset:4
.LBB119_156:
	s_or_b32 exec_lo, exec_lo, s24
	v_dual_mov_b32 v2, 0 :: v_dual_bitop2_b32 v3, 1, v19 bitop3:0x40
	s_wait_dscnt 0x0
	s_barrier_signal -1
	s_barrier_wait -1
	s_delay_alu instid0(VALU_DEP_1) | instskip(SKIP_4) | instid1(VALU_DEP_2)
	v_cmp_eq_u32_e32 vcc_lo, 1, v3
	ds_load_b32 v2, v2
	s_mov_b64 s[14:15], 0x100000000
	v_cndmask_b32_e64 v3, v13, 1, vcc_lo
	v_cmp_gt_u64_e32 vcc_lo, s[14:15], v[18:19]
	v_dual_cndmask_b32 v3, v3, v19, s2 :: v_dual_cndmask_b32 v4, 0, v12, vcc_lo
	s_delay_alu instid0(VALU_DEP_1) | instskip(NEXT) | instid1(VALU_DEP_2)
	v_and_b32_e32 v3, 0xff, v3
	v_cndmask_b32_e64 v4, v4, 0, s2
	s_delay_alu instid0(VALU_DEP_2) | instskip(SKIP_2) | instid1(VALU_DEP_1)
	v_cmp_eq_u16_e32 vcc_lo, 0, v3
	s_wait_dscnt 0x0
	v_cndmask_b32_e32 v2, 0, v2, vcc_lo
	v_add3_u32 v6, v4, v18, v2
	s_delay_alu instid0(VALU_DEP_1) | instskip(NEXT) | instid1(VALU_DEP_1)
	v_cndmask_b32_e64 v2, 0, v6, s0
	v_add_nc_u32_e32 v7, v2, v38
	s_delay_alu instid0(VALU_DEP_1) | instskip(NEXT) | instid1(VALU_DEP_1)
	v_cndmask_b32_e64 v2, 0, v7, s1
	v_add_nc_u32_e32 v8, v2, v36
	v_mov_b64_e32 v[14:15], v[6:7]
	s_delay_alu instid0(VALU_DEP_2) | instskip(NEXT) | instid1(VALU_DEP_1)
	v_cndmask_b32_e64 v2, 0, v8, s4
	v_add_nc_u32_e32 v9, v2, v34
	s_delay_alu instid0(VALU_DEP_1) | instskip(NEXT) | instid1(VALU_DEP_1)
	v_cndmask_b32_e64 v2, 0, v9, s5
	v_add_nc_u32_e32 v2, v2, v32
	s_delay_alu instid0(VALU_DEP_1) | instskip(NEXT) | instid1(VALU_DEP_1)
	;; [unrolled: 3-line block ×8, first 2 shown]
	v_cndmask_b32_e64 v13, 0, v12, s12
	v_add_nc_u32_e32 v13, v13, v40
	s_branch .LBB119_112
.LBB119_157:
	s_cmp_lg_u64 s[34:35], 0
	s_cselect_b32 s0, -1, 0
	s_cmp_lg_u64 s[26:27], 0
	s_cselect_b32 s1, -1, 0
	s_delay_alu instid0(SALU_CYCLE_1) | instskip(NEXT) | instid1(SALU_CYCLE_1)
	s_and_b32 s0, s0, s1
	s_and_b32 s1, s2, s0
	s_delay_alu instid0(SALU_CYCLE_1)
	s_and_saveexec_b32 s0, s1
	s_cbranch_execz .LBB119_159
; %bb.158:
	s_mov_b64 s[4:5], 0x100000000
	s_delay_alu instid0(SALU_CYCLE_1)
	v_cmp_gt_u64_e32 vcc_lo, s[4:5], v[18:19]
	v_mov_b32_e32 v2, 0
	s_clause 0x1
	global_load_b32 v3, v2, s[26:27]
	global_load_u8 v4, v2, s[26:27] offset:4
	s_wait_loadcnt 0x1
	v_cndmask_b32_e32 v5, 0, v3, vcc_lo
	v_and_b32_e32 v3, 1, v19
	s_wait_loadcnt 0x0
	s_delay_alu instid0(VALU_DEP_2) | instskip(NEXT) | instid1(VALU_DEP_2)
	v_dual_add_nc_u32 v18, v5, v18 :: v_dual_bitop2_b32 v4, 1, v4 bitop3:0x40
	v_cmp_eq_u64_e32 vcc_lo, 0, v[2:3]
	s_delay_alu instid0(VALU_DEP_2)
	v_cndmask_b32_e32 v19, 1, v4, vcc_lo
.LBB119_159:
	s_or_b32 exec_lo, exec_lo, s0
	s_mov_b64 s[12:13], 0x100000000
	v_or3_b32 v12, v42, v29, v31
	v_cmp_gt_u64_e32 vcc_lo, s[12:13], v[38:39]
	v_cmp_gt_u64_e64 s6, s[12:13], v[28:29]
	v_cmp_gt_u64_e64 s0, s[12:13], v[36:37]
	;; [unrolled: 1-line block ×6, first 2 shown]
	v_cndmask_b32_e32 v2, 0, v18, vcc_lo
	v_cmp_gt_u64_e64 s8, s[12:13], v[24:25]
	v_cmp_gt_u64_e64 s10, s[12:13], v[20:21]
	;; [unrolled: 1-line block ×3, first 2 shown]
	v_dual_mov_b32 v14, 0 :: v_dual_bitop2_b32 v1, 56, v1 bitop3:0x40
	v_add_nc_u32_e32 v7, v2, v38
	v_cmp_gt_u64_e64 s11, s[12:13], v[40:41]
	s_mov_b32 s13, exec_lo
	v_lshl_add_u32 v1, v0, 3, v1
	v_cndmask_b32_e64 v2, 0, v7, s0
	s_delay_alu instid0(VALU_DEP_1) | instskip(NEXT) | instid1(VALU_DEP_1)
	v_add_nc_u32_e32 v8, v2, v36
	v_cndmask_b32_e64 v2, 0, v8, s1
	s_delay_alu instid0(VALU_DEP_1) | instskip(NEXT) | instid1(VALU_DEP_1)
	v_add_nc_u32_e32 v9, v2, v34
	;; [unrolled: 3-line block ×7, first 2 shown]
	v_cndmask_b32_e64 v6, 0, v10, s9
	s_delay_alu instid0(VALU_DEP_1) | instskip(SKIP_1) | instid1(VALU_DEP_2)
	v_add_nc_u32_e32 v11, v6, v22
	v_or3_b32 v6, v12, v33, v35
	v_cndmask_b32_e64 v12, 0, v11, s10
	s_delay_alu instid0(VALU_DEP_2) | instskip(NEXT) | instid1(VALU_DEP_2)
	v_or3_b32 v6, v6, v37, v39
	v_add_nc_u32_e32 v12, v12, v20
	s_delay_alu instid0(VALU_DEP_2) | instskip(NEXT) | instid1(VALU_DEP_1)
	v_or3_b32 v6, v41, v17, v6
	v_and_b32_e32 v15, 0xff, v6
	s_delay_alu instid0(VALU_DEP_1) | instskip(NEXT) | instid1(VALU_DEP_1)
	v_cmp_eq_u64_e64 s12, 0, v[14:15]
	v_dual_cndmask_b32 v13, 0, v12, s11 :: v_dual_cndmask_b32 v6, 1, v19, s12
	s_delay_alu instid0(VALU_DEP_1)
	v_add_nc_u32_e32 v13, v13, v40
	ds_store_b32 v1, v13
	ds_store_b8 v1, v6 offset:4
	s_wait_dscnt 0x0
	s_barrier_signal -1
	s_barrier_wait -1
	v_cmpx_gt_u32_e32 32, v0
	s_cbranch_execz .LBB119_169
; %bb.160:
	v_dual_lshlrev_b32 v1, 1, v0 :: v_dual_lshlrev_b32 v14, 6, v0
	s_mov_b32 s14, exec_lo
	s_delay_alu instid0(VALU_DEP_1) | instskip(NEXT) | instid1(VALU_DEP_1)
	v_and_b32_e32 v1, 0x1f8, v1
	v_add_nc_u32_e32 v1, v1, v14
	ds_load_u8 v17, v1 offset:12
	ds_load_b64 v[14:15], v1
	ds_load_2addr_b32 v[42:43], v1 offset0:2 offset1:4
	ds_load_u8 v21, v1 offset:20
	ds_load_u8 v23, v1 offset:28
	ds_load_u8 v25, v1 offset:36
	ds_load_u8 v27, v1 offset:44
	ds_load_u8 v29, v1 offset:52
	ds_load_b32 v33, v1 offset:56
	s_wait_dscnt 0x8
	v_cmp_eq_u16_e64 s12, 0, v17
	s_wait_dscnt 0x5
	s_delay_alu instid0(VALU_DEP_1)
	v_dual_cndmask_b32 v31, 0, v14, s12 :: v_dual_bitop2_b32 v17, v21, v17 bitop3:0x54
	ds_load_2addr_b32 v[44:45], v1 offset0:6 offset1:8
	v_cmp_eq_u16_e64 s12, 0, v21
	ds_load_u8 v35, v1 offset:60
	s_wait_dscnt 0x5
	v_bitop3_b16 v17, v17, v25, v23 bitop3:0xfe
	v_add_nc_u32_e32 v31, v31, v42
	s_delay_alu instid0(VALU_DEP_1)
	v_cndmask_b32_e64 v31, 0, v31, s12
	v_cmp_eq_u16_e64 s12, 0, v23
	s_wait_dscnt 0x3
	v_bitop3_b16 v23, v17, v29, v27 bitop3:0xfe
	v_and_b32_e32 v17, 1, v15
	v_add_nc_u32_e32 v31, v31, v43
	ds_load_2addr_b32 v[42:43], v1 offset0:10 offset1:12
	v_cndmask_b32_e64 v31, 0, v31, s12
	v_cmp_eq_u16_e64 s12, 0, v25
	s_wait_dscnt 0x1
	s_delay_alu instid0(VALU_DEP_2) | instskip(NEXT) | instid1(VALU_DEP_1)
	v_dual_add_nc_u32 v31, v31, v44 :: v_dual_bitop2_b32 v25, 1, v35 bitop3:0x40
	v_cndmask_b32_e64 v31, 0, v31, s12
	v_cmp_eq_u16_e64 s12, 0, v27
	s_delay_alu instid0(VALU_DEP_2) | instskip(NEXT) | instid1(VALU_DEP_1)
	v_add_nc_u32_e32 v21, v31, v45
	v_cndmask_b32_e64 v21, 0, v21, s12
	v_cmp_eq_u16_e64 s12, 0, v23
	s_wait_dscnt 0x0
	s_delay_alu instid0(VALU_DEP_1) | instskip(SKIP_1) | instid1(VALU_DEP_1)
	v_dual_add_nc_u32 v21, v21, v42 :: v_dual_cndmask_b32 v23, 1, v17, s12
	v_cmp_eq_u16_e64 s12, 0, v29
	v_cndmask_b32_e64 v21, 0, v21, s12
	v_cmp_eq_u32_e64 s12, 1, v25
	v_mbcnt_lo_u32_b32 v25, -1, 0
	s_delay_alu instid0(VALU_DEP_2) | instskip(SKIP_1) | instid1(VALU_DEP_2)
	v_cndmask_b32_e64 v27, v23, 1, s12
	v_cmp_eq_u16_e64 s12, 0, v35
	v_and_b32_e32 v29, 0xffff, v27
	v_add_nc_u32_e32 v23, v21, v43
	v_and_b32_e32 v21, 0xffffff00, v15
	s_delay_alu instid0(VALU_DEP_1) | instskip(SKIP_1) | instid1(VALU_DEP_2)
	v_dual_cndmask_b32 v23, 0, v23, s12 :: v_dual_bitop2_b32 v31, v21, v29 bitop3:0x54
	v_and_b32_e32 v29, 15, v25
	v_mov_b32_dpp v35, v31 row_shr:1 row_mask:0xf bank_mask:0xf
	s_delay_alu instid0(VALU_DEP_3) | instskip(NEXT) | instid1(VALU_DEP_1)
	v_add_nc_u32_e32 v23, v23, v33
	v_mov_b32_dpp v33, v23 row_shr:1 row_mask:0xf bank_mask:0xf
	s_delay_alu instid0(VALU_DEP_4)
	v_cmpx_ne_u32_e32 0, v29
	s_cbranch_execz .LBB119_162
; %bb.161:
	v_and_b32_e32 v31, 1, v27
	v_and_b32_e32 v35, 1, v35
	s_delay_alu instid0(VALU_DEP_2) | instskip(NEXT) | instid1(VALU_DEP_1)
	v_cmp_eq_u32_e64 s12, 1, v31
	v_cndmask_b32_e64 v35, v35, 1, s12
	v_cmp_eq_u16_e64 s12, 0, v27
	s_delay_alu instid0(VALU_DEP_2) | instskip(NEXT) | instid1(VALU_DEP_1)
	v_and_b32_e32 v31, 0xffff, v35
	v_dual_cndmask_b32 v27, 0, v33, s12 :: v_dual_bitop2_b32 v31, v21, v31 bitop3:0x54
	s_delay_alu instid0(VALU_DEP_1)
	v_add_nc_u32_e32 v23, v27, v23
	v_mov_b32_e32 v27, v35
.LBB119_162:
	s_or_b32 exec_lo, exec_lo, s14
	s_delay_alu instid0(VALU_DEP_2)
	v_mov_b32_dpp v33, v23 row_shr:2 row_mask:0xf bank_mask:0xf
	v_mov_b32_dpp v35, v31 row_shr:2 row_mask:0xf bank_mask:0xf
	s_mov_b32 s14, exec_lo
	v_cmpx_lt_u32_e32 1, v29
	s_cbranch_execz .LBB119_164
; %bb.163:
	v_and_b32_e32 v31, 1, v27
	v_and_b32_e32 v35, 1, v35
	s_delay_alu instid0(VALU_DEP_2) | instskip(NEXT) | instid1(VALU_DEP_1)
	v_cmp_eq_u32_e64 s12, 1, v31
	v_cndmask_b32_e64 v35, v35, 1, s12
	v_cmp_eq_u16_e64 s12, 0, v27
	s_delay_alu instid0(VALU_DEP_2) | instskip(NEXT) | instid1(VALU_DEP_1)
	v_and_b32_e32 v31, 0xffff, v35
	v_dual_cndmask_b32 v27, 0, v33, s12 :: v_dual_bitop2_b32 v31, v21, v31 bitop3:0x54
	s_delay_alu instid0(VALU_DEP_1)
	v_add_nc_u32_e32 v23, v27, v23
	v_mov_b32_e32 v27, v35
.LBB119_164:
	s_or_b32 exec_lo, exec_lo, s14
	s_delay_alu instid0(VALU_DEP_2)
	v_mov_b32_dpp v33, v23 row_shr:4 row_mask:0xf bank_mask:0xf
	v_mov_b32_dpp v35, v31 row_shr:4 row_mask:0xf bank_mask:0xf
	s_mov_b32 s14, exec_lo
	v_cmpx_lt_u32_e32 3, v29
	;; [unrolled: 21-line block ×3, first 2 shown]
	s_cbranch_execz .LBB119_168
; %bb.167:
	v_and_b32_e32 v29, 1, v27
	v_and_b32_e32 v31, 1, v35
	s_delay_alu instid0(VALU_DEP_2) | instskip(NEXT) | instid1(VALU_DEP_1)
	v_cmp_eq_u32_e64 s12, 1, v29
	v_cndmask_b32_e64 v29, v31, 1, s12
	v_cmp_eq_u16_e64 s12, 0, v27
	s_delay_alu instid0(VALU_DEP_2) | instskip(NEXT) | instid1(VALU_DEP_1)
	v_and_b32_e32 v31, 0xffff, v29
	v_dual_cndmask_b32 v27, 0, v33, s12 :: v_dual_bitop2_b32 v31, v21, v31 bitop3:0x54
	s_delay_alu instid0(VALU_DEP_1)
	v_dual_add_nc_u32 v23, v27, v23 :: v_dual_mov_b32 v27, v29
.LBB119_168:
	s_or_b32 exec_lo, exec_lo, s14
	ds_swizzle_b32 v29, v31 offset:swizzle(BROADCAST,32,15)
	ds_swizzle_b32 v31, v23 offset:swizzle(BROADCAST,32,15)
	v_and_b32_e32 v33, 1, v27
	v_and_b32_e32 v35, 16, v25
	v_bfe_i32 v37, v25, 4, 1
	v_and_b32_e32 v15, 0xff, v15
	s_delay_alu instid0(VALU_DEP_4) | instskip(SKIP_3) | instid1(VALU_DEP_1)
	v_cmp_eq_u32_e64 s12, 1, v33
	v_add_nc_u32_e32 v33, -1, v25
	; wave barrier
	s_wait_dscnt 0x1
	v_and_b32_e32 v29, 1, v29
	v_cndmask_b32_e64 v29, v29, 1, s12
	v_cmp_eq_u16_e64 s12, 0, v27
	s_wait_dscnt 0x0
	s_delay_alu instid0(VALU_DEP_1) | instskip(SKIP_1) | instid1(VALU_DEP_1)
	v_cndmask_b32_e64 v31, 0, v31, s12
	v_cmp_eq_u32_e64 s12, 0, v35
	v_cndmask_b32_e64 v27, v29, v27, s12
	v_cmp_gt_i32_e64 s12, 0, v33
	s_delay_alu instid0(VALU_DEP_2) | instskip(NEXT) | instid1(VALU_DEP_2)
	v_and_b32_e32 v27, 0xffff, v27
	v_cndmask_b32_e64 v25, v33, v25, s12
	v_and_b32_e32 v29, v37, v31
	v_cmp_eq_u16_e64 s12, 0, v15
	s_delay_alu instid0(VALU_DEP_3)
	v_dual_lshlrev_b32 v25, 2, v25 :: v_dual_bitop2_b32 v21, v21, v27 bitop3:0x54
	ds_bpermute_b32 v21, v25, v21
	s_wait_dscnt 0x0
	v_dual_add_nc_u32 v23, v29, v23 :: v_dual_bitop2_b32 v21, 1, v21 bitop3:0x40
	ds_bpermute_b32 v23, v25, v23
	s_wait_dscnt 0x0
	v_cndmask_b32_e64 v15, 0, v23, s12
	v_cmp_eq_u32_e64 s12, 1, v17
	s_delay_alu instid0(VALU_DEP_2) | instskip(NEXT) | instid1(VALU_DEP_2)
	v_add_nc_u32_e32 v14, v15, v14
	v_cndmask_b32_e64 v15, v21, 1, s12
	s_delay_alu instid0(VALU_DEP_1)
	v_dual_cndmask_b32 v17, v14, v13, s2 :: v_dual_cndmask_b32 v6, v15, v6, s2
	ds_store_b32 v1, v17
	ds_store_b8 v1, v6 offset:4
	; wave barrier
	ds_load_u8 v21, v1 offset:12
	ds_load_2addr_b32 v[14:15], v1 offset0:2 offset1:4
	ds_load_u8 v23, v1 offset:20
	ds_load_u8 v25, v1 offset:28
	;; [unrolled: 1-line block ×5, first 2 shown]
	ds_load_b32 v33, v1 offset:56
	ds_load_u8 v35, v1 offset:60
	ds_load_2addr_b32 v[42:43], v1 offset0:6 offset1:8
	s_wait_dscnt 0x9
	v_cmp_eq_u16_e64 s12, 0, v21
	s_delay_alu instid0(VALU_DEP_1) | instskip(SKIP_2) | instid1(VALU_DEP_2)
	v_cndmask_b32_e64 v17, 0, v17, s12
	s_wait_dscnt 0x7
	v_cmp_eq_u16_e64 s12, 0, v23
	v_add_nc_u32_e32 v17, v17, v14
	s_delay_alu instid0(VALU_DEP_1) | instskip(SKIP_2) | instid1(VALU_DEP_2)
	v_cndmask_b32_e64 v14, 0, v17, s12
	s_wait_dscnt 0x6
	v_cmp_eq_u16_e64 s12, 0, v25
	v_add_nc_u32_e32 v37, v14, v15
	ds_load_2addr_b32 v[14:15], v1 offset0:10 offset1:12
	v_cndmask_b32_e64 v39, 0, v37, s12
	s_wait_dscnt 0x6
	v_cmp_eq_u16_e64 s12, 0, v27
	ds_store_2addr_b32 v1, v17, v37 offset0:2 offset1:4
	s_wait_dscnt 0x2
	v_dual_add_nc_u32 v39, v39, v42 :: v_dual_bitop2_b32 v21, 1, v21 bitop3:0x40
	v_and_b32_e32 v42, 1, v35
	s_delay_alu instid0(VALU_DEP_2) | instskip(NEXT) | instid1(VALU_DEP_3)
	v_cndmask_b32_e64 v41, 0, v39, s12
	v_cmp_eq_u32_e64 s12, 1, v21
	s_delay_alu instid0(VALU_DEP_2) | instskip(SKIP_1) | instid1(VALU_DEP_3)
	v_dual_add_nc_u32 v25, v41, v43 :: v_dual_bitop2_b32 v21, 1, v25 bitop3:0x40
	v_and_b32_e32 v23, 1, v23
	v_cndmask_b32_e64 v6, v6, 1, s12
	s_delay_alu instid0(VALU_DEP_2) | instskip(NEXT) | instid1(VALU_DEP_1)
	v_cmp_eq_u32_e64 s12, 1, v23
	v_cndmask_b32_e64 v23, v6, 1, s12
	v_cmp_eq_u16_e64 s12, 0, v29
	s_delay_alu instid0(VALU_DEP_1) | instskip(SKIP_2) | instid1(VALU_DEP_2)
	v_dual_cndmask_b32 v41, 0, v25, s12 :: v_dual_bitop2_b32 v27, 1, v27 bitop3:0x40
	v_cmp_eq_u32_e64 s12, 1, v21
	s_wait_dscnt 0x1
	v_dual_add_nc_u32 v14, v41, v14 :: v_dual_bitop2_b32 v41, 1, v31 bitop3:0x40
	s_delay_alu instid0(VALU_DEP_2) | instskip(SKIP_1) | instid1(VALU_DEP_1)
	v_cndmask_b32_e64 v21, v23, 1, s12
	v_cmp_eq_u32_e64 s12, 1, v27
	v_cndmask_b32_e64 v27, v21, 1, s12
	v_cmp_eq_u16_e64 s12, 0, v31
	s_delay_alu instid0(VALU_DEP_1) | instskip(NEXT) | instid1(VALU_DEP_1)
	v_dual_cndmask_b32 v31, 0, v14, s12 :: v_dual_bitop2_b32 v29, 1, v29 bitop3:0x40
	v_cmp_eq_u32_e64 s12, 1, v29
	s_delay_alu instid0(VALU_DEP_2) | instskip(NEXT) | instid1(VALU_DEP_2)
	v_add_nc_u32_e32 v15, v31, v15
	v_cndmask_b32_e64 v29, v27, 1, s12
	v_cmp_eq_u32_e64 s12, 1, v41
	ds_store_2addr_b32 v1, v39, v25 offset0:6 offset1:8
	ds_store_2addr_b32 v1, v14, v15 offset0:10 offset1:12
	v_cndmask_b32_e64 v31, v29, 1, s12
	v_cmp_eq_u16_e64 s12, 0, v35
	s_delay_alu instid0(VALU_DEP_1) | instskip(SKIP_1) | instid1(VALU_DEP_2)
	v_cndmask_b32_e64 v17, 0, v15, s12
	v_cmp_eq_u32_e64 s12, 1, v42
	v_add_nc_u32_e32 v14, v17, v33
	s_delay_alu instid0(VALU_DEP_2)
	v_cndmask_b32_e64 v35, v31, 1, s12
	ds_store_b8 v1, v6 offset:12
	ds_store_b8 v1, v23 offset:20
	;; [unrolled: 1-line block ×6, first 2 shown]
	ds_store_b32 v1, v14 offset:56
	ds_store_b8 v1, v35 offset:60
.LBB119_169:
	s_or_b32 exec_lo, exec_lo, s13
	v_mov_b32_e32 v6, v18
	s_wait_dscnt 0x0
	s_barrier_signal -1
	s_barrier_wait -1
	s_delay_alu instid0(VALU_DEP_1)
	v_mov_b64_e32 v[14:15], v[6:7]
	s_and_saveexec_b32 s12, s3
	s_cbranch_execz .LBB119_171
; %bb.170:
	v_add_nc_u32_e32 v1, -1, v0
	v_and_b32_e32 v3, 0xff, v19
	s_delay_alu instid0(VALU_DEP_2) | instskip(NEXT) | instid1(VALU_DEP_1)
	v_lshrrev_b32_e32 v2, 2, v1
	v_and_b32_e32 v2, 0x3ffffff8, v2
	s_delay_alu instid0(VALU_DEP_1)
	v_lshl_add_u32 v1, v1, 3, v2
	v_mov_b32_e32 v2, 0
	ds_load_b32 v1, v1
	v_cmp_eq_u64_e64 s3, 0, v[2:3]
	;;#ASMSTART
	;;#ASMEND
	s_wait_dscnt 0x0
	s_delay_alu instid0(VALU_DEP_1) | instskip(NEXT) | instid1(VALU_DEP_1)
	v_cndmask_b32_e64 v1, 0, v1, s3
	v_add_nc_u32_e32 v14, v1, v18
	s_delay_alu instid0(VALU_DEP_1) | instskip(NEXT) | instid1(VALU_DEP_1)
	v_cndmask_b32_e32 v1, 0, v14, vcc_lo
	v_add_nc_u32_e32 v15, v1, v38
	s_delay_alu instid0(VALU_DEP_1) | instskip(NEXT) | instid1(VALU_DEP_1)
	v_dual_cndmask_b32 v1, 0, v15, s0 :: v_dual_mov_b32 v18, v14
	v_dual_mov_b32 v7, v15 :: v_dual_add_nc_u32 v8, v1, v36
	s_delay_alu instid0(VALU_DEP_1) | instskip(NEXT) | instid1(VALU_DEP_1)
	v_cndmask_b32_e64 v1, 0, v8, s1
	v_add_nc_u32_e32 v9, v1, v34
	s_delay_alu instid0(VALU_DEP_1) | instskip(NEXT) | instid1(VALU_DEP_1)
	v_cndmask_b32_e64 v1, 0, v9, s4
	v_add_nc_u32_e32 v2, v1, v32
	;; [unrolled: 3-line block ×9, first 2 shown]
.LBB119_171:
	s_or_b32 exec_lo, exec_lo, s12
	s_and_saveexec_b32 s0, s2
	s_cbranch_execz .LBB119_173
; %bb.172:
	v_dual_mov_b32 v23, 0 :: v_dual_mov_b32 v22, 2
	s_add_nc_u64 s[2:3], s[36:37], 0x200
	ds_load_b32 v20, v23 offset:2096
	ds_load_u8 v21, v23 offset:2100
	v_mov_b64_e32 v[24:25], s[2:3]
	s_wait_dscnt 0x0
	;;#ASMSTART
	global_store_b128 v[24:25], v[20:23] off scope:SCOPE_DEV	
s_wait_storecnt 0x0
	;;#ASMEND
.LBB119_173:
	s_or_b32 exec_lo, exec_lo, s0
	v_mov_b32_e32 v6, v18
	s_add_nc_u64 s[0:1], s[22:23], s[18:19]
	s_and_b32 vcc_lo, exec_lo, s33
	s_add_nc_u64 s[0:1], s[0:1], s[20:21]
	s_cbranch_vccnz .LBB119_113
.LBB119_174:
	s_mov_b32 s2, 0
                                        ; implicit-def: $vgpr7
	s_cbranch_execz .LBB119_176
; %bb.175:
	v_mul_u32_u24_e32 v1, 48, v0
	v_dual_mov_b32 v16, v8 :: v_dual_mov_b32 v17, v9
	v_mul_i32_i24_e32 v6, 0xffffffd4, v0
	s_wait_storecnt_dscnt 0x0
	s_barrier_signal -1
	s_barrier_wait -1
	ds_store_b128 v1, v[14:17]
	ds_store_b128 v1, v[2:5] offset:16
	ds_store_b128 v1, v[10:13] offset:32
	v_mad_u32_u24 v1, v0, 48, v6
	s_wait_dscnt 0x0
	s_barrier_signal -1
	s_barrier_wait -1
	ds_load_2addr_stride64_b32 v[2:3], v1 offset1:4
	ds_load_2addr_stride64_b32 v[4:5], v1 offset0:8 offset1:12
	ds_load_2addr_stride64_b32 v[8:9], v1 offset0:16 offset1:20
	;; [unrolled: 1-line block ×5, first 2 shown]
	s_or_b32 s2, s2, exec_lo
	s_wait_dscnt 0x5
	s_clause 0x1
	flat_store_b32 v0, v2, s[0:1] scale_offset
	flat_store_b32 v0, v3, s[0:1] offset:1024 scale_offset
	s_wait_dscnt 0x6
	s_clause 0x1
	flat_store_b32 v0, v4, s[0:1] offset:2048 scale_offset
	flat_store_b32 v0, v5, s[0:1] offset:3072 scale_offset
	s_wait_dscnt 0x7
	s_clause 0x1
	flat_store_b32 v0, v8, s[0:1] offset:4096 scale_offset
	;; [unrolled: 4-line block ×4, first 2 shown]
	flat_store_b32 v0, v13, s[0:1] offset:9216 scale_offset
	s_wait_dscnt 0xa
	flat_store_b32 v0, v6, s[0:1] offset:10240 scale_offset
.LBB119_176:
	s_wait_xcnt 0x0
	s_delay_alu instid0(VALU_DEP_1)
	s_and_saveexec_b32 s3, s2
	s_cbranch_execnz .LBB119_178
; %bb.177:
	s_endpgm
.LBB119_178:
	s_wait_dscnt 0x0
	flat_store_b32 v0, v7, s[0:1] offset:11264 scale_offset
	s_endpgm
.LBB119_179:
	flat_load_b32 v3, v0, s[14:15] scale_offset
	s_wait_xcnt 0x0
	s_or_b32 exec_lo, exec_lo, s24
                                        ; implicit-def: $vgpr5
	s_and_saveexec_b32 s0, s1
	s_cbranch_execz .LBB119_37
.LBB119_180:
	flat_load_b32 v5, v0, s[14:15] offset:1024 scale_offset
	s_wait_xcnt 0x0
	s_or_b32 exec_lo, exec_lo, s0
                                        ; implicit-def: $vgpr19
	s_and_saveexec_b32 s0, s4
	s_cbranch_execz .LBB119_38
.LBB119_181:
	flat_load_b32 v19, v0, s[14:15] offset:2048 scale_offset
	s_wait_xcnt 0x0
	s_or_b32 exec_lo, exec_lo, s0
                                        ; implicit-def: $vgpr20
	s_and_saveexec_b32 s0, s5
	s_cbranch_execz .LBB119_39
.LBB119_182:
	flat_load_b32 v20, v0, s[14:15] offset:3072 scale_offset
	s_wait_xcnt 0x0
	s_or_b32 exec_lo, exec_lo, s0
                                        ; implicit-def: $vgpr21
	s_and_saveexec_b32 s0, s6
	s_cbranch_execz .LBB119_40
.LBB119_183:
	flat_load_b32 v21, v0, s[14:15] offset:4096 scale_offset
	s_wait_xcnt 0x0
	s_or_b32 exec_lo, exec_lo, s0
                                        ; implicit-def: $vgpr22
	s_and_saveexec_b32 s0, s7
	s_cbranch_execz .LBB119_41
.LBB119_184:
	flat_load_b32 v22, v0, s[14:15] offset:5120 scale_offset
	s_wait_xcnt 0x0
	s_or_b32 exec_lo, exec_lo, s0
                                        ; implicit-def: $vgpr23
	s_and_saveexec_b32 s0, s8
	s_cbranch_execz .LBB119_42
.LBB119_185:
	flat_load_b32 v23, v0, s[14:15] offset:6144 scale_offset
	s_wait_xcnt 0x0
	s_or_b32 exec_lo, exec_lo, s0
                                        ; implicit-def: $vgpr24
	s_and_saveexec_b32 s0, s9
	s_cbranch_execz .LBB119_43
.LBB119_186:
	flat_load_b32 v24, v0, s[14:15] offset:7168 scale_offset
	s_wait_xcnt 0x0
	s_or_b32 exec_lo, exec_lo, s0
                                        ; implicit-def: $vgpr25
	s_and_saveexec_b32 s0, s10
	s_cbranch_execz .LBB119_44
.LBB119_187:
	flat_load_b32 v25, v0, s[14:15] offset:8192 scale_offset
	s_wait_xcnt 0x0
	s_or_b32 exec_lo, exec_lo, s0
                                        ; implicit-def: $vgpr26
	s_and_saveexec_b32 s0, s11
	s_cbranch_execz .LBB119_45
.LBB119_188:
	flat_load_b32 v26, v0, s[14:15] offset:9216 scale_offset
	s_wait_xcnt 0x0
	s_or_b32 exec_lo, exec_lo, s0
                                        ; implicit-def: $vgpr27
	s_and_saveexec_b32 s0, s12
	s_cbranch_execz .LBB119_46
.LBB119_189:
	flat_load_b32 v27, v0, s[14:15] offset:10240 scale_offset
	s_wait_xcnt 0x0
	s_or_b32 exec_lo, exec_lo, s0
                                        ; implicit-def: $vgpr28
	s_and_saveexec_b32 s0, s13
	s_cbranch_execnz .LBB119_47
	s_branch .LBB119_48
.LBB119_190:
                                        ; implicit-def: $sgpr0
	s_branch .LBB119_77
.LBB119_191:
                                        ; implicit-def: $sgpr45
	s_branch .LBB119_32
.LBB119_192:
                                        ; implicit-def: $sgpr0
	s_branch .LBB119_75
	.section	.rodata,"a",@progbits
	.p2align	6, 0x0
	.amdhsa_kernel _ZN7rocprim17ROCPRIM_400000_NS6detail17trampoline_kernelINS0_14default_configENS1_27scan_by_key_config_selectorIiiEEZZNS1_16scan_by_key_implILNS1_25lookback_scan_determinismE0ELb0ES3_N6thrust23THRUST_200600_302600_NS18transform_iteratorI9which_rowNS9_17counting_iteratorIiNS9_11use_defaultESD_SD_EESD_SD_EENS9_6detail15normal_iteratorINS9_10device_ptrIiEEEESK_iNS9_4plusIvEENS9_8equal_toIvEEiEE10hipError_tPvRmT2_T3_T4_T5_mT6_T7_P12ihipStream_tbENKUlT_T0_E_clISt17integral_constantIbLb0EES14_IbLb1EEEEDaS10_S11_EUlS10_E_NS1_11comp_targetILNS1_3genE0ELNS1_11target_archE4294967295ELNS1_3gpuE0ELNS1_3repE0EEENS1_30default_config_static_selectorELNS0_4arch9wavefront6targetE0EEEvT1_
		.amdhsa_group_segment_fixed_size 14336
		.amdhsa_private_segment_fixed_size 0
		.amdhsa_kernarg_size 112
		.amdhsa_user_sgpr_count 2
		.amdhsa_user_sgpr_dispatch_ptr 0
		.amdhsa_user_sgpr_queue_ptr 0
		.amdhsa_user_sgpr_kernarg_segment_ptr 1
		.amdhsa_user_sgpr_dispatch_id 0
		.amdhsa_user_sgpr_kernarg_preload_length 0
		.amdhsa_user_sgpr_kernarg_preload_offset 0
		.amdhsa_user_sgpr_private_segment_size 0
		.amdhsa_wavefront_size32 1
		.amdhsa_uses_dynamic_stack 0
		.amdhsa_enable_private_segment 0
		.amdhsa_system_sgpr_workgroup_id_x 1
		.amdhsa_system_sgpr_workgroup_id_y 0
		.amdhsa_system_sgpr_workgroup_id_z 0
		.amdhsa_system_sgpr_workgroup_info 0
		.amdhsa_system_vgpr_workitem_id 0
		.amdhsa_next_free_vgpr 60
		.amdhsa_next_free_sgpr 48
		.amdhsa_named_barrier_count 0
		.amdhsa_reserve_vcc 1
		.amdhsa_float_round_mode_32 0
		.amdhsa_float_round_mode_16_64 0
		.amdhsa_float_denorm_mode_32 3
		.amdhsa_float_denorm_mode_16_64 3
		.amdhsa_fp16_overflow 0
		.amdhsa_memory_ordered 1
		.amdhsa_forward_progress 1
		.amdhsa_inst_pref_size 117
		.amdhsa_round_robin_scheduling 0
		.amdhsa_exception_fp_ieee_invalid_op 0
		.amdhsa_exception_fp_denorm_src 0
		.amdhsa_exception_fp_ieee_div_zero 0
		.amdhsa_exception_fp_ieee_overflow 0
		.amdhsa_exception_fp_ieee_underflow 0
		.amdhsa_exception_fp_ieee_inexact 0
		.amdhsa_exception_int_div_zero 0
	.end_amdhsa_kernel
	.section	.text._ZN7rocprim17ROCPRIM_400000_NS6detail17trampoline_kernelINS0_14default_configENS1_27scan_by_key_config_selectorIiiEEZZNS1_16scan_by_key_implILNS1_25lookback_scan_determinismE0ELb0ES3_N6thrust23THRUST_200600_302600_NS18transform_iteratorI9which_rowNS9_17counting_iteratorIiNS9_11use_defaultESD_SD_EESD_SD_EENS9_6detail15normal_iteratorINS9_10device_ptrIiEEEESK_iNS9_4plusIvEENS9_8equal_toIvEEiEE10hipError_tPvRmT2_T3_T4_T5_mT6_T7_P12ihipStream_tbENKUlT_T0_E_clISt17integral_constantIbLb0EES14_IbLb1EEEEDaS10_S11_EUlS10_E_NS1_11comp_targetILNS1_3genE0ELNS1_11target_archE4294967295ELNS1_3gpuE0ELNS1_3repE0EEENS1_30default_config_static_selectorELNS0_4arch9wavefront6targetE0EEEvT1_,"axG",@progbits,_ZN7rocprim17ROCPRIM_400000_NS6detail17trampoline_kernelINS0_14default_configENS1_27scan_by_key_config_selectorIiiEEZZNS1_16scan_by_key_implILNS1_25lookback_scan_determinismE0ELb0ES3_N6thrust23THRUST_200600_302600_NS18transform_iteratorI9which_rowNS9_17counting_iteratorIiNS9_11use_defaultESD_SD_EESD_SD_EENS9_6detail15normal_iteratorINS9_10device_ptrIiEEEESK_iNS9_4plusIvEENS9_8equal_toIvEEiEE10hipError_tPvRmT2_T3_T4_T5_mT6_T7_P12ihipStream_tbENKUlT_T0_E_clISt17integral_constantIbLb0EES14_IbLb1EEEEDaS10_S11_EUlS10_E_NS1_11comp_targetILNS1_3genE0ELNS1_11target_archE4294967295ELNS1_3gpuE0ELNS1_3repE0EEENS1_30default_config_static_selectorELNS0_4arch9wavefront6targetE0EEEvT1_,comdat
.Lfunc_end119:
	.size	_ZN7rocprim17ROCPRIM_400000_NS6detail17trampoline_kernelINS0_14default_configENS1_27scan_by_key_config_selectorIiiEEZZNS1_16scan_by_key_implILNS1_25lookback_scan_determinismE0ELb0ES3_N6thrust23THRUST_200600_302600_NS18transform_iteratorI9which_rowNS9_17counting_iteratorIiNS9_11use_defaultESD_SD_EESD_SD_EENS9_6detail15normal_iteratorINS9_10device_ptrIiEEEESK_iNS9_4plusIvEENS9_8equal_toIvEEiEE10hipError_tPvRmT2_T3_T4_T5_mT6_T7_P12ihipStream_tbENKUlT_T0_E_clISt17integral_constantIbLb0EES14_IbLb1EEEEDaS10_S11_EUlS10_E_NS1_11comp_targetILNS1_3genE0ELNS1_11target_archE4294967295ELNS1_3gpuE0ELNS1_3repE0EEENS1_30default_config_static_selectorELNS0_4arch9wavefront6targetE0EEEvT1_, .Lfunc_end119-_ZN7rocprim17ROCPRIM_400000_NS6detail17trampoline_kernelINS0_14default_configENS1_27scan_by_key_config_selectorIiiEEZZNS1_16scan_by_key_implILNS1_25lookback_scan_determinismE0ELb0ES3_N6thrust23THRUST_200600_302600_NS18transform_iteratorI9which_rowNS9_17counting_iteratorIiNS9_11use_defaultESD_SD_EESD_SD_EENS9_6detail15normal_iteratorINS9_10device_ptrIiEEEESK_iNS9_4plusIvEENS9_8equal_toIvEEiEE10hipError_tPvRmT2_T3_T4_T5_mT6_T7_P12ihipStream_tbENKUlT_T0_E_clISt17integral_constantIbLb0EES14_IbLb1EEEEDaS10_S11_EUlS10_E_NS1_11comp_targetILNS1_3genE0ELNS1_11target_archE4294967295ELNS1_3gpuE0ELNS1_3repE0EEENS1_30default_config_static_selectorELNS0_4arch9wavefront6targetE0EEEvT1_
                                        ; -- End function
	.set _ZN7rocprim17ROCPRIM_400000_NS6detail17trampoline_kernelINS0_14default_configENS1_27scan_by_key_config_selectorIiiEEZZNS1_16scan_by_key_implILNS1_25lookback_scan_determinismE0ELb0ES3_N6thrust23THRUST_200600_302600_NS18transform_iteratorI9which_rowNS9_17counting_iteratorIiNS9_11use_defaultESD_SD_EESD_SD_EENS9_6detail15normal_iteratorINS9_10device_ptrIiEEEESK_iNS9_4plusIvEENS9_8equal_toIvEEiEE10hipError_tPvRmT2_T3_T4_T5_mT6_T7_P12ihipStream_tbENKUlT_T0_E_clISt17integral_constantIbLb0EES14_IbLb1EEEEDaS10_S11_EUlS10_E_NS1_11comp_targetILNS1_3genE0ELNS1_11target_archE4294967295ELNS1_3gpuE0ELNS1_3repE0EEENS1_30default_config_static_selectorELNS0_4arch9wavefront6targetE0EEEvT1_.num_vgpr, 60
	.set _ZN7rocprim17ROCPRIM_400000_NS6detail17trampoline_kernelINS0_14default_configENS1_27scan_by_key_config_selectorIiiEEZZNS1_16scan_by_key_implILNS1_25lookback_scan_determinismE0ELb0ES3_N6thrust23THRUST_200600_302600_NS18transform_iteratorI9which_rowNS9_17counting_iteratorIiNS9_11use_defaultESD_SD_EESD_SD_EENS9_6detail15normal_iteratorINS9_10device_ptrIiEEEESK_iNS9_4plusIvEENS9_8equal_toIvEEiEE10hipError_tPvRmT2_T3_T4_T5_mT6_T7_P12ihipStream_tbENKUlT_T0_E_clISt17integral_constantIbLb0EES14_IbLb1EEEEDaS10_S11_EUlS10_E_NS1_11comp_targetILNS1_3genE0ELNS1_11target_archE4294967295ELNS1_3gpuE0ELNS1_3repE0EEENS1_30default_config_static_selectorELNS0_4arch9wavefront6targetE0EEEvT1_.num_agpr, 0
	.set _ZN7rocprim17ROCPRIM_400000_NS6detail17trampoline_kernelINS0_14default_configENS1_27scan_by_key_config_selectorIiiEEZZNS1_16scan_by_key_implILNS1_25lookback_scan_determinismE0ELb0ES3_N6thrust23THRUST_200600_302600_NS18transform_iteratorI9which_rowNS9_17counting_iteratorIiNS9_11use_defaultESD_SD_EESD_SD_EENS9_6detail15normal_iteratorINS9_10device_ptrIiEEEESK_iNS9_4plusIvEENS9_8equal_toIvEEiEE10hipError_tPvRmT2_T3_T4_T5_mT6_T7_P12ihipStream_tbENKUlT_T0_E_clISt17integral_constantIbLb0EES14_IbLb1EEEEDaS10_S11_EUlS10_E_NS1_11comp_targetILNS1_3genE0ELNS1_11target_archE4294967295ELNS1_3gpuE0ELNS1_3repE0EEENS1_30default_config_static_selectorELNS0_4arch9wavefront6targetE0EEEvT1_.numbered_sgpr, 48
	.set _ZN7rocprim17ROCPRIM_400000_NS6detail17trampoline_kernelINS0_14default_configENS1_27scan_by_key_config_selectorIiiEEZZNS1_16scan_by_key_implILNS1_25lookback_scan_determinismE0ELb0ES3_N6thrust23THRUST_200600_302600_NS18transform_iteratorI9which_rowNS9_17counting_iteratorIiNS9_11use_defaultESD_SD_EESD_SD_EENS9_6detail15normal_iteratorINS9_10device_ptrIiEEEESK_iNS9_4plusIvEENS9_8equal_toIvEEiEE10hipError_tPvRmT2_T3_T4_T5_mT6_T7_P12ihipStream_tbENKUlT_T0_E_clISt17integral_constantIbLb0EES14_IbLb1EEEEDaS10_S11_EUlS10_E_NS1_11comp_targetILNS1_3genE0ELNS1_11target_archE4294967295ELNS1_3gpuE0ELNS1_3repE0EEENS1_30default_config_static_selectorELNS0_4arch9wavefront6targetE0EEEvT1_.num_named_barrier, 0
	.set _ZN7rocprim17ROCPRIM_400000_NS6detail17trampoline_kernelINS0_14default_configENS1_27scan_by_key_config_selectorIiiEEZZNS1_16scan_by_key_implILNS1_25lookback_scan_determinismE0ELb0ES3_N6thrust23THRUST_200600_302600_NS18transform_iteratorI9which_rowNS9_17counting_iteratorIiNS9_11use_defaultESD_SD_EESD_SD_EENS9_6detail15normal_iteratorINS9_10device_ptrIiEEEESK_iNS9_4plusIvEENS9_8equal_toIvEEiEE10hipError_tPvRmT2_T3_T4_T5_mT6_T7_P12ihipStream_tbENKUlT_T0_E_clISt17integral_constantIbLb0EES14_IbLb1EEEEDaS10_S11_EUlS10_E_NS1_11comp_targetILNS1_3genE0ELNS1_11target_archE4294967295ELNS1_3gpuE0ELNS1_3repE0EEENS1_30default_config_static_selectorELNS0_4arch9wavefront6targetE0EEEvT1_.private_seg_size, 0
	.set _ZN7rocprim17ROCPRIM_400000_NS6detail17trampoline_kernelINS0_14default_configENS1_27scan_by_key_config_selectorIiiEEZZNS1_16scan_by_key_implILNS1_25lookback_scan_determinismE0ELb0ES3_N6thrust23THRUST_200600_302600_NS18transform_iteratorI9which_rowNS9_17counting_iteratorIiNS9_11use_defaultESD_SD_EESD_SD_EENS9_6detail15normal_iteratorINS9_10device_ptrIiEEEESK_iNS9_4plusIvEENS9_8equal_toIvEEiEE10hipError_tPvRmT2_T3_T4_T5_mT6_T7_P12ihipStream_tbENKUlT_T0_E_clISt17integral_constantIbLb0EES14_IbLb1EEEEDaS10_S11_EUlS10_E_NS1_11comp_targetILNS1_3genE0ELNS1_11target_archE4294967295ELNS1_3gpuE0ELNS1_3repE0EEENS1_30default_config_static_selectorELNS0_4arch9wavefront6targetE0EEEvT1_.uses_vcc, 1
	.set _ZN7rocprim17ROCPRIM_400000_NS6detail17trampoline_kernelINS0_14default_configENS1_27scan_by_key_config_selectorIiiEEZZNS1_16scan_by_key_implILNS1_25lookback_scan_determinismE0ELb0ES3_N6thrust23THRUST_200600_302600_NS18transform_iteratorI9which_rowNS9_17counting_iteratorIiNS9_11use_defaultESD_SD_EESD_SD_EENS9_6detail15normal_iteratorINS9_10device_ptrIiEEEESK_iNS9_4plusIvEENS9_8equal_toIvEEiEE10hipError_tPvRmT2_T3_T4_T5_mT6_T7_P12ihipStream_tbENKUlT_T0_E_clISt17integral_constantIbLb0EES14_IbLb1EEEEDaS10_S11_EUlS10_E_NS1_11comp_targetILNS1_3genE0ELNS1_11target_archE4294967295ELNS1_3gpuE0ELNS1_3repE0EEENS1_30default_config_static_selectorELNS0_4arch9wavefront6targetE0EEEvT1_.uses_flat_scratch, 1
	.set _ZN7rocprim17ROCPRIM_400000_NS6detail17trampoline_kernelINS0_14default_configENS1_27scan_by_key_config_selectorIiiEEZZNS1_16scan_by_key_implILNS1_25lookback_scan_determinismE0ELb0ES3_N6thrust23THRUST_200600_302600_NS18transform_iteratorI9which_rowNS9_17counting_iteratorIiNS9_11use_defaultESD_SD_EESD_SD_EENS9_6detail15normal_iteratorINS9_10device_ptrIiEEEESK_iNS9_4plusIvEENS9_8equal_toIvEEiEE10hipError_tPvRmT2_T3_T4_T5_mT6_T7_P12ihipStream_tbENKUlT_T0_E_clISt17integral_constantIbLb0EES14_IbLb1EEEEDaS10_S11_EUlS10_E_NS1_11comp_targetILNS1_3genE0ELNS1_11target_archE4294967295ELNS1_3gpuE0ELNS1_3repE0EEENS1_30default_config_static_selectorELNS0_4arch9wavefront6targetE0EEEvT1_.has_dyn_sized_stack, 0
	.set _ZN7rocprim17ROCPRIM_400000_NS6detail17trampoline_kernelINS0_14default_configENS1_27scan_by_key_config_selectorIiiEEZZNS1_16scan_by_key_implILNS1_25lookback_scan_determinismE0ELb0ES3_N6thrust23THRUST_200600_302600_NS18transform_iteratorI9which_rowNS9_17counting_iteratorIiNS9_11use_defaultESD_SD_EESD_SD_EENS9_6detail15normal_iteratorINS9_10device_ptrIiEEEESK_iNS9_4plusIvEENS9_8equal_toIvEEiEE10hipError_tPvRmT2_T3_T4_T5_mT6_T7_P12ihipStream_tbENKUlT_T0_E_clISt17integral_constantIbLb0EES14_IbLb1EEEEDaS10_S11_EUlS10_E_NS1_11comp_targetILNS1_3genE0ELNS1_11target_archE4294967295ELNS1_3gpuE0ELNS1_3repE0EEENS1_30default_config_static_selectorELNS0_4arch9wavefront6targetE0EEEvT1_.has_recursion, 0
	.set _ZN7rocprim17ROCPRIM_400000_NS6detail17trampoline_kernelINS0_14default_configENS1_27scan_by_key_config_selectorIiiEEZZNS1_16scan_by_key_implILNS1_25lookback_scan_determinismE0ELb0ES3_N6thrust23THRUST_200600_302600_NS18transform_iteratorI9which_rowNS9_17counting_iteratorIiNS9_11use_defaultESD_SD_EESD_SD_EENS9_6detail15normal_iteratorINS9_10device_ptrIiEEEESK_iNS9_4plusIvEENS9_8equal_toIvEEiEE10hipError_tPvRmT2_T3_T4_T5_mT6_T7_P12ihipStream_tbENKUlT_T0_E_clISt17integral_constantIbLb0EES14_IbLb1EEEEDaS10_S11_EUlS10_E_NS1_11comp_targetILNS1_3genE0ELNS1_11target_archE4294967295ELNS1_3gpuE0ELNS1_3repE0EEENS1_30default_config_static_selectorELNS0_4arch9wavefront6targetE0EEEvT1_.has_indirect_call, 0
	.section	.AMDGPU.csdata,"",@progbits
; Kernel info:
; codeLenInByte = 14968
; TotalNumSgprs: 50
; NumVgprs: 60
; ScratchSize: 0
; MemoryBound: 0
; FloatMode: 240
; IeeeMode: 1
; LDSByteSize: 14336 bytes/workgroup (compile time only)
; SGPRBlocks: 0
; VGPRBlocks: 3
; NumSGPRsForWavesPerEU: 50
; NumVGPRsForWavesPerEU: 60
; NamedBarCnt: 0
; Occupancy: 16
; WaveLimiterHint : 1
; COMPUTE_PGM_RSRC2:SCRATCH_EN: 0
; COMPUTE_PGM_RSRC2:USER_SGPR: 2
; COMPUTE_PGM_RSRC2:TRAP_HANDLER: 0
; COMPUTE_PGM_RSRC2:TGID_X_EN: 1
; COMPUTE_PGM_RSRC2:TGID_Y_EN: 0
; COMPUTE_PGM_RSRC2:TGID_Z_EN: 0
; COMPUTE_PGM_RSRC2:TIDIG_COMP_CNT: 0
	.section	.text._ZN7rocprim17ROCPRIM_400000_NS6detail17trampoline_kernelINS0_14default_configENS1_27scan_by_key_config_selectorIiiEEZZNS1_16scan_by_key_implILNS1_25lookback_scan_determinismE0ELb0ES3_N6thrust23THRUST_200600_302600_NS18transform_iteratorI9which_rowNS9_17counting_iteratorIiNS9_11use_defaultESD_SD_EESD_SD_EENS9_6detail15normal_iteratorINS9_10device_ptrIiEEEESK_iNS9_4plusIvEENS9_8equal_toIvEEiEE10hipError_tPvRmT2_T3_T4_T5_mT6_T7_P12ihipStream_tbENKUlT_T0_E_clISt17integral_constantIbLb0EES14_IbLb1EEEEDaS10_S11_EUlS10_E_NS1_11comp_targetILNS1_3genE10ELNS1_11target_archE1201ELNS1_3gpuE5ELNS1_3repE0EEENS1_30default_config_static_selectorELNS0_4arch9wavefront6targetE0EEEvT1_,"axG",@progbits,_ZN7rocprim17ROCPRIM_400000_NS6detail17trampoline_kernelINS0_14default_configENS1_27scan_by_key_config_selectorIiiEEZZNS1_16scan_by_key_implILNS1_25lookback_scan_determinismE0ELb0ES3_N6thrust23THRUST_200600_302600_NS18transform_iteratorI9which_rowNS9_17counting_iteratorIiNS9_11use_defaultESD_SD_EESD_SD_EENS9_6detail15normal_iteratorINS9_10device_ptrIiEEEESK_iNS9_4plusIvEENS9_8equal_toIvEEiEE10hipError_tPvRmT2_T3_T4_T5_mT6_T7_P12ihipStream_tbENKUlT_T0_E_clISt17integral_constantIbLb0EES14_IbLb1EEEEDaS10_S11_EUlS10_E_NS1_11comp_targetILNS1_3genE10ELNS1_11target_archE1201ELNS1_3gpuE5ELNS1_3repE0EEENS1_30default_config_static_selectorELNS0_4arch9wavefront6targetE0EEEvT1_,comdat
	.protected	_ZN7rocprim17ROCPRIM_400000_NS6detail17trampoline_kernelINS0_14default_configENS1_27scan_by_key_config_selectorIiiEEZZNS1_16scan_by_key_implILNS1_25lookback_scan_determinismE0ELb0ES3_N6thrust23THRUST_200600_302600_NS18transform_iteratorI9which_rowNS9_17counting_iteratorIiNS9_11use_defaultESD_SD_EESD_SD_EENS9_6detail15normal_iteratorINS9_10device_ptrIiEEEESK_iNS9_4plusIvEENS9_8equal_toIvEEiEE10hipError_tPvRmT2_T3_T4_T5_mT6_T7_P12ihipStream_tbENKUlT_T0_E_clISt17integral_constantIbLb0EES14_IbLb1EEEEDaS10_S11_EUlS10_E_NS1_11comp_targetILNS1_3genE10ELNS1_11target_archE1201ELNS1_3gpuE5ELNS1_3repE0EEENS1_30default_config_static_selectorELNS0_4arch9wavefront6targetE0EEEvT1_ ; -- Begin function _ZN7rocprim17ROCPRIM_400000_NS6detail17trampoline_kernelINS0_14default_configENS1_27scan_by_key_config_selectorIiiEEZZNS1_16scan_by_key_implILNS1_25lookback_scan_determinismE0ELb0ES3_N6thrust23THRUST_200600_302600_NS18transform_iteratorI9which_rowNS9_17counting_iteratorIiNS9_11use_defaultESD_SD_EESD_SD_EENS9_6detail15normal_iteratorINS9_10device_ptrIiEEEESK_iNS9_4plusIvEENS9_8equal_toIvEEiEE10hipError_tPvRmT2_T3_T4_T5_mT6_T7_P12ihipStream_tbENKUlT_T0_E_clISt17integral_constantIbLb0EES14_IbLb1EEEEDaS10_S11_EUlS10_E_NS1_11comp_targetILNS1_3genE10ELNS1_11target_archE1201ELNS1_3gpuE5ELNS1_3repE0EEENS1_30default_config_static_selectorELNS0_4arch9wavefront6targetE0EEEvT1_
	.globl	_ZN7rocprim17ROCPRIM_400000_NS6detail17trampoline_kernelINS0_14default_configENS1_27scan_by_key_config_selectorIiiEEZZNS1_16scan_by_key_implILNS1_25lookback_scan_determinismE0ELb0ES3_N6thrust23THRUST_200600_302600_NS18transform_iteratorI9which_rowNS9_17counting_iteratorIiNS9_11use_defaultESD_SD_EESD_SD_EENS9_6detail15normal_iteratorINS9_10device_ptrIiEEEESK_iNS9_4plusIvEENS9_8equal_toIvEEiEE10hipError_tPvRmT2_T3_T4_T5_mT6_T7_P12ihipStream_tbENKUlT_T0_E_clISt17integral_constantIbLb0EES14_IbLb1EEEEDaS10_S11_EUlS10_E_NS1_11comp_targetILNS1_3genE10ELNS1_11target_archE1201ELNS1_3gpuE5ELNS1_3repE0EEENS1_30default_config_static_selectorELNS0_4arch9wavefront6targetE0EEEvT1_
	.p2align	8
	.type	_ZN7rocprim17ROCPRIM_400000_NS6detail17trampoline_kernelINS0_14default_configENS1_27scan_by_key_config_selectorIiiEEZZNS1_16scan_by_key_implILNS1_25lookback_scan_determinismE0ELb0ES3_N6thrust23THRUST_200600_302600_NS18transform_iteratorI9which_rowNS9_17counting_iteratorIiNS9_11use_defaultESD_SD_EESD_SD_EENS9_6detail15normal_iteratorINS9_10device_ptrIiEEEESK_iNS9_4plusIvEENS9_8equal_toIvEEiEE10hipError_tPvRmT2_T3_T4_T5_mT6_T7_P12ihipStream_tbENKUlT_T0_E_clISt17integral_constantIbLb0EES14_IbLb1EEEEDaS10_S11_EUlS10_E_NS1_11comp_targetILNS1_3genE10ELNS1_11target_archE1201ELNS1_3gpuE5ELNS1_3repE0EEENS1_30default_config_static_selectorELNS0_4arch9wavefront6targetE0EEEvT1_,@function
_ZN7rocprim17ROCPRIM_400000_NS6detail17trampoline_kernelINS0_14default_configENS1_27scan_by_key_config_selectorIiiEEZZNS1_16scan_by_key_implILNS1_25lookback_scan_determinismE0ELb0ES3_N6thrust23THRUST_200600_302600_NS18transform_iteratorI9which_rowNS9_17counting_iteratorIiNS9_11use_defaultESD_SD_EESD_SD_EENS9_6detail15normal_iteratorINS9_10device_ptrIiEEEESK_iNS9_4plusIvEENS9_8equal_toIvEEiEE10hipError_tPvRmT2_T3_T4_T5_mT6_T7_P12ihipStream_tbENKUlT_T0_E_clISt17integral_constantIbLb0EES14_IbLb1EEEEDaS10_S11_EUlS10_E_NS1_11comp_targetILNS1_3genE10ELNS1_11target_archE1201ELNS1_3gpuE5ELNS1_3repE0EEENS1_30default_config_static_selectorELNS0_4arch9wavefront6targetE0EEEvT1_: ; @_ZN7rocprim17ROCPRIM_400000_NS6detail17trampoline_kernelINS0_14default_configENS1_27scan_by_key_config_selectorIiiEEZZNS1_16scan_by_key_implILNS1_25lookback_scan_determinismE0ELb0ES3_N6thrust23THRUST_200600_302600_NS18transform_iteratorI9which_rowNS9_17counting_iteratorIiNS9_11use_defaultESD_SD_EESD_SD_EENS9_6detail15normal_iteratorINS9_10device_ptrIiEEEESK_iNS9_4plusIvEENS9_8equal_toIvEEiEE10hipError_tPvRmT2_T3_T4_T5_mT6_T7_P12ihipStream_tbENKUlT_T0_E_clISt17integral_constantIbLb0EES14_IbLb1EEEEDaS10_S11_EUlS10_E_NS1_11comp_targetILNS1_3genE10ELNS1_11target_archE1201ELNS1_3gpuE5ELNS1_3repE0EEENS1_30default_config_static_selectorELNS0_4arch9wavefront6targetE0EEEvT1_
; %bb.0:
	.section	.rodata,"a",@progbits
	.p2align	6, 0x0
	.amdhsa_kernel _ZN7rocprim17ROCPRIM_400000_NS6detail17trampoline_kernelINS0_14default_configENS1_27scan_by_key_config_selectorIiiEEZZNS1_16scan_by_key_implILNS1_25lookback_scan_determinismE0ELb0ES3_N6thrust23THRUST_200600_302600_NS18transform_iteratorI9which_rowNS9_17counting_iteratorIiNS9_11use_defaultESD_SD_EESD_SD_EENS9_6detail15normal_iteratorINS9_10device_ptrIiEEEESK_iNS9_4plusIvEENS9_8equal_toIvEEiEE10hipError_tPvRmT2_T3_T4_T5_mT6_T7_P12ihipStream_tbENKUlT_T0_E_clISt17integral_constantIbLb0EES14_IbLb1EEEEDaS10_S11_EUlS10_E_NS1_11comp_targetILNS1_3genE10ELNS1_11target_archE1201ELNS1_3gpuE5ELNS1_3repE0EEENS1_30default_config_static_selectorELNS0_4arch9wavefront6targetE0EEEvT1_
		.amdhsa_group_segment_fixed_size 0
		.amdhsa_private_segment_fixed_size 0
		.amdhsa_kernarg_size 112
		.amdhsa_user_sgpr_count 2
		.amdhsa_user_sgpr_dispatch_ptr 0
		.amdhsa_user_sgpr_queue_ptr 0
		.amdhsa_user_sgpr_kernarg_segment_ptr 1
		.amdhsa_user_sgpr_dispatch_id 0
		.amdhsa_user_sgpr_kernarg_preload_length 0
		.amdhsa_user_sgpr_kernarg_preload_offset 0
		.amdhsa_user_sgpr_private_segment_size 0
		.amdhsa_wavefront_size32 1
		.amdhsa_uses_dynamic_stack 0
		.amdhsa_enable_private_segment 0
		.amdhsa_system_sgpr_workgroup_id_x 1
		.amdhsa_system_sgpr_workgroup_id_y 0
		.amdhsa_system_sgpr_workgroup_id_z 0
		.amdhsa_system_sgpr_workgroup_info 0
		.amdhsa_system_vgpr_workitem_id 0
		.amdhsa_next_free_vgpr 1
		.amdhsa_next_free_sgpr 1
		.amdhsa_named_barrier_count 0
		.amdhsa_reserve_vcc 0
		.amdhsa_float_round_mode_32 0
		.amdhsa_float_round_mode_16_64 0
		.amdhsa_float_denorm_mode_32 3
		.amdhsa_float_denorm_mode_16_64 3
		.amdhsa_fp16_overflow 0
		.amdhsa_memory_ordered 1
		.amdhsa_forward_progress 1
		.amdhsa_inst_pref_size 0
		.amdhsa_round_robin_scheduling 0
		.amdhsa_exception_fp_ieee_invalid_op 0
		.amdhsa_exception_fp_denorm_src 0
		.amdhsa_exception_fp_ieee_div_zero 0
		.amdhsa_exception_fp_ieee_overflow 0
		.amdhsa_exception_fp_ieee_underflow 0
		.amdhsa_exception_fp_ieee_inexact 0
		.amdhsa_exception_int_div_zero 0
	.end_amdhsa_kernel
	.section	.text._ZN7rocprim17ROCPRIM_400000_NS6detail17trampoline_kernelINS0_14default_configENS1_27scan_by_key_config_selectorIiiEEZZNS1_16scan_by_key_implILNS1_25lookback_scan_determinismE0ELb0ES3_N6thrust23THRUST_200600_302600_NS18transform_iteratorI9which_rowNS9_17counting_iteratorIiNS9_11use_defaultESD_SD_EESD_SD_EENS9_6detail15normal_iteratorINS9_10device_ptrIiEEEESK_iNS9_4plusIvEENS9_8equal_toIvEEiEE10hipError_tPvRmT2_T3_T4_T5_mT6_T7_P12ihipStream_tbENKUlT_T0_E_clISt17integral_constantIbLb0EES14_IbLb1EEEEDaS10_S11_EUlS10_E_NS1_11comp_targetILNS1_3genE10ELNS1_11target_archE1201ELNS1_3gpuE5ELNS1_3repE0EEENS1_30default_config_static_selectorELNS0_4arch9wavefront6targetE0EEEvT1_,"axG",@progbits,_ZN7rocprim17ROCPRIM_400000_NS6detail17trampoline_kernelINS0_14default_configENS1_27scan_by_key_config_selectorIiiEEZZNS1_16scan_by_key_implILNS1_25lookback_scan_determinismE0ELb0ES3_N6thrust23THRUST_200600_302600_NS18transform_iteratorI9which_rowNS9_17counting_iteratorIiNS9_11use_defaultESD_SD_EESD_SD_EENS9_6detail15normal_iteratorINS9_10device_ptrIiEEEESK_iNS9_4plusIvEENS9_8equal_toIvEEiEE10hipError_tPvRmT2_T3_T4_T5_mT6_T7_P12ihipStream_tbENKUlT_T0_E_clISt17integral_constantIbLb0EES14_IbLb1EEEEDaS10_S11_EUlS10_E_NS1_11comp_targetILNS1_3genE10ELNS1_11target_archE1201ELNS1_3gpuE5ELNS1_3repE0EEENS1_30default_config_static_selectorELNS0_4arch9wavefront6targetE0EEEvT1_,comdat
.Lfunc_end120:
	.size	_ZN7rocprim17ROCPRIM_400000_NS6detail17trampoline_kernelINS0_14default_configENS1_27scan_by_key_config_selectorIiiEEZZNS1_16scan_by_key_implILNS1_25lookback_scan_determinismE0ELb0ES3_N6thrust23THRUST_200600_302600_NS18transform_iteratorI9which_rowNS9_17counting_iteratorIiNS9_11use_defaultESD_SD_EESD_SD_EENS9_6detail15normal_iteratorINS9_10device_ptrIiEEEESK_iNS9_4plusIvEENS9_8equal_toIvEEiEE10hipError_tPvRmT2_T3_T4_T5_mT6_T7_P12ihipStream_tbENKUlT_T0_E_clISt17integral_constantIbLb0EES14_IbLb1EEEEDaS10_S11_EUlS10_E_NS1_11comp_targetILNS1_3genE10ELNS1_11target_archE1201ELNS1_3gpuE5ELNS1_3repE0EEENS1_30default_config_static_selectorELNS0_4arch9wavefront6targetE0EEEvT1_, .Lfunc_end120-_ZN7rocprim17ROCPRIM_400000_NS6detail17trampoline_kernelINS0_14default_configENS1_27scan_by_key_config_selectorIiiEEZZNS1_16scan_by_key_implILNS1_25lookback_scan_determinismE0ELb0ES3_N6thrust23THRUST_200600_302600_NS18transform_iteratorI9which_rowNS9_17counting_iteratorIiNS9_11use_defaultESD_SD_EESD_SD_EENS9_6detail15normal_iteratorINS9_10device_ptrIiEEEESK_iNS9_4plusIvEENS9_8equal_toIvEEiEE10hipError_tPvRmT2_T3_T4_T5_mT6_T7_P12ihipStream_tbENKUlT_T0_E_clISt17integral_constantIbLb0EES14_IbLb1EEEEDaS10_S11_EUlS10_E_NS1_11comp_targetILNS1_3genE10ELNS1_11target_archE1201ELNS1_3gpuE5ELNS1_3repE0EEENS1_30default_config_static_selectorELNS0_4arch9wavefront6targetE0EEEvT1_
                                        ; -- End function
	.set _ZN7rocprim17ROCPRIM_400000_NS6detail17trampoline_kernelINS0_14default_configENS1_27scan_by_key_config_selectorIiiEEZZNS1_16scan_by_key_implILNS1_25lookback_scan_determinismE0ELb0ES3_N6thrust23THRUST_200600_302600_NS18transform_iteratorI9which_rowNS9_17counting_iteratorIiNS9_11use_defaultESD_SD_EESD_SD_EENS9_6detail15normal_iteratorINS9_10device_ptrIiEEEESK_iNS9_4plusIvEENS9_8equal_toIvEEiEE10hipError_tPvRmT2_T3_T4_T5_mT6_T7_P12ihipStream_tbENKUlT_T0_E_clISt17integral_constantIbLb0EES14_IbLb1EEEEDaS10_S11_EUlS10_E_NS1_11comp_targetILNS1_3genE10ELNS1_11target_archE1201ELNS1_3gpuE5ELNS1_3repE0EEENS1_30default_config_static_selectorELNS0_4arch9wavefront6targetE0EEEvT1_.num_vgpr, 0
	.set _ZN7rocprim17ROCPRIM_400000_NS6detail17trampoline_kernelINS0_14default_configENS1_27scan_by_key_config_selectorIiiEEZZNS1_16scan_by_key_implILNS1_25lookback_scan_determinismE0ELb0ES3_N6thrust23THRUST_200600_302600_NS18transform_iteratorI9which_rowNS9_17counting_iteratorIiNS9_11use_defaultESD_SD_EESD_SD_EENS9_6detail15normal_iteratorINS9_10device_ptrIiEEEESK_iNS9_4plusIvEENS9_8equal_toIvEEiEE10hipError_tPvRmT2_T3_T4_T5_mT6_T7_P12ihipStream_tbENKUlT_T0_E_clISt17integral_constantIbLb0EES14_IbLb1EEEEDaS10_S11_EUlS10_E_NS1_11comp_targetILNS1_3genE10ELNS1_11target_archE1201ELNS1_3gpuE5ELNS1_3repE0EEENS1_30default_config_static_selectorELNS0_4arch9wavefront6targetE0EEEvT1_.num_agpr, 0
	.set _ZN7rocprim17ROCPRIM_400000_NS6detail17trampoline_kernelINS0_14default_configENS1_27scan_by_key_config_selectorIiiEEZZNS1_16scan_by_key_implILNS1_25lookback_scan_determinismE0ELb0ES3_N6thrust23THRUST_200600_302600_NS18transform_iteratorI9which_rowNS9_17counting_iteratorIiNS9_11use_defaultESD_SD_EESD_SD_EENS9_6detail15normal_iteratorINS9_10device_ptrIiEEEESK_iNS9_4plusIvEENS9_8equal_toIvEEiEE10hipError_tPvRmT2_T3_T4_T5_mT6_T7_P12ihipStream_tbENKUlT_T0_E_clISt17integral_constantIbLb0EES14_IbLb1EEEEDaS10_S11_EUlS10_E_NS1_11comp_targetILNS1_3genE10ELNS1_11target_archE1201ELNS1_3gpuE5ELNS1_3repE0EEENS1_30default_config_static_selectorELNS0_4arch9wavefront6targetE0EEEvT1_.numbered_sgpr, 0
	.set _ZN7rocprim17ROCPRIM_400000_NS6detail17trampoline_kernelINS0_14default_configENS1_27scan_by_key_config_selectorIiiEEZZNS1_16scan_by_key_implILNS1_25lookback_scan_determinismE0ELb0ES3_N6thrust23THRUST_200600_302600_NS18transform_iteratorI9which_rowNS9_17counting_iteratorIiNS9_11use_defaultESD_SD_EESD_SD_EENS9_6detail15normal_iteratorINS9_10device_ptrIiEEEESK_iNS9_4plusIvEENS9_8equal_toIvEEiEE10hipError_tPvRmT2_T3_T4_T5_mT6_T7_P12ihipStream_tbENKUlT_T0_E_clISt17integral_constantIbLb0EES14_IbLb1EEEEDaS10_S11_EUlS10_E_NS1_11comp_targetILNS1_3genE10ELNS1_11target_archE1201ELNS1_3gpuE5ELNS1_3repE0EEENS1_30default_config_static_selectorELNS0_4arch9wavefront6targetE0EEEvT1_.num_named_barrier, 0
	.set _ZN7rocprim17ROCPRIM_400000_NS6detail17trampoline_kernelINS0_14default_configENS1_27scan_by_key_config_selectorIiiEEZZNS1_16scan_by_key_implILNS1_25lookback_scan_determinismE0ELb0ES3_N6thrust23THRUST_200600_302600_NS18transform_iteratorI9which_rowNS9_17counting_iteratorIiNS9_11use_defaultESD_SD_EESD_SD_EENS9_6detail15normal_iteratorINS9_10device_ptrIiEEEESK_iNS9_4plusIvEENS9_8equal_toIvEEiEE10hipError_tPvRmT2_T3_T4_T5_mT6_T7_P12ihipStream_tbENKUlT_T0_E_clISt17integral_constantIbLb0EES14_IbLb1EEEEDaS10_S11_EUlS10_E_NS1_11comp_targetILNS1_3genE10ELNS1_11target_archE1201ELNS1_3gpuE5ELNS1_3repE0EEENS1_30default_config_static_selectorELNS0_4arch9wavefront6targetE0EEEvT1_.private_seg_size, 0
	.set _ZN7rocprim17ROCPRIM_400000_NS6detail17trampoline_kernelINS0_14default_configENS1_27scan_by_key_config_selectorIiiEEZZNS1_16scan_by_key_implILNS1_25lookback_scan_determinismE0ELb0ES3_N6thrust23THRUST_200600_302600_NS18transform_iteratorI9which_rowNS9_17counting_iteratorIiNS9_11use_defaultESD_SD_EESD_SD_EENS9_6detail15normal_iteratorINS9_10device_ptrIiEEEESK_iNS9_4plusIvEENS9_8equal_toIvEEiEE10hipError_tPvRmT2_T3_T4_T5_mT6_T7_P12ihipStream_tbENKUlT_T0_E_clISt17integral_constantIbLb0EES14_IbLb1EEEEDaS10_S11_EUlS10_E_NS1_11comp_targetILNS1_3genE10ELNS1_11target_archE1201ELNS1_3gpuE5ELNS1_3repE0EEENS1_30default_config_static_selectorELNS0_4arch9wavefront6targetE0EEEvT1_.uses_vcc, 0
	.set _ZN7rocprim17ROCPRIM_400000_NS6detail17trampoline_kernelINS0_14default_configENS1_27scan_by_key_config_selectorIiiEEZZNS1_16scan_by_key_implILNS1_25lookback_scan_determinismE0ELb0ES3_N6thrust23THRUST_200600_302600_NS18transform_iteratorI9which_rowNS9_17counting_iteratorIiNS9_11use_defaultESD_SD_EESD_SD_EENS9_6detail15normal_iteratorINS9_10device_ptrIiEEEESK_iNS9_4plusIvEENS9_8equal_toIvEEiEE10hipError_tPvRmT2_T3_T4_T5_mT6_T7_P12ihipStream_tbENKUlT_T0_E_clISt17integral_constantIbLb0EES14_IbLb1EEEEDaS10_S11_EUlS10_E_NS1_11comp_targetILNS1_3genE10ELNS1_11target_archE1201ELNS1_3gpuE5ELNS1_3repE0EEENS1_30default_config_static_selectorELNS0_4arch9wavefront6targetE0EEEvT1_.uses_flat_scratch, 0
	.set _ZN7rocprim17ROCPRIM_400000_NS6detail17trampoline_kernelINS0_14default_configENS1_27scan_by_key_config_selectorIiiEEZZNS1_16scan_by_key_implILNS1_25lookback_scan_determinismE0ELb0ES3_N6thrust23THRUST_200600_302600_NS18transform_iteratorI9which_rowNS9_17counting_iteratorIiNS9_11use_defaultESD_SD_EESD_SD_EENS9_6detail15normal_iteratorINS9_10device_ptrIiEEEESK_iNS9_4plusIvEENS9_8equal_toIvEEiEE10hipError_tPvRmT2_T3_T4_T5_mT6_T7_P12ihipStream_tbENKUlT_T0_E_clISt17integral_constantIbLb0EES14_IbLb1EEEEDaS10_S11_EUlS10_E_NS1_11comp_targetILNS1_3genE10ELNS1_11target_archE1201ELNS1_3gpuE5ELNS1_3repE0EEENS1_30default_config_static_selectorELNS0_4arch9wavefront6targetE0EEEvT1_.has_dyn_sized_stack, 0
	.set _ZN7rocprim17ROCPRIM_400000_NS6detail17trampoline_kernelINS0_14default_configENS1_27scan_by_key_config_selectorIiiEEZZNS1_16scan_by_key_implILNS1_25lookback_scan_determinismE0ELb0ES3_N6thrust23THRUST_200600_302600_NS18transform_iteratorI9which_rowNS9_17counting_iteratorIiNS9_11use_defaultESD_SD_EESD_SD_EENS9_6detail15normal_iteratorINS9_10device_ptrIiEEEESK_iNS9_4plusIvEENS9_8equal_toIvEEiEE10hipError_tPvRmT2_T3_T4_T5_mT6_T7_P12ihipStream_tbENKUlT_T0_E_clISt17integral_constantIbLb0EES14_IbLb1EEEEDaS10_S11_EUlS10_E_NS1_11comp_targetILNS1_3genE10ELNS1_11target_archE1201ELNS1_3gpuE5ELNS1_3repE0EEENS1_30default_config_static_selectorELNS0_4arch9wavefront6targetE0EEEvT1_.has_recursion, 0
	.set _ZN7rocprim17ROCPRIM_400000_NS6detail17trampoline_kernelINS0_14default_configENS1_27scan_by_key_config_selectorIiiEEZZNS1_16scan_by_key_implILNS1_25lookback_scan_determinismE0ELb0ES3_N6thrust23THRUST_200600_302600_NS18transform_iteratorI9which_rowNS9_17counting_iteratorIiNS9_11use_defaultESD_SD_EESD_SD_EENS9_6detail15normal_iteratorINS9_10device_ptrIiEEEESK_iNS9_4plusIvEENS9_8equal_toIvEEiEE10hipError_tPvRmT2_T3_T4_T5_mT6_T7_P12ihipStream_tbENKUlT_T0_E_clISt17integral_constantIbLb0EES14_IbLb1EEEEDaS10_S11_EUlS10_E_NS1_11comp_targetILNS1_3genE10ELNS1_11target_archE1201ELNS1_3gpuE5ELNS1_3repE0EEENS1_30default_config_static_selectorELNS0_4arch9wavefront6targetE0EEEvT1_.has_indirect_call, 0
	.section	.AMDGPU.csdata,"",@progbits
; Kernel info:
; codeLenInByte = 0
; TotalNumSgprs: 0
; NumVgprs: 0
; ScratchSize: 0
; MemoryBound: 0
; FloatMode: 240
; IeeeMode: 1
; LDSByteSize: 0 bytes/workgroup (compile time only)
; SGPRBlocks: 0
; VGPRBlocks: 0
; NumSGPRsForWavesPerEU: 1
; NumVGPRsForWavesPerEU: 1
; NamedBarCnt: 0
; Occupancy: 16
; WaveLimiterHint : 0
; COMPUTE_PGM_RSRC2:SCRATCH_EN: 0
; COMPUTE_PGM_RSRC2:USER_SGPR: 2
; COMPUTE_PGM_RSRC2:TRAP_HANDLER: 0
; COMPUTE_PGM_RSRC2:TGID_X_EN: 1
; COMPUTE_PGM_RSRC2:TGID_Y_EN: 0
; COMPUTE_PGM_RSRC2:TGID_Z_EN: 0
; COMPUTE_PGM_RSRC2:TIDIG_COMP_CNT: 0
	.section	.text._ZN7rocprim17ROCPRIM_400000_NS6detail17trampoline_kernelINS0_14default_configENS1_27scan_by_key_config_selectorIiiEEZZNS1_16scan_by_key_implILNS1_25lookback_scan_determinismE0ELb0ES3_N6thrust23THRUST_200600_302600_NS18transform_iteratorI9which_rowNS9_17counting_iteratorIiNS9_11use_defaultESD_SD_EESD_SD_EENS9_6detail15normal_iteratorINS9_10device_ptrIiEEEESK_iNS9_4plusIvEENS9_8equal_toIvEEiEE10hipError_tPvRmT2_T3_T4_T5_mT6_T7_P12ihipStream_tbENKUlT_T0_E_clISt17integral_constantIbLb0EES14_IbLb1EEEEDaS10_S11_EUlS10_E_NS1_11comp_targetILNS1_3genE5ELNS1_11target_archE942ELNS1_3gpuE9ELNS1_3repE0EEENS1_30default_config_static_selectorELNS0_4arch9wavefront6targetE0EEEvT1_,"axG",@progbits,_ZN7rocprim17ROCPRIM_400000_NS6detail17trampoline_kernelINS0_14default_configENS1_27scan_by_key_config_selectorIiiEEZZNS1_16scan_by_key_implILNS1_25lookback_scan_determinismE0ELb0ES3_N6thrust23THRUST_200600_302600_NS18transform_iteratorI9which_rowNS9_17counting_iteratorIiNS9_11use_defaultESD_SD_EESD_SD_EENS9_6detail15normal_iteratorINS9_10device_ptrIiEEEESK_iNS9_4plusIvEENS9_8equal_toIvEEiEE10hipError_tPvRmT2_T3_T4_T5_mT6_T7_P12ihipStream_tbENKUlT_T0_E_clISt17integral_constantIbLb0EES14_IbLb1EEEEDaS10_S11_EUlS10_E_NS1_11comp_targetILNS1_3genE5ELNS1_11target_archE942ELNS1_3gpuE9ELNS1_3repE0EEENS1_30default_config_static_selectorELNS0_4arch9wavefront6targetE0EEEvT1_,comdat
	.protected	_ZN7rocprim17ROCPRIM_400000_NS6detail17trampoline_kernelINS0_14default_configENS1_27scan_by_key_config_selectorIiiEEZZNS1_16scan_by_key_implILNS1_25lookback_scan_determinismE0ELb0ES3_N6thrust23THRUST_200600_302600_NS18transform_iteratorI9which_rowNS9_17counting_iteratorIiNS9_11use_defaultESD_SD_EESD_SD_EENS9_6detail15normal_iteratorINS9_10device_ptrIiEEEESK_iNS9_4plusIvEENS9_8equal_toIvEEiEE10hipError_tPvRmT2_T3_T4_T5_mT6_T7_P12ihipStream_tbENKUlT_T0_E_clISt17integral_constantIbLb0EES14_IbLb1EEEEDaS10_S11_EUlS10_E_NS1_11comp_targetILNS1_3genE5ELNS1_11target_archE942ELNS1_3gpuE9ELNS1_3repE0EEENS1_30default_config_static_selectorELNS0_4arch9wavefront6targetE0EEEvT1_ ; -- Begin function _ZN7rocprim17ROCPRIM_400000_NS6detail17trampoline_kernelINS0_14default_configENS1_27scan_by_key_config_selectorIiiEEZZNS1_16scan_by_key_implILNS1_25lookback_scan_determinismE0ELb0ES3_N6thrust23THRUST_200600_302600_NS18transform_iteratorI9which_rowNS9_17counting_iteratorIiNS9_11use_defaultESD_SD_EESD_SD_EENS9_6detail15normal_iteratorINS9_10device_ptrIiEEEESK_iNS9_4plusIvEENS9_8equal_toIvEEiEE10hipError_tPvRmT2_T3_T4_T5_mT6_T7_P12ihipStream_tbENKUlT_T0_E_clISt17integral_constantIbLb0EES14_IbLb1EEEEDaS10_S11_EUlS10_E_NS1_11comp_targetILNS1_3genE5ELNS1_11target_archE942ELNS1_3gpuE9ELNS1_3repE0EEENS1_30default_config_static_selectorELNS0_4arch9wavefront6targetE0EEEvT1_
	.globl	_ZN7rocprim17ROCPRIM_400000_NS6detail17trampoline_kernelINS0_14default_configENS1_27scan_by_key_config_selectorIiiEEZZNS1_16scan_by_key_implILNS1_25lookback_scan_determinismE0ELb0ES3_N6thrust23THRUST_200600_302600_NS18transform_iteratorI9which_rowNS9_17counting_iteratorIiNS9_11use_defaultESD_SD_EESD_SD_EENS9_6detail15normal_iteratorINS9_10device_ptrIiEEEESK_iNS9_4plusIvEENS9_8equal_toIvEEiEE10hipError_tPvRmT2_T3_T4_T5_mT6_T7_P12ihipStream_tbENKUlT_T0_E_clISt17integral_constantIbLb0EES14_IbLb1EEEEDaS10_S11_EUlS10_E_NS1_11comp_targetILNS1_3genE5ELNS1_11target_archE942ELNS1_3gpuE9ELNS1_3repE0EEENS1_30default_config_static_selectorELNS0_4arch9wavefront6targetE0EEEvT1_
	.p2align	8
	.type	_ZN7rocprim17ROCPRIM_400000_NS6detail17trampoline_kernelINS0_14default_configENS1_27scan_by_key_config_selectorIiiEEZZNS1_16scan_by_key_implILNS1_25lookback_scan_determinismE0ELb0ES3_N6thrust23THRUST_200600_302600_NS18transform_iteratorI9which_rowNS9_17counting_iteratorIiNS9_11use_defaultESD_SD_EESD_SD_EENS9_6detail15normal_iteratorINS9_10device_ptrIiEEEESK_iNS9_4plusIvEENS9_8equal_toIvEEiEE10hipError_tPvRmT2_T3_T4_T5_mT6_T7_P12ihipStream_tbENKUlT_T0_E_clISt17integral_constantIbLb0EES14_IbLb1EEEEDaS10_S11_EUlS10_E_NS1_11comp_targetILNS1_3genE5ELNS1_11target_archE942ELNS1_3gpuE9ELNS1_3repE0EEENS1_30default_config_static_selectorELNS0_4arch9wavefront6targetE0EEEvT1_,@function
_ZN7rocprim17ROCPRIM_400000_NS6detail17trampoline_kernelINS0_14default_configENS1_27scan_by_key_config_selectorIiiEEZZNS1_16scan_by_key_implILNS1_25lookback_scan_determinismE0ELb0ES3_N6thrust23THRUST_200600_302600_NS18transform_iteratorI9which_rowNS9_17counting_iteratorIiNS9_11use_defaultESD_SD_EESD_SD_EENS9_6detail15normal_iteratorINS9_10device_ptrIiEEEESK_iNS9_4plusIvEENS9_8equal_toIvEEiEE10hipError_tPvRmT2_T3_T4_T5_mT6_T7_P12ihipStream_tbENKUlT_T0_E_clISt17integral_constantIbLb0EES14_IbLb1EEEEDaS10_S11_EUlS10_E_NS1_11comp_targetILNS1_3genE5ELNS1_11target_archE942ELNS1_3gpuE9ELNS1_3repE0EEENS1_30default_config_static_selectorELNS0_4arch9wavefront6targetE0EEEvT1_: ; @_ZN7rocprim17ROCPRIM_400000_NS6detail17trampoline_kernelINS0_14default_configENS1_27scan_by_key_config_selectorIiiEEZZNS1_16scan_by_key_implILNS1_25lookback_scan_determinismE0ELb0ES3_N6thrust23THRUST_200600_302600_NS18transform_iteratorI9which_rowNS9_17counting_iteratorIiNS9_11use_defaultESD_SD_EESD_SD_EENS9_6detail15normal_iteratorINS9_10device_ptrIiEEEESK_iNS9_4plusIvEENS9_8equal_toIvEEiEE10hipError_tPvRmT2_T3_T4_T5_mT6_T7_P12ihipStream_tbENKUlT_T0_E_clISt17integral_constantIbLb0EES14_IbLb1EEEEDaS10_S11_EUlS10_E_NS1_11comp_targetILNS1_3genE5ELNS1_11target_archE942ELNS1_3gpuE9ELNS1_3repE0EEENS1_30default_config_static_selectorELNS0_4arch9wavefront6targetE0EEEvT1_
; %bb.0:
	.section	.rodata,"a",@progbits
	.p2align	6, 0x0
	.amdhsa_kernel _ZN7rocprim17ROCPRIM_400000_NS6detail17trampoline_kernelINS0_14default_configENS1_27scan_by_key_config_selectorIiiEEZZNS1_16scan_by_key_implILNS1_25lookback_scan_determinismE0ELb0ES3_N6thrust23THRUST_200600_302600_NS18transform_iteratorI9which_rowNS9_17counting_iteratorIiNS9_11use_defaultESD_SD_EESD_SD_EENS9_6detail15normal_iteratorINS9_10device_ptrIiEEEESK_iNS9_4plusIvEENS9_8equal_toIvEEiEE10hipError_tPvRmT2_T3_T4_T5_mT6_T7_P12ihipStream_tbENKUlT_T0_E_clISt17integral_constantIbLb0EES14_IbLb1EEEEDaS10_S11_EUlS10_E_NS1_11comp_targetILNS1_3genE5ELNS1_11target_archE942ELNS1_3gpuE9ELNS1_3repE0EEENS1_30default_config_static_selectorELNS0_4arch9wavefront6targetE0EEEvT1_
		.amdhsa_group_segment_fixed_size 0
		.amdhsa_private_segment_fixed_size 0
		.amdhsa_kernarg_size 112
		.amdhsa_user_sgpr_count 2
		.amdhsa_user_sgpr_dispatch_ptr 0
		.amdhsa_user_sgpr_queue_ptr 0
		.amdhsa_user_sgpr_kernarg_segment_ptr 1
		.amdhsa_user_sgpr_dispatch_id 0
		.amdhsa_user_sgpr_kernarg_preload_length 0
		.amdhsa_user_sgpr_kernarg_preload_offset 0
		.amdhsa_user_sgpr_private_segment_size 0
		.amdhsa_wavefront_size32 1
		.amdhsa_uses_dynamic_stack 0
		.amdhsa_enable_private_segment 0
		.amdhsa_system_sgpr_workgroup_id_x 1
		.amdhsa_system_sgpr_workgroup_id_y 0
		.amdhsa_system_sgpr_workgroup_id_z 0
		.amdhsa_system_sgpr_workgroup_info 0
		.amdhsa_system_vgpr_workitem_id 0
		.amdhsa_next_free_vgpr 1
		.amdhsa_next_free_sgpr 1
		.amdhsa_named_barrier_count 0
		.amdhsa_reserve_vcc 0
		.amdhsa_float_round_mode_32 0
		.amdhsa_float_round_mode_16_64 0
		.amdhsa_float_denorm_mode_32 3
		.amdhsa_float_denorm_mode_16_64 3
		.amdhsa_fp16_overflow 0
		.amdhsa_memory_ordered 1
		.amdhsa_forward_progress 1
		.amdhsa_inst_pref_size 0
		.amdhsa_round_robin_scheduling 0
		.amdhsa_exception_fp_ieee_invalid_op 0
		.amdhsa_exception_fp_denorm_src 0
		.amdhsa_exception_fp_ieee_div_zero 0
		.amdhsa_exception_fp_ieee_overflow 0
		.amdhsa_exception_fp_ieee_underflow 0
		.amdhsa_exception_fp_ieee_inexact 0
		.amdhsa_exception_int_div_zero 0
	.end_amdhsa_kernel
	.section	.text._ZN7rocprim17ROCPRIM_400000_NS6detail17trampoline_kernelINS0_14default_configENS1_27scan_by_key_config_selectorIiiEEZZNS1_16scan_by_key_implILNS1_25lookback_scan_determinismE0ELb0ES3_N6thrust23THRUST_200600_302600_NS18transform_iteratorI9which_rowNS9_17counting_iteratorIiNS9_11use_defaultESD_SD_EESD_SD_EENS9_6detail15normal_iteratorINS9_10device_ptrIiEEEESK_iNS9_4plusIvEENS9_8equal_toIvEEiEE10hipError_tPvRmT2_T3_T4_T5_mT6_T7_P12ihipStream_tbENKUlT_T0_E_clISt17integral_constantIbLb0EES14_IbLb1EEEEDaS10_S11_EUlS10_E_NS1_11comp_targetILNS1_3genE5ELNS1_11target_archE942ELNS1_3gpuE9ELNS1_3repE0EEENS1_30default_config_static_selectorELNS0_4arch9wavefront6targetE0EEEvT1_,"axG",@progbits,_ZN7rocprim17ROCPRIM_400000_NS6detail17trampoline_kernelINS0_14default_configENS1_27scan_by_key_config_selectorIiiEEZZNS1_16scan_by_key_implILNS1_25lookback_scan_determinismE0ELb0ES3_N6thrust23THRUST_200600_302600_NS18transform_iteratorI9which_rowNS9_17counting_iteratorIiNS9_11use_defaultESD_SD_EESD_SD_EENS9_6detail15normal_iteratorINS9_10device_ptrIiEEEESK_iNS9_4plusIvEENS9_8equal_toIvEEiEE10hipError_tPvRmT2_T3_T4_T5_mT6_T7_P12ihipStream_tbENKUlT_T0_E_clISt17integral_constantIbLb0EES14_IbLb1EEEEDaS10_S11_EUlS10_E_NS1_11comp_targetILNS1_3genE5ELNS1_11target_archE942ELNS1_3gpuE9ELNS1_3repE0EEENS1_30default_config_static_selectorELNS0_4arch9wavefront6targetE0EEEvT1_,comdat
.Lfunc_end121:
	.size	_ZN7rocprim17ROCPRIM_400000_NS6detail17trampoline_kernelINS0_14default_configENS1_27scan_by_key_config_selectorIiiEEZZNS1_16scan_by_key_implILNS1_25lookback_scan_determinismE0ELb0ES3_N6thrust23THRUST_200600_302600_NS18transform_iteratorI9which_rowNS9_17counting_iteratorIiNS9_11use_defaultESD_SD_EESD_SD_EENS9_6detail15normal_iteratorINS9_10device_ptrIiEEEESK_iNS9_4plusIvEENS9_8equal_toIvEEiEE10hipError_tPvRmT2_T3_T4_T5_mT6_T7_P12ihipStream_tbENKUlT_T0_E_clISt17integral_constantIbLb0EES14_IbLb1EEEEDaS10_S11_EUlS10_E_NS1_11comp_targetILNS1_3genE5ELNS1_11target_archE942ELNS1_3gpuE9ELNS1_3repE0EEENS1_30default_config_static_selectorELNS0_4arch9wavefront6targetE0EEEvT1_, .Lfunc_end121-_ZN7rocprim17ROCPRIM_400000_NS6detail17trampoline_kernelINS0_14default_configENS1_27scan_by_key_config_selectorIiiEEZZNS1_16scan_by_key_implILNS1_25lookback_scan_determinismE0ELb0ES3_N6thrust23THRUST_200600_302600_NS18transform_iteratorI9which_rowNS9_17counting_iteratorIiNS9_11use_defaultESD_SD_EESD_SD_EENS9_6detail15normal_iteratorINS9_10device_ptrIiEEEESK_iNS9_4plusIvEENS9_8equal_toIvEEiEE10hipError_tPvRmT2_T3_T4_T5_mT6_T7_P12ihipStream_tbENKUlT_T0_E_clISt17integral_constantIbLb0EES14_IbLb1EEEEDaS10_S11_EUlS10_E_NS1_11comp_targetILNS1_3genE5ELNS1_11target_archE942ELNS1_3gpuE9ELNS1_3repE0EEENS1_30default_config_static_selectorELNS0_4arch9wavefront6targetE0EEEvT1_
                                        ; -- End function
	.set _ZN7rocprim17ROCPRIM_400000_NS6detail17trampoline_kernelINS0_14default_configENS1_27scan_by_key_config_selectorIiiEEZZNS1_16scan_by_key_implILNS1_25lookback_scan_determinismE0ELb0ES3_N6thrust23THRUST_200600_302600_NS18transform_iteratorI9which_rowNS9_17counting_iteratorIiNS9_11use_defaultESD_SD_EESD_SD_EENS9_6detail15normal_iteratorINS9_10device_ptrIiEEEESK_iNS9_4plusIvEENS9_8equal_toIvEEiEE10hipError_tPvRmT2_T3_T4_T5_mT6_T7_P12ihipStream_tbENKUlT_T0_E_clISt17integral_constantIbLb0EES14_IbLb1EEEEDaS10_S11_EUlS10_E_NS1_11comp_targetILNS1_3genE5ELNS1_11target_archE942ELNS1_3gpuE9ELNS1_3repE0EEENS1_30default_config_static_selectorELNS0_4arch9wavefront6targetE0EEEvT1_.num_vgpr, 0
	.set _ZN7rocprim17ROCPRIM_400000_NS6detail17trampoline_kernelINS0_14default_configENS1_27scan_by_key_config_selectorIiiEEZZNS1_16scan_by_key_implILNS1_25lookback_scan_determinismE0ELb0ES3_N6thrust23THRUST_200600_302600_NS18transform_iteratorI9which_rowNS9_17counting_iteratorIiNS9_11use_defaultESD_SD_EESD_SD_EENS9_6detail15normal_iteratorINS9_10device_ptrIiEEEESK_iNS9_4plusIvEENS9_8equal_toIvEEiEE10hipError_tPvRmT2_T3_T4_T5_mT6_T7_P12ihipStream_tbENKUlT_T0_E_clISt17integral_constantIbLb0EES14_IbLb1EEEEDaS10_S11_EUlS10_E_NS1_11comp_targetILNS1_3genE5ELNS1_11target_archE942ELNS1_3gpuE9ELNS1_3repE0EEENS1_30default_config_static_selectorELNS0_4arch9wavefront6targetE0EEEvT1_.num_agpr, 0
	.set _ZN7rocprim17ROCPRIM_400000_NS6detail17trampoline_kernelINS0_14default_configENS1_27scan_by_key_config_selectorIiiEEZZNS1_16scan_by_key_implILNS1_25lookback_scan_determinismE0ELb0ES3_N6thrust23THRUST_200600_302600_NS18transform_iteratorI9which_rowNS9_17counting_iteratorIiNS9_11use_defaultESD_SD_EESD_SD_EENS9_6detail15normal_iteratorINS9_10device_ptrIiEEEESK_iNS9_4plusIvEENS9_8equal_toIvEEiEE10hipError_tPvRmT2_T3_T4_T5_mT6_T7_P12ihipStream_tbENKUlT_T0_E_clISt17integral_constantIbLb0EES14_IbLb1EEEEDaS10_S11_EUlS10_E_NS1_11comp_targetILNS1_3genE5ELNS1_11target_archE942ELNS1_3gpuE9ELNS1_3repE0EEENS1_30default_config_static_selectorELNS0_4arch9wavefront6targetE0EEEvT1_.numbered_sgpr, 0
	.set _ZN7rocprim17ROCPRIM_400000_NS6detail17trampoline_kernelINS0_14default_configENS1_27scan_by_key_config_selectorIiiEEZZNS1_16scan_by_key_implILNS1_25lookback_scan_determinismE0ELb0ES3_N6thrust23THRUST_200600_302600_NS18transform_iteratorI9which_rowNS9_17counting_iteratorIiNS9_11use_defaultESD_SD_EESD_SD_EENS9_6detail15normal_iteratorINS9_10device_ptrIiEEEESK_iNS9_4plusIvEENS9_8equal_toIvEEiEE10hipError_tPvRmT2_T3_T4_T5_mT6_T7_P12ihipStream_tbENKUlT_T0_E_clISt17integral_constantIbLb0EES14_IbLb1EEEEDaS10_S11_EUlS10_E_NS1_11comp_targetILNS1_3genE5ELNS1_11target_archE942ELNS1_3gpuE9ELNS1_3repE0EEENS1_30default_config_static_selectorELNS0_4arch9wavefront6targetE0EEEvT1_.num_named_barrier, 0
	.set _ZN7rocprim17ROCPRIM_400000_NS6detail17trampoline_kernelINS0_14default_configENS1_27scan_by_key_config_selectorIiiEEZZNS1_16scan_by_key_implILNS1_25lookback_scan_determinismE0ELb0ES3_N6thrust23THRUST_200600_302600_NS18transform_iteratorI9which_rowNS9_17counting_iteratorIiNS9_11use_defaultESD_SD_EESD_SD_EENS9_6detail15normal_iteratorINS9_10device_ptrIiEEEESK_iNS9_4plusIvEENS9_8equal_toIvEEiEE10hipError_tPvRmT2_T3_T4_T5_mT6_T7_P12ihipStream_tbENKUlT_T0_E_clISt17integral_constantIbLb0EES14_IbLb1EEEEDaS10_S11_EUlS10_E_NS1_11comp_targetILNS1_3genE5ELNS1_11target_archE942ELNS1_3gpuE9ELNS1_3repE0EEENS1_30default_config_static_selectorELNS0_4arch9wavefront6targetE0EEEvT1_.private_seg_size, 0
	.set _ZN7rocprim17ROCPRIM_400000_NS6detail17trampoline_kernelINS0_14default_configENS1_27scan_by_key_config_selectorIiiEEZZNS1_16scan_by_key_implILNS1_25lookback_scan_determinismE0ELb0ES3_N6thrust23THRUST_200600_302600_NS18transform_iteratorI9which_rowNS9_17counting_iteratorIiNS9_11use_defaultESD_SD_EESD_SD_EENS9_6detail15normal_iteratorINS9_10device_ptrIiEEEESK_iNS9_4plusIvEENS9_8equal_toIvEEiEE10hipError_tPvRmT2_T3_T4_T5_mT6_T7_P12ihipStream_tbENKUlT_T0_E_clISt17integral_constantIbLb0EES14_IbLb1EEEEDaS10_S11_EUlS10_E_NS1_11comp_targetILNS1_3genE5ELNS1_11target_archE942ELNS1_3gpuE9ELNS1_3repE0EEENS1_30default_config_static_selectorELNS0_4arch9wavefront6targetE0EEEvT1_.uses_vcc, 0
	.set _ZN7rocprim17ROCPRIM_400000_NS6detail17trampoline_kernelINS0_14default_configENS1_27scan_by_key_config_selectorIiiEEZZNS1_16scan_by_key_implILNS1_25lookback_scan_determinismE0ELb0ES3_N6thrust23THRUST_200600_302600_NS18transform_iteratorI9which_rowNS9_17counting_iteratorIiNS9_11use_defaultESD_SD_EESD_SD_EENS9_6detail15normal_iteratorINS9_10device_ptrIiEEEESK_iNS9_4plusIvEENS9_8equal_toIvEEiEE10hipError_tPvRmT2_T3_T4_T5_mT6_T7_P12ihipStream_tbENKUlT_T0_E_clISt17integral_constantIbLb0EES14_IbLb1EEEEDaS10_S11_EUlS10_E_NS1_11comp_targetILNS1_3genE5ELNS1_11target_archE942ELNS1_3gpuE9ELNS1_3repE0EEENS1_30default_config_static_selectorELNS0_4arch9wavefront6targetE0EEEvT1_.uses_flat_scratch, 0
	.set _ZN7rocprim17ROCPRIM_400000_NS6detail17trampoline_kernelINS0_14default_configENS1_27scan_by_key_config_selectorIiiEEZZNS1_16scan_by_key_implILNS1_25lookback_scan_determinismE0ELb0ES3_N6thrust23THRUST_200600_302600_NS18transform_iteratorI9which_rowNS9_17counting_iteratorIiNS9_11use_defaultESD_SD_EESD_SD_EENS9_6detail15normal_iteratorINS9_10device_ptrIiEEEESK_iNS9_4plusIvEENS9_8equal_toIvEEiEE10hipError_tPvRmT2_T3_T4_T5_mT6_T7_P12ihipStream_tbENKUlT_T0_E_clISt17integral_constantIbLb0EES14_IbLb1EEEEDaS10_S11_EUlS10_E_NS1_11comp_targetILNS1_3genE5ELNS1_11target_archE942ELNS1_3gpuE9ELNS1_3repE0EEENS1_30default_config_static_selectorELNS0_4arch9wavefront6targetE0EEEvT1_.has_dyn_sized_stack, 0
	.set _ZN7rocprim17ROCPRIM_400000_NS6detail17trampoline_kernelINS0_14default_configENS1_27scan_by_key_config_selectorIiiEEZZNS1_16scan_by_key_implILNS1_25lookback_scan_determinismE0ELb0ES3_N6thrust23THRUST_200600_302600_NS18transform_iteratorI9which_rowNS9_17counting_iteratorIiNS9_11use_defaultESD_SD_EESD_SD_EENS9_6detail15normal_iteratorINS9_10device_ptrIiEEEESK_iNS9_4plusIvEENS9_8equal_toIvEEiEE10hipError_tPvRmT2_T3_T4_T5_mT6_T7_P12ihipStream_tbENKUlT_T0_E_clISt17integral_constantIbLb0EES14_IbLb1EEEEDaS10_S11_EUlS10_E_NS1_11comp_targetILNS1_3genE5ELNS1_11target_archE942ELNS1_3gpuE9ELNS1_3repE0EEENS1_30default_config_static_selectorELNS0_4arch9wavefront6targetE0EEEvT1_.has_recursion, 0
	.set _ZN7rocprim17ROCPRIM_400000_NS6detail17trampoline_kernelINS0_14default_configENS1_27scan_by_key_config_selectorIiiEEZZNS1_16scan_by_key_implILNS1_25lookback_scan_determinismE0ELb0ES3_N6thrust23THRUST_200600_302600_NS18transform_iteratorI9which_rowNS9_17counting_iteratorIiNS9_11use_defaultESD_SD_EESD_SD_EENS9_6detail15normal_iteratorINS9_10device_ptrIiEEEESK_iNS9_4plusIvEENS9_8equal_toIvEEiEE10hipError_tPvRmT2_T3_T4_T5_mT6_T7_P12ihipStream_tbENKUlT_T0_E_clISt17integral_constantIbLb0EES14_IbLb1EEEEDaS10_S11_EUlS10_E_NS1_11comp_targetILNS1_3genE5ELNS1_11target_archE942ELNS1_3gpuE9ELNS1_3repE0EEENS1_30default_config_static_selectorELNS0_4arch9wavefront6targetE0EEEvT1_.has_indirect_call, 0
	.section	.AMDGPU.csdata,"",@progbits
; Kernel info:
; codeLenInByte = 0
; TotalNumSgprs: 0
; NumVgprs: 0
; ScratchSize: 0
; MemoryBound: 0
; FloatMode: 240
; IeeeMode: 1
; LDSByteSize: 0 bytes/workgroup (compile time only)
; SGPRBlocks: 0
; VGPRBlocks: 0
; NumSGPRsForWavesPerEU: 1
; NumVGPRsForWavesPerEU: 1
; NamedBarCnt: 0
; Occupancy: 16
; WaveLimiterHint : 0
; COMPUTE_PGM_RSRC2:SCRATCH_EN: 0
; COMPUTE_PGM_RSRC2:USER_SGPR: 2
; COMPUTE_PGM_RSRC2:TRAP_HANDLER: 0
; COMPUTE_PGM_RSRC2:TGID_X_EN: 1
; COMPUTE_PGM_RSRC2:TGID_Y_EN: 0
; COMPUTE_PGM_RSRC2:TGID_Z_EN: 0
; COMPUTE_PGM_RSRC2:TIDIG_COMP_CNT: 0
	.section	.text._ZN7rocprim17ROCPRIM_400000_NS6detail17trampoline_kernelINS0_14default_configENS1_27scan_by_key_config_selectorIiiEEZZNS1_16scan_by_key_implILNS1_25lookback_scan_determinismE0ELb0ES3_N6thrust23THRUST_200600_302600_NS18transform_iteratorI9which_rowNS9_17counting_iteratorIiNS9_11use_defaultESD_SD_EESD_SD_EENS9_6detail15normal_iteratorINS9_10device_ptrIiEEEESK_iNS9_4plusIvEENS9_8equal_toIvEEiEE10hipError_tPvRmT2_T3_T4_T5_mT6_T7_P12ihipStream_tbENKUlT_T0_E_clISt17integral_constantIbLb0EES14_IbLb1EEEEDaS10_S11_EUlS10_E_NS1_11comp_targetILNS1_3genE4ELNS1_11target_archE910ELNS1_3gpuE8ELNS1_3repE0EEENS1_30default_config_static_selectorELNS0_4arch9wavefront6targetE0EEEvT1_,"axG",@progbits,_ZN7rocprim17ROCPRIM_400000_NS6detail17trampoline_kernelINS0_14default_configENS1_27scan_by_key_config_selectorIiiEEZZNS1_16scan_by_key_implILNS1_25lookback_scan_determinismE0ELb0ES3_N6thrust23THRUST_200600_302600_NS18transform_iteratorI9which_rowNS9_17counting_iteratorIiNS9_11use_defaultESD_SD_EESD_SD_EENS9_6detail15normal_iteratorINS9_10device_ptrIiEEEESK_iNS9_4plusIvEENS9_8equal_toIvEEiEE10hipError_tPvRmT2_T3_T4_T5_mT6_T7_P12ihipStream_tbENKUlT_T0_E_clISt17integral_constantIbLb0EES14_IbLb1EEEEDaS10_S11_EUlS10_E_NS1_11comp_targetILNS1_3genE4ELNS1_11target_archE910ELNS1_3gpuE8ELNS1_3repE0EEENS1_30default_config_static_selectorELNS0_4arch9wavefront6targetE0EEEvT1_,comdat
	.protected	_ZN7rocprim17ROCPRIM_400000_NS6detail17trampoline_kernelINS0_14default_configENS1_27scan_by_key_config_selectorIiiEEZZNS1_16scan_by_key_implILNS1_25lookback_scan_determinismE0ELb0ES3_N6thrust23THRUST_200600_302600_NS18transform_iteratorI9which_rowNS9_17counting_iteratorIiNS9_11use_defaultESD_SD_EESD_SD_EENS9_6detail15normal_iteratorINS9_10device_ptrIiEEEESK_iNS9_4plusIvEENS9_8equal_toIvEEiEE10hipError_tPvRmT2_T3_T4_T5_mT6_T7_P12ihipStream_tbENKUlT_T0_E_clISt17integral_constantIbLb0EES14_IbLb1EEEEDaS10_S11_EUlS10_E_NS1_11comp_targetILNS1_3genE4ELNS1_11target_archE910ELNS1_3gpuE8ELNS1_3repE0EEENS1_30default_config_static_selectorELNS0_4arch9wavefront6targetE0EEEvT1_ ; -- Begin function _ZN7rocprim17ROCPRIM_400000_NS6detail17trampoline_kernelINS0_14default_configENS1_27scan_by_key_config_selectorIiiEEZZNS1_16scan_by_key_implILNS1_25lookback_scan_determinismE0ELb0ES3_N6thrust23THRUST_200600_302600_NS18transform_iteratorI9which_rowNS9_17counting_iteratorIiNS9_11use_defaultESD_SD_EESD_SD_EENS9_6detail15normal_iteratorINS9_10device_ptrIiEEEESK_iNS9_4plusIvEENS9_8equal_toIvEEiEE10hipError_tPvRmT2_T3_T4_T5_mT6_T7_P12ihipStream_tbENKUlT_T0_E_clISt17integral_constantIbLb0EES14_IbLb1EEEEDaS10_S11_EUlS10_E_NS1_11comp_targetILNS1_3genE4ELNS1_11target_archE910ELNS1_3gpuE8ELNS1_3repE0EEENS1_30default_config_static_selectorELNS0_4arch9wavefront6targetE0EEEvT1_
	.globl	_ZN7rocprim17ROCPRIM_400000_NS6detail17trampoline_kernelINS0_14default_configENS1_27scan_by_key_config_selectorIiiEEZZNS1_16scan_by_key_implILNS1_25lookback_scan_determinismE0ELb0ES3_N6thrust23THRUST_200600_302600_NS18transform_iteratorI9which_rowNS9_17counting_iteratorIiNS9_11use_defaultESD_SD_EESD_SD_EENS9_6detail15normal_iteratorINS9_10device_ptrIiEEEESK_iNS9_4plusIvEENS9_8equal_toIvEEiEE10hipError_tPvRmT2_T3_T4_T5_mT6_T7_P12ihipStream_tbENKUlT_T0_E_clISt17integral_constantIbLb0EES14_IbLb1EEEEDaS10_S11_EUlS10_E_NS1_11comp_targetILNS1_3genE4ELNS1_11target_archE910ELNS1_3gpuE8ELNS1_3repE0EEENS1_30default_config_static_selectorELNS0_4arch9wavefront6targetE0EEEvT1_
	.p2align	8
	.type	_ZN7rocprim17ROCPRIM_400000_NS6detail17trampoline_kernelINS0_14default_configENS1_27scan_by_key_config_selectorIiiEEZZNS1_16scan_by_key_implILNS1_25lookback_scan_determinismE0ELb0ES3_N6thrust23THRUST_200600_302600_NS18transform_iteratorI9which_rowNS9_17counting_iteratorIiNS9_11use_defaultESD_SD_EESD_SD_EENS9_6detail15normal_iteratorINS9_10device_ptrIiEEEESK_iNS9_4plusIvEENS9_8equal_toIvEEiEE10hipError_tPvRmT2_T3_T4_T5_mT6_T7_P12ihipStream_tbENKUlT_T0_E_clISt17integral_constantIbLb0EES14_IbLb1EEEEDaS10_S11_EUlS10_E_NS1_11comp_targetILNS1_3genE4ELNS1_11target_archE910ELNS1_3gpuE8ELNS1_3repE0EEENS1_30default_config_static_selectorELNS0_4arch9wavefront6targetE0EEEvT1_,@function
_ZN7rocprim17ROCPRIM_400000_NS6detail17trampoline_kernelINS0_14default_configENS1_27scan_by_key_config_selectorIiiEEZZNS1_16scan_by_key_implILNS1_25lookback_scan_determinismE0ELb0ES3_N6thrust23THRUST_200600_302600_NS18transform_iteratorI9which_rowNS9_17counting_iteratorIiNS9_11use_defaultESD_SD_EESD_SD_EENS9_6detail15normal_iteratorINS9_10device_ptrIiEEEESK_iNS9_4plusIvEENS9_8equal_toIvEEiEE10hipError_tPvRmT2_T3_T4_T5_mT6_T7_P12ihipStream_tbENKUlT_T0_E_clISt17integral_constantIbLb0EES14_IbLb1EEEEDaS10_S11_EUlS10_E_NS1_11comp_targetILNS1_3genE4ELNS1_11target_archE910ELNS1_3gpuE8ELNS1_3repE0EEENS1_30default_config_static_selectorELNS0_4arch9wavefront6targetE0EEEvT1_: ; @_ZN7rocprim17ROCPRIM_400000_NS6detail17trampoline_kernelINS0_14default_configENS1_27scan_by_key_config_selectorIiiEEZZNS1_16scan_by_key_implILNS1_25lookback_scan_determinismE0ELb0ES3_N6thrust23THRUST_200600_302600_NS18transform_iteratorI9which_rowNS9_17counting_iteratorIiNS9_11use_defaultESD_SD_EESD_SD_EENS9_6detail15normal_iteratorINS9_10device_ptrIiEEEESK_iNS9_4plusIvEENS9_8equal_toIvEEiEE10hipError_tPvRmT2_T3_T4_T5_mT6_T7_P12ihipStream_tbENKUlT_T0_E_clISt17integral_constantIbLb0EES14_IbLb1EEEEDaS10_S11_EUlS10_E_NS1_11comp_targetILNS1_3genE4ELNS1_11target_archE910ELNS1_3gpuE8ELNS1_3repE0EEENS1_30default_config_static_selectorELNS0_4arch9wavefront6targetE0EEEvT1_
; %bb.0:
	.section	.rodata,"a",@progbits
	.p2align	6, 0x0
	.amdhsa_kernel _ZN7rocprim17ROCPRIM_400000_NS6detail17trampoline_kernelINS0_14default_configENS1_27scan_by_key_config_selectorIiiEEZZNS1_16scan_by_key_implILNS1_25lookback_scan_determinismE0ELb0ES3_N6thrust23THRUST_200600_302600_NS18transform_iteratorI9which_rowNS9_17counting_iteratorIiNS9_11use_defaultESD_SD_EESD_SD_EENS9_6detail15normal_iteratorINS9_10device_ptrIiEEEESK_iNS9_4plusIvEENS9_8equal_toIvEEiEE10hipError_tPvRmT2_T3_T4_T5_mT6_T7_P12ihipStream_tbENKUlT_T0_E_clISt17integral_constantIbLb0EES14_IbLb1EEEEDaS10_S11_EUlS10_E_NS1_11comp_targetILNS1_3genE4ELNS1_11target_archE910ELNS1_3gpuE8ELNS1_3repE0EEENS1_30default_config_static_selectorELNS0_4arch9wavefront6targetE0EEEvT1_
		.amdhsa_group_segment_fixed_size 0
		.amdhsa_private_segment_fixed_size 0
		.amdhsa_kernarg_size 112
		.amdhsa_user_sgpr_count 2
		.amdhsa_user_sgpr_dispatch_ptr 0
		.amdhsa_user_sgpr_queue_ptr 0
		.amdhsa_user_sgpr_kernarg_segment_ptr 1
		.amdhsa_user_sgpr_dispatch_id 0
		.amdhsa_user_sgpr_kernarg_preload_length 0
		.amdhsa_user_sgpr_kernarg_preload_offset 0
		.amdhsa_user_sgpr_private_segment_size 0
		.amdhsa_wavefront_size32 1
		.amdhsa_uses_dynamic_stack 0
		.amdhsa_enable_private_segment 0
		.amdhsa_system_sgpr_workgroup_id_x 1
		.amdhsa_system_sgpr_workgroup_id_y 0
		.amdhsa_system_sgpr_workgroup_id_z 0
		.amdhsa_system_sgpr_workgroup_info 0
		.amdhsa_system_vgpr_workitem_id 0
		.amdhsa_next_free_vgpr 1
		.amdhsa_next_free_sgpr 1
		.amdhsa_named_barrier_count 0
		.amdhsa_reserve_vcc 0
		.amdhsa_float_round_mode_32 0
		.amdhsa_float_round_mode_16_64 0
		.amdhsa_float_denorm_mode_32 3
		.amdhsa_float_denorm_mode_16_64 3
		.amdhsa_fp16_overflow 0
		.amdhsa_memory_ordered 1
		.amdhsa_forward_progress 1
		.amdhsa_inst_pref_size 0
		.amdhsa_round_robin_scheduling 0
		.amdhsa_exception_fp_ieee_invalid_op 0
		.amdhsa_exception_fp_denorm_src 0
		.amdhsa_exception_fp_ieee_div_zero 0
		.amdhsa_exception_fp_ieee_overflow 0
		.amdhsa_exception_fp_ieee_underflow 0
		.amdhsa_exception_fp_ieee_inexact 0
		.amdhsa_exception_int_div_zero 0
	.end_amdhsa_kernel
	.section	.text._ZN7rocprim17ROCPRIM_400000_NS6detail17trampoline_kernelINS0_14default_configENS1_27scan_by_key_config_selectorIiiEEZZNS1_16scan_by_key_implILNS1_25lookback_scan_determinismE0ELb0ES3_N6thrust23THRUST_200600_302600_NS18transform_iteratorI9which_rowNS9_17counting_iteratorIiNS9_11use_defaultESD_SD_EESD_SD_EENS9_6detail15normal_iteratorINS9_10device_ptrIiEEEESK_iNS9_4plusIvEENS9_8equal_toIvEEiEE10hipError_tPvRmT2_T3_T4_T5_mT6_T7_P12ihipStream_tbENKUlT_T0_E_clISt17integral_constantIbLb0EES14_IbLb1EEEEDaS10_S11_EUlS10_E_NS1_11comp_targetILNS1_3genE4ELNS1_11target_archE910ELNS1_3gpuE8ELNS1_3repE0EEENS1_30default_config_static_selectorELNS0_4arch9wavefront6targetE0EEEvT1_,"axG",@progbits,_ZN7rocprim17ROCPRIM_400000_NS6detail17trampoline_kernelINS0_14default_configENS1_27scan_by_key_config_selectorIiiEEZZNS1_16scan_by_key_implILNS1_25lookback_scan_determinismE0ELb0ES3_N6thrust23THRUST_200600_302600_NS18transform_iteratorI9which_rowNS9_17counting_iteratorIiNS9_11use_defaultESD_SD_EESD_SD_EENS9_6detail15normal_iteratorINS9_10device_ptrIiEEEESK_iNS9_4plusIvEENS9_8equal_toIvEEiEE10hipError_tPvRmT2_T3_T4_T5_mT6_T7_P12ihipStream_tbENKUlT_T0_E_clISt17integral_constantIbLb0EES14_IbLb1EEEEDaS10_S11_EUlS10_E_NS1_11comp_targetILNS1_3genE4ELNS1_11target_archE910ELNS1_3gpuE8ELNS1_3repE0EEENS1_30default_config_static_selectorELNS0_4arch9wavefront6targetE0EEEvT1_,comdat
.Lfunc_end122:
	.size	_ZN7rocprim17ROCPRIM_400000_NS6detail17trampoline_kernelINS0_14default_configENS1_27scan_by_key_config_selectorIiiEEZZNS1_16scan_by_key_implILNS1_25lookback_scan_determinismE0ELb0ES3_N6thrust23THRUST_200600_302600_NS18transform_iteratorI9which_rowNS9_17counting_iteratorIiNS9_11use_defaultESD_SD_EESD_SD_EENS9_6detail15normal_iteratorINS9_10device_ptrIiEEEESK_iNS9_4plusIvEENS9_8equal_toIvEEiEE10hipError_tPvRmT2_T3_T4_T5_mT6_T7_P12ihipStream_tbENKUlT_T0_E_clISt17integral_constantIbLb0EES14_IbLb1EEEEDaS10_S11_EUlS10_E_NS1_11comp_targetILNS1_3genE4ELNS1_11target_archE910ELNS1_3gpuE8ELNS1_3repE0EEENS1_30default_config_static_selectorELNS0_4arch9wavefront6targetE0EEEvT1_, .Lfunc_end122-_ZN7rocprim17ROCPRIM_400000_NS6detail17trampoline_kernelINS0_14default_configENS1_27scan_by_key_config_selectorIiiEEZZNS1_16scan_by_key_implILNS1_25lookback_scan_determinismE0ELb0ES3_N6thrust23THRUST_200600_302600_NS18transform_iteratorI9which_rowNS9_17counting_iteratorIiNS9_11use_defaultESD_SD_EESD_SD_EENS9_6detail15normal_iteratorINS9_10device_ptrIiEEEESK_iNS9_4plusIvEENS9_8equal_toIvEEiEE10hipError_tPvRmT2_T3_T4_T5_mT6_T7_P12ihipStream_tbENKUlT_T0_E_clISt17integral_constantIbLb0EES14_IbLb1EEEEDaS10_S11_EUlS10_E_NS1_11comp_targetILNS1_3genE4ELNS1_11target_archE910ELNS1_3gpuE8ELNS1_3repE0EEENS1_30default_config_static_selectorELNS0_4arch9wavefront6targetE0EEEvT1_
                                        ; -- End function
	.set _ZN7rocprim17ROCPRIM_400000_NS6detail17trampoline_kernelINS0_14default_configENS1_27scan_by_key_config_selectorIiiEEZZNS1_16scan_by_key_implILNS1_25lookback_scan_determinismE0ELb0ES3_N6thrust23THRUST_200600_302600_NS18transform_iteratorI9which_rowNS9_17counting_iteratorIiNS9_11use_defaultESD_SD_EESD_SD_EENS9_6detail15normal_iteratorINS9_10device_ptrIiEEEESK_iNS9_4plusIvEENS9_8equal_toIvEEiEE10hipError_tPvRmT2_T3_T4_T5_mT6_T7_P12ihipStream_tbENKUlT_T0_E_clISt17integral_constantIbLb0EES14_IbLb1EEEEDaS10_S11_EUlS10_E_NS1_11comp_targetILNS1_3genE4ELNS1_11target_archE910ELNS1_3gpuE8ELNS1_3repE0EEENS1_30default_config_static_selectorELNS0_4arch9wavefront6targetE0EEEvT1_.num_vgpr, 0
	.set _ZN7rocprim17ROCPRIM_400000_NS6detail17trampoline_kernelINS0_14default_configENS1_27scan_by_key_config_selectorIiiEEZZNS1_16scan_by_key_implILNS1_25lookback_scan_determinismE0ELb0ES3_N6thrust23THRUST_200600_302600_NS18transform_iteratorI9which_rowNS9_17counting_iteratorIiNS9_11use_defaultESD_SD_EESD_SD_EENS9_6detail15normal_iteratorINS9_10device_ptrIiEEEESK_iNS9_4plusIvEENS9_8equal_toIvEEiEE10hipError_tPvRmT2_T3_T4_T5_mT6_T7_P12ihipStream_tbENKUlT_T0_E_clISt17integral_constantIbLb0EES14_IbLb1EEEEDaS10_S11_EUlS10_E_NS1_11comp_targetILNS1_3genE4ELNS1_11target_archE910ELNS1_3gpuE8ELNS1_3repE0EEENS1_30default_config_static_selectorELNS0_4arch9wavefront6targetE0EEEvT1_.num_agpr, 0
	.set _ZN7rocprim17ROCPRIM_400000_NS6detail17trampoline_kernelINS0_14default_configENS1_27scan_by_key_config_selectorIiiEEZZNS1_16scan_by_key_implILNS1_25lookback_scan_determinismE0ELb0ES3_N6thrust23THRUST_200600_302600_NS18transform_iteratorI9which_rowNS9_17counting_iteratorIiNS9_11use_defaultESD_SD_EESD_SD_EENS9_6detail15normal_iteratorINS9_10device_ptrIiEEEESK_iNS9_4plusIvEENS9_8equal_toIvEEiEE10hipError_tPvRmT2_T3_T4_T5_mT6_T7_P12ihipStream_tbENKUlT_T0_E_clISt17integral_constantIbLb0EES14_IbLb1EEEEDaS10_S11_EUlS10_E_NS1_11comp_targetILNS1_3genE4ELNS1_11target_archE910ELNS1_3gpuE8ELNS1_3repE0EEENS1_30default_config_static_selectorELNS0_4arch9wavefront6targetE0EEEvT1_.numbered_sgpr, 0
	.set _ZN7rocprim17ROCPRIM_400000_NS6detail17trampoline_kernelINS0_14default_configENS1_27scan_by_key_config_selectorIiiEEZZNS1_16scan_by_key_implILNS1_25lookback_scan_determinismE0ELb0ES3_N6thrust23THRUST_200600_302600_NS18transform_iteratorI9which_rowNS9_17counting_iteratorIiNS9_11use_defaultESD_SD_EESD_SD_EENS9_6detail15normal_iteratorINS9_10device_ptrIiEEEESK_iNS9_4plusIvEENS9_8equal_toIvEEiEE10hipError_tPvRmT2_T3_T4_T5_mT6_T7_P12ihipStream_tbENKUlT_T0_E_clISt17integral_constantIbLb0EES14_IbLb1EEEEDaS10_S11_EUlS10_E_NS1_11comp_targetILNS1_3genE4ELNS1_11target_archE910ELNS1_3gpuE8ELNS1_3repE0EEENS1_30default_config_static_selectorELNS0_4arch9wavefront6targetE0EEEvT1_.num_named_barrier, 0
	.set _ZN7rocprim17ROCPRIM_400000_NS6detail17trampoline_kernelINS0_14default_configENS1_27scan_by_key_config_selectorIiiEEZZNS1_16scan_by_key_implILNS1_25lookback_scan_determinismE0ELb0ES3_N6thrust23THRUST_200600_302600_NS18transform_iteratorI9which_rowNS9_17counting_iteratorIiNS9_11use_defaultESD_SD_EESD_SD_EENS9_6detail15normal_iteratorINS9_10device_ptrIiEEEESK_iNS9_4plusIvEENS9_8equal_toIvEEiEE10hipError_tPvRmT2_T3_T4_T5_mT6_T7_P12ihipStream_tbENKUlT_T0_E_clISt17integral_constantIbLb0EES14_IbLb1EEEEDaS10_S11_EUlS10_E_NS1_11comp_targetILNS1_3genE4ELNS1_11target_archE910ELNS1_3gpuE8ELNS1_3repE0EEENS1_30default_config_static_selectorELNS0_4arch9wavefront6targetE0EEEvT1_.private_seg_size, 0
	.set _ZN7rocprim17ROCPRIM_400000_NS6detail17trampoline_kernelINS0_14default_configENS1_27scan_by_key_config_selectorIiiEEZZNS1_16scan_by_key_implILNS1_25lookback_scan_determinismE0ELb0ES3_N6thrust23THRUST_200600_302600_NS18transform_iteratorI9which_rowNS9_17counting_iteratorIiNS9_11use_defaultESD_SD_EESD_SD_EENS9_6detail15normal_iteratorINS9_10device_ptrIiEEEESK_iNS9_4plusIvEENS9_8equal_toIvEEiEE10hipError_tPvRmT2_T3_T4_T5_mT6_T7_P12ihipStream_tbENKUlT_T0_E_clISt17integral_constantIbLb0EES14_IbLb1EEEEDaS10_S11_EUlS10_E_NS1_11comp_targetILNS1_3genE4ELNS1_11target_archE910ELNS1_3gpuE8ELNS1_3repE0EEENS1_30default_config_static_selectorELNS0_4arch9wavefront6targetE0EEEvT1_.uses_vcc, 0
	.set _ZN7rocprim17ROCPRIM_400000_NS6detail17trampoline_kernelINS0_14default_configENS1_27scan_by_key_config_selectorIiiEEZZNS1_16scan_by_key_implILNS1_25lookback_scan_determinismE0ELb0ES3_N6thrust23THRUST_200600_302600_NS18transform_iteratorI9which_rowNS9_17counting_iteratorIiNS9_11use_defaultESD_SD_EESD_SD_EENS9_6detail15normal_iteratorINS9_10device_ptrIiEEEESK_iNS9_4plusIvEENS9_8equal_toIvEEiEE10hipError_tPvRmT2_T3_T4_T5_mT6_T7_P12ihipStream_tbENKUlT_T0_E_clISt17integral_constantIbLb0EES14_IbLb1EEEEDaS10_S11_EUlS10_E_NS1_11comp_targetILNS1_3genE4ELNS1_11target_archE910ELNS1_3gpuE8ELNS1_3repE0EEENS1_30default_config_static_selectorELNS0_4arch9wavefront6targetE0EEEvT1_.uses_flat_scratch, 0
	.set _ZN7rocprim17ROCPRIM_400000_NS6detail17trampoline_kernelINS0_14default_configENS1_27scan_by_key_config_selectorIiiEEZZNS1_16scan_by_key_implILNS1_25lookback_scan_determinismE0ELb0ES3_N6thrust23THRUST_200600_302600_NS18transform_iteratorI9which_rowNS9_17counting_iteratorIiNS9_11use_defaultESD_SD_EESD_SD_EENS9_6detail15normal_iteratorINS9_10device_ptrIiEEEESK_iNS9_4plusIvEENS9_8equal_toIvEEiEE10hipError_tPvRmT2_T3_T4_T5_mT6_T7_P12ihipStream_tbENKUlT_T0_E_clISt17integral_constantIbLb0EES14_IbLb1EEEEDaS10_S11_EUlS10_E_NS1_11comp_targetILNS1_3genE4ELNS1_11target_archE910ELNS1_3gpuE8ELNS1_3repE0EEENS1_30default_config_static_selectorELNS0_4arch9wavefront6targetE0EEEvT1_.has_dyn_sized_stack, 0
	.set _ZN7rocprim17ROCPRIM_400000_NS6detail17trampoline_kernelINS0_14default_configENS1_27scan_by_key_config_selectorIiiEEZZNS1_16scan_by_key_implILNS1_25lookback_scan_determinismE0ELb0ES3_N6thrust23THRUST_200600_302600_NS18transform_iteratorI9which_rowNS9_17counting_iteratorIiNS9_11use_defaultESD_SD_EESD_SD_EENS9_6detail15normal_iteratorINS9_10device_ptrIiEEEESK_iNS9_4plusIvEENS9_8equal_toIvEEiEE10hipError_tPvRmT2_T3_T4_T5_mT6_T7_P12ihipStream_tbENKUlT_T0_E_clISt17integral_constantIbLb0EES14_IbLb1EEEEDaS10_S11_EUlS10_E_NS1_11comp_targetILNS1_3genE4ELNS1_11target_archE910ELNS1_3gpuE8ELNS1_3repE0EEENS1_30default_config_static_selectorELNS0_4arch9wavefront6targetE0EEEvT1_.has_recursion, 0
	.set _ZN7rocprim17ROCPRIM_400000_NS6detail17trampoline_kernelINS0_14default_configENS1_27scan_by_key_config_selectorIiiEEZZNS1_16scan_by_key_implILNS1_25lookback_scan_determinismE0ELb0ES3_N6thrust23THRUST_200600_302600_NS18transform_iteratorI9which_rowNS9_17counting_iteratorIiNS9_11use_defaultESD_SD_EESD_SD_EENS9_6detail15normal_iteratorINS9_10device_ptrIiEEEESK_iNS9_4plusIvEENS9_8equal_toIvEEiEE10hipError_tPvRmT2_T3_T4_T5_mT6_T7_P12ihipStream_tbENKUlT_T0_E_clISt17integral_constantIbLb0EES14_IbLb1EEEEDaS10_S11_EUlS10_E_NS1_11comp_targetILNS1_3genE4ELNS1_11target_archE910ELNS1_3gpuE8ELNS1_3repE0EEENS1_30default_config_static_selectorELNS0_4arch9wavefront6targetE0EEEvT1_.has_indirect_call, 0
	.section	.AMDGPU.csdata,"",@progbits
; Kernel info:
; codeLenInByte = 0
; TotalNumSgprs: 0
; NumVgprs: 0
; ScratchSize: 0
; MemoryBound: 0
; FloatMode: 240
; IeeeMode: 1
; LDSByteSize: 0 bytes/workgroup (compile time only)
; SGPRBlocks: 0
; VGPRBlocks: 0
; NumSGPRsForWavesPerEU: 1
; NumVGPRsForWavesPerEU: 1
; NamedBarCnt: 0
; Occupancy: 16
; WaveLimiterHint : 0
; COMPUTE_PGM_RSRC2:SCRATCH_EN: 0
; COMPUTE_PGM_RSRC2:USER_SGPR: 2
; COMPUTE_PGM_RSRC2:TRAP_HANDLER: 0
; COMPUTE_PGM_RSRC2:TGID_X_EN: 1
; COMPUTE_PGM_RSRC2:TGID_Y_EN: 0
; COMPUTE_PGM_RSRC2:TGID_Z_EN: 0
; COMPUTE_PGM_RSRC2:TIDIG_COMP_CNT: 0
	.section	.text._ZN7rocprim17ROCPRIM_400000_NS6detail17trampoline_kernelINS0_14default_configENS1_27scan_by_key_config_selectorIiiEEZZNS1_16scan_by_key_implILNS1_25lookback_scan_determinismE0ELb0ES3_N6thrust23THRUST_200600_302600_NS18transform_iteratorI9which_rowNS9_17counting_iteratorIiNS9_11use_defaultESD_SD_EESD_SD_EENS9_6detail15normal_iteratorINS9_10device_ptrIiEEEESK_iNS9_4plusIvEENS9_8equal_toIvEEiEE10hipError_tPvRmT2_T3_T4_T5_mT6_T7_P12ihipStream_tbENKUlT_T0_E_clISt17integral_constantIbLb0EES14_IbLb1EEEEDaS10_S11_EUlS10_E_NS1_11comp_targetILNS1_3genE3ELNS1_11target_archE908ELNS1_3gpuE7ELNS1_3repE0EEENS1_30default_config_static_selectorELNS0_4arch9wavefront6targetE0EEEvT1_,"axG",@progbits,_ZN7rocprim17ROCPRIM_400000_NS6detail17trampoline_kernelINS0_14default_configENS1_27scan_by_key_config_selectorIiiEEZZNS1_16scan_by_key_implILNS1_25lookback_scan_determinismE0ELb0ES3_N6thrust23THRUST_200600_302600_NS18transform_iteratorI9which_rowNS9_17counting_iteratorIiNS9_11use_defaultESD_SD_EESD_SD_EENS9_6detail15normal_iteratorINS9_10device_ptrIiEEEESK_iNS9_4plusIvEENS9_8equal_toIvEEiEE10hipError_tPvRmT2_T3_T4_T5_mT6_T7_P12ihipStream_tbENKUlT_T0_E_clISt17integral_constantIbLb0EES14_IbLb1EEEEDaS10_S11_EUlS10_E_NS1_11comp_targetILNS1_3genE3ELNS1_11target_archE908ELNS1_3gpuE7ELNS1_3repE0EEENS1_30default_config_static_selectorELNS0_4arch9wavefront6targetE0EEEvT1_,comdat
	.protected	_ZN7rocprim17ROCPRIM_400000_NS6detail17trampoline_kernelINS0_14default_configENS1_27scan_by_key_config_selectorIiiEEZZNS1_16scan_by_key_implILNS1_25lookback_scan_determinismE0ELb0ES3_N6thrust23THRUST_200600_302600_NS18transform_iteratorI9which_rowNS9_17counting_iteratorIiNS9_11use_defaultESD_SD_EESD_SD_EENS9_6detail15normal_iteratorINS9_10device_ptrIiEEEESK_iNS9_4plusIvEENS9_8equal_toIvEEiEE10hipError_tPvRmT2_T3_T4_T5_mT6_T7_P12ihipStream_tbENKUlT_T0_E_clISt17integral_constantIbLb0EES14_IbLb1EEEEDaS10_S11_EUlS10_E_NS1_11comp_targetILNS1_3genE3ELNS1_11target_archE908ELNS1_3gpuE7ELNS1_3repE0EEENS1_30default_config_static_selectorELNS0_4arch9wavefront6targetE0EEEvT1_ ; -- Begin function _ZN7rocprim17ROCPRIM_400000_NS6detail17trampoline_kernelINS0_14default_configENS1_27scan_by_key_config_selectorIiiEEZZNS1_16scan_by_key_implILNS1_25lookback_scan_determinismE0ELb0ES3_N6thrust23THRUST_200600_302600_NS18transform_iteratorI9which_rowNS9_17counting_iteratorIiNS9_11use_defaultESD_SD_EESD_SD_EENS9_6detail15normal_iteratorINS9_10device_ptrIiEEEESK_iNS9_4plusIvEENS9_8equal_toIvEEiEE10hipError_tPvRmT2_T3_T4_T5_mT6_T7_P12ihipStream_tbENKUlT_T0_E_clISt17integral_constantIbLb0EES14_IbLb1EEEEDaS10_S11_EUlS10_E_NS1_11comp_targetILNS1_3genE3ELNS1_11target_archE908ELNS1_3gpuE7ELNS1_3repE0EEENS1_30default_config_static_selectorELNS0_4arch9wavefront6targetE0EEEvT1_
	.globl	_ZN7rocprim17ROCPRIM_400000_NS6detail17trampoline_kernelINS0_14default_configENS1_27scan_by_key_config_selectorIiiEEZZNS1_16scan_by_key_implILNS1_25lookback_scan_determinismE0ELb0ES3_N6thrust23THRUST_200600_302600_NS18transform_iteratorI9which_rowNS9_17counting_iteratorIiNS9_11use_defaultESD_SD_EESD_SD_EENS9_6detail15normal_iteratorINS9_10device_ptrIiEEEESK_iNS9_4plusIvEENS9_8equal_toIvEEiEE10hipError_tPvRmT2_T3_T4_T5_mT6_T7_P12ihipStream_tbENKUlT_T0_E_clISt17integral_constantIbLb0EES14_IbLb1EEEEDaS10_S11_EUlS10_E_NS1_11comp_targetILNS1_3genE3ELNS1_11target_archE908ELNS1_3gpuE7ELNS1_3repE0EEENS1_30default_config_static_selectorELNS0_4arch9wavefront6targetE0EEEvT1_
	.p2align	8
	.type	_ZN7rocprim17ROCPRIM_400000_NS6detail17trampoline_kernelINS0_14default_configENS1_27scan_by_key_config_selectorIiiEEZZNS1_16scan_by_key_implILNS1_25lookback_scan_determinismE0ELb0ES3_N6thrust23THRUST_200600_302600_NS18transform_iteratorI9which_rowNS9_17counting_iteratorIiNS9_11use_defaultESD_SD_EESD_SD_EENS9_6detail15normal_iteratorINS9_10device_ptrIiEEEESK_iNS9_4plusIvEENS9_8equal_toIvEEiEE10hipError_tPvRmT2_T3_T4_T5_mT6_T7_P12ihipStream_tbENKUlT_T0_E_clISt17integral_constantIbLb0EES14_IbLb1EEEEDaS10_S11_EUlS10_E_NS1_11comp_targetILNS1_3genE3ELNS1_11target_archE908ELNS1_3gpuE7ELNS1_3repE0EEENS1_30default_config_static_selectorELNS0_4arch9wavefront6targetE0EEEvT1_,@function
_ZN7rocprim17ROCPRIM_400000_NS6detail17trampoline_kernelINS0_14default_configENS1_27scan_by_key_config_selectorIiiEEZZNS1_16scan_by_key_implILNS1_25lookback_scan_determinismE0ELb0ES3_N6thrust23THRUST_200600_302600_NS18transform_iteratorI9which_rowNS9_17counting_iteratorIiNS9_11use_defaultESD_SD_EESD_SD_EENS9_6detail15normal_iteratorINS9_10device_ptrIiEEEESK_iNS9_4plusIvEENS9_8equal_toIvEEiEE10hipError_tPvRmT2_T3_T4_T5_mT6_T7_P12ihipStream_tbENKUlT_T0_E_clISt17integral_constantIbLb0EES14_IbLb1EEEEDaS10_S11_EUlS10_E_NS1_11comp_targetILNS1_3genE3ELNS1_11target_archE908ELNS1_3gpuE7ELNS1_3repE0EEENS1_30default_config_static_selectorELNS0_4arch9wavefront6targetE0EEEvT1_: ; @_ZN7rocprim17ROCPRIM_400000_NS6detail17trampoline_kernelINS0_14default_configENS1_27scan_by_key_config_selectorIiiEEZZNS1_16scan_by_key_implILNS1_25lookback_scan_determinismE0ELb0ES3_N6thrust23THRUST_200600_302600_NS18transform_iteratorI9which_rowNS9_17counting_iteratorIiNS9_11use_defaultESD_SD_EESD_SD_EENS9_6detail15normal_iteratorINS9_10device_ptrIiEEEESK_iNS9_4plusIvEENS9_8equal_toIvEEiEE10hipError_tPvRmT2_T3_T4_T5_mT6_T7_P12ihipStream_tbENKUlT_T0_E_clISt17integral_constantIbLb0EES14_IbLb1EEEEDaS10_S11_EUlS10_E_NS1_11comp_targetILNS1_3genE3ELNS1_11target_archE908ELNS1_3gpuE7ELNS1_3repE0EEENS1_30default_config_static_selectorELNS0_4arch9wavefront6targetE0EEEvT1_
; %bb.0:
	.section	.rodata,"a",@progbits
	.p2align	6, 0x0
	.amdhsa_kernel _ZN7rocprim17ROCPRIM_400000_NS6detail17trampoline_kernelINS0_14default_configENS1_27scan_by_key_config_selectorIiiEEZZNS1_16scan_by_key_implILNS1_25lookback_scan_determinismE0ELb0ES3_N6thrust23THRUST_200600_302600_NS18transform_iteratorI9which_rowNS9_17counting_iteratorIiNS9_11use_defaultESD_SD_EESD_SD_EENS9_6detail15normal_iteratorINS9_10device_ptrIiEEEESK_iNS9_4plusIvEENS9_8equal_toIvEEiEE10hipError_tPvRmT2_T3_T4_T5_mT6_T7_P12ihipStream_tbENKUlT_T0_E_clISt17integral_constantIbLb0EES14_IbLb1EEEEDaS10_S11_EUlS10_E_NS1_11comp_targetILNS1_3genE3ELNS1_11target_archE908ELNS1_3gpuE7ELNS1_3repE0EEENS1_30default_config_static_selectorELNS0_4arch9wavefront6targetE0EEEvT1_
		.amdhsa_group_segment_fixed_size 0
		.amdhsa_private_segment_fixed_size 0
		.amdhsa_kernarg_size 112
		.amdhsa_user_sgpr_count 2
		.amdhsa_user_sgpr_dispatch_ptr 0
		.amdhsa_user_sgpr_queue_ptr 0
		.amdhsa_user_sgpr_kernarg_segment_ptr 1
		.amdhsa_user_sgpr_dispatch_id 0
		.amdhsa_user_sgpr_kernarg_preload_length 0
		.amdhsa_user_sgpr_kernarg_preload_offset 0
		.amdhsa_user_sgpr_private_segment_size 0
		.amdhsa_wavefront_size32 1
		.amdhsa_uses_dynamic_stack 0
		.amdhsa_enable_private_segment 0
		.amdhsa_system_sgpr_workgroup_id_x 1
		.amdhsa_system_sgpr_workgroup_id_y 0
		.amdhsa_system_sgpr_workgroup_id_z 0
		.amdhsa_system_sgpr_workgroup_info 0
		.amdhsa_system_vgpr_workitem_id 0
		.amdhsa_next_free_vgpr 1
		.amdhsa_next_free_sgpr 1
		.amdhsa_named_barrier_count 0
		.amdhsa_reserve_vcc 0
		.amdhsa_float_round_mode_32 0
		.amdhsa_float_round_mode_16_64 0
		.amdhsa_float_denorm_mode_32 3
		.amdhsa_float_denorm_mode_16_64 3
		.amdhsa_fp16_overflow 0
		.amdhsa_memory_ordered 1
		.amdhsa_forward_progress 1
		.amdhsa_inst_pref_size 0
		.amdhsa_round_robin_scheduling 0
		.amdhsa_exception_fp_ieee_invalid_op 0
		.amdhsa_exception_fp_denorm_src 0
		.amdhsa_exception_fp_ieee_div_zero 0
		.amdhsa_exception_fp_ieee_overflow 0
		.amdhsa_exception_fp_ieee_underflow 0
		.amdhsa_exception_fp_ieee_inexact 0
		.amdhsa_exception_int_div_zero 0
	.end_amdhsa_kernel
	.section	.text._ZN7rocprim17ROCPRIM_400000_NS6detail17trampoline_kernelINS0_14default_configENS1_27scan_by_key_config_selectorIiiEEZZNS1_16scan_by_key_implILNS1_25lookback_scan_determinismE0ELb0ES3_N6thrust23THRUST_200600_302600_NS18transform_iteratorI9which_rowNS9_17counting_iteratorIiNS9_11use_defaultESD_SD_EESD_SD_EENS9_6detail15normal_iteratorINS9_10device_ptrIiEEEESK_iNS9_4plusIvEENS9_8equal_toIvEEiEE10hipError_tPvRmT2_T3_T4_T5_mT6_T7_P12ihipStream_tbENKUlT_T0_E_clISt17integral_constantIbLb0EES14_IbLb1EEEEDaS10_S11_EUlS10_E_NS1_11comp_targetILNS1_3genE3ELNS1_11target_archE908ELNS1_3gpuE7ELNS1_3repE0EEENS1_30default_config_static_selectorELNS0_4arch9wavefront6targetE0EEEvT1_,"axG",@progbits,_ZN7rocprim17ROCPRIM_400000_NS6detail17trampoline_kernelINS0_14default_configENS1_27scan_by_key_config_selectorIiiEEZZNS1_16scan_by_key_implILNS1_25lookback_scan_determinismE0ELb0ES3_N6thrust23THRUST_200600_302600_NS18transform_iteratorI9which_rowNS9_17counting_iteratorIiNS9_11use_defaultESD_SD_EESD_SD_EENS9_6detail15normal_iteratorINS9_10device_ptrIiEEEESK_iNS9_4plusIvEENS9_8equal_toIvEEiEE10hipError_tPvRmT2_T3_T4_T5_mT6_T7_P12ihipStream_tbENKUlT_T0_E_clISt17integral_constantIbLb0EES14_IbLb1EEEEDaS10_S11_EUlS10_E_NS1_11comp_targetILNS1_3genE3ELNS1_11target_archE908ELNS1_3gpuE7ELNS1_3repE0EEENS1_30default_config_static_selectorELNS0_4arch9wavefront6targetE0EEEvT1_,comdat
.Lfunc_end123:
	.size	_ZN7rocprim17ROCPRIM_400000_NS6detail17trampoline_kernelINS0_14default_configENS1_27scan_by_key_config_selectorIiiEEZZNS1_16scan_by_key_implILNS1_25lookback_scan_determinismE0ELb0ES3_N6thrust23THRUST_200600_302600_NS18transform_iteratorI9which_rowNS9_17counting_iteratorIiNS9_11use_defaultESD_SD_EESD_SD_EENS9_6detail15normal_iteratorINS9_10device_ptrIiEEEESK_iNS9_4plusIvEENS9_8equal_toIvEEiEE10hipError_tPvRmT2_T3_T4_T5_mT6_T7_P12ihipStream_tbENKUlT_T0_E_clISt17integral_constantIbLb0EES14_IbLb1EEEEDaS10_S11_EUlS10_E_NS1_11comp_targetILNS1_3genE3ELNS1_11target_archE908ELNS1_3gpuE7ELNS1_3repE0EEENS1_30default_config_static_selectorELNS0_4arch9wavefront6targetE0EEEvT1_, .Lfunc_end123-_ZN7rocprim17ROCPRIM_400000_NS6detail17trampoline_kernelINS0_14default_configENS1_27scan_by_key_config_selectorIiiEEZZNS1_16scan_by_key_implILNS1_25lookback_scan_determinismE0ELb0ES3_N6thrust23THRUST_200600_302600_NS18transform_iteratorI9which_rowNS9_17counting_iteratorIiNS9_11use_defaultESD_SD_EESD_SD_EENS9_6detail15normal_iteratorINS9_10device_ptrIiEEEESK_iNS9_4plusIvEENS9_8equal_toIvEEiEE10hipError_tPvRmT2_T3_T4_T5_mT6_T7_P12ihipStream_tbENKUlT_T0_E_clISt17integral_constantIbLb0EES14_IbLb1EEEEDaS10_S11_EUlS10_E_NS1_11comp_targetILNS1_3genE3ELNS1_11target_archE908ELNS1_3gpuE7ELNS1_3repE0EEENS1_30default_config_static_selectorELNS0_4arch9wavefront6targetE0EEEvT1_
                                        ; -- End function
	.set _ZN7rocprim17ROCPRIM_400000_NS6detail17trampoline_kernelINS0_14default_configENS1_27scan_by_key_config_selectorIiiEEZZNS1_16scan_by_key_implILNS1_25lookback_scan_determinismE0ELb0ES3_N6thrust23THRUST_200600_302600_NS18transform_iteratorI9which_rowNS9_17counting_iteratorIiNS9_11use_defaultESD_SD_EESD_SD_EENS9_6detail15normal_iteratorINS9_10device_ptrIiEEEESK_iNS9_4plusIvEENS9_8equal_toIvEEiEE10hipError_tPvRmT2_T3_T4_T5_mT6_T7_P12ihipStream_tbENKUlT_T0_E_clISt17integral_constantIbLb0EES14_IbLb1EEEEDaS10_S11_EUlS10_E_NS1_11comp_targetILNS1_3genE3ELNS1_11target_archE908ELNS1_3gpuE7ELNS1_3repE0EEENS1_30default_config_static_selectorELNS0_4arch9wavefront6targetE0EEEvT1_.num_vgpr, 0
	.set _ZN7rocprim17ROCPRIM_400000_NS6detail17trampoline_kernelINS0_14default_configENS1_27scan_by_key_config_selectorIiiEEZZNS1_16scan_by_key_implILNS1_25lookback_scan_determinismE0ELb0ES3_N6thrust23THRUST_200600_302600_NS18transform_iteratorI9which_rowNS9_17counting_iteratorIiNS9_11use_defaultESD_SD_EESD_SD_EENS9_6detail15normal_iteratorINS9_10device_ptrIiEEEESK_iNS9_4plusIvEENS9_8equal_toIvEEiEE10hipError_tPvRmT2_T3_T4_T5_mT6_T7_P12ihipStream_tbENKUlT_T0_E_clISt17integral_constantIbLb0EES14_IbLb1EEEEDaS10_S11_EUlS10_E_NS1_11comp_targetILNS1_3genE3ELNS1_11target_archE908ELNS1_3gpuE7ELNS1_3repE0EEENS1_30default_config_static_selectorELNS0_4arch9wavefront6targetE0EEEvT1_.num_agpr, 0
	.set _ZN7rocprim17ROCPRIM_400000_NS6detail17trampoline_kernelINS0_14default_configENS1_27scan_by_key_config_selectorIiiEEZZNS1_16scan_by_key_implILNS1_25lookback_scan_determinismE0ELb0ES3_N6thrust23THRUST_200600_302600_NS18transform_iteratorI9which_rowNS9_17counting_iteratorIiNS9_11use_defaultESD_SD_EESD_SD_EENS9_6detail15normal_iteratorINS9_10device_ptrIiEEEESK_iNS9_4plusIvEENS9_8equal_toIvEEiEE10hipError_tPvRmT2_T3_T4_T5_mT6_T7_P12ihipStream_tbENKUlT_T0_E_clISt17integral_constantIbLb0EES14_IbLb1EEEEDaS10_S11_EUlS10_E_NS1_11comp_targetILNS1_3genE3ELNS1_11target_archE908ELNS1_3gpuE7ELNS1_3repE0EEENS1_30default_config_static_selectorELNS0_4arch9wavefront6targetE0EEEvT1_.numbered_sgpr, 0
	.set _ZN7rocprim17ROCPRIM_400000_NS6detail17trampoline_kernelINS0_14default_configENS1_27scan_by_key_config_selectorIiiEEZZNS1_16scan_by_key_implILNS1_25lookback_scan_determinismE0ELb0ES3_N6thrust23THRUST_200600_302600_NS18transform_iteratorI9which_rowNS9_17counting_iteratorIiNS9_11use_defaultESD_SD_EESD_SD_EENS9_6detail15normal_iteratorINS9_10device_ptrIiEEEESK_iNS9_4plusIvEENS9_8equal_toIvEEiEE10hipError_tPvRmT2_T3_T4_T5_mT6_T7_P12ihipStream_tbENKUlT_T0_E_clISt17integral_constantIbLb0EES14_IbLb1EEEEDaS10_S11_EUlS10_E_NS1_11comp_targetILNS1_3genE3ELNS1_11target_archE908ELNS1_3gpuE7ELNS1_3repE0EEENS1_30default_config_static_selectorELNS0_4arch9wavefront6targetE0EEEvT1_.num_named_barrier, 0
	.set _ZN7rocprim17ROCPRIM_400000_NS6detail17trampoline_kernelINS0_14default_configENS1_27scan_by_key_config_selectorIiiEEZZNS1_16scan_by_key_implILNS1_25lookback_scan_determinismE0ELb0ES3_N6thrust23THRUST_200600_302600_NS18transform_iteratorI9which_rowNS9_17counting_iteratorIiNS9_11use_defaultESD_SD_EESD_SD_EENS9_6detail15normal_iteratorINS9_10device_ptrIiEEEESK_iNS9_4plusIvEENS9_8equal_toIvEEiEE10hipError_tPvRmT2_T3_T4_T5_mT6_T7_P12ihipStream_tbENKUlT_T0_E_clISt17integral_constantIbLb0EES14_IbLb1EEEEDaS10_S11_EUlS10_E_NS1_11comp_targetILNS1_3genE3ELNS1_11target_archE908ELNS1_3gpuE7ELNS1_3repE0EEENS1_30default_config_static_selectorELNS0_4arch9wavefront6targetE0EEEvT1_.private_seg_size, 0
	.set _ZN7rocprim17ROCPRIM_400000_NS6detail17trampoline_kernelINS0_14default_configENS1_27scan_by_key_config_selectorIiiEEZZNS1_16scan_by_key_implILNS1_25lookback_scan_determinismE0ELb0ES3_N6thrust23THRUST_200600_302600_NS18transform_iteratorI9which_rowNS9_17counting_iteratorIiNS9_11use_defaultESD_SD_EESD_SD_EENS9_6detail15normal_iteratorINS9_10device_ptrIiEEEESK_iNS9_4plusIvEENS9_8equal_toIvEEiEE10hipError_tPvRmT2_T3_T4_T5_mT6_T7_P12ihipStream_tbENKUlT_T0_E_clISt17integral_constantIbLb0EES14_IbLb1EEEEDaS10_S11_EUlS10_E_NS1_11comp_targetILNS1_3genE3ELNS1_11target_archE908ELNS1_3gpuE7ELNS1_3repE0EEENS1_30default_config_static_selectorELNS0_4arch9wavefront6targetE0EEEvT1_.uses_vcc, 0
	.set _ZN7rocprim17ROCPRIM_400000_NS6detail17trampoline_kernelINS0_14default_configENS1_27scan_by_key_config_selectorIiiEEZZNS1_16scan_by_key_implILNS1_25lookback_scan_determinismE0ELb0ES3_N6thrust23THRUST_200600_302600_NS18transform_iteratorI9which_rowNS9_17counting_iteratorIiNS9_11use_defaultESD_SD_EESD_SD_EENS9_6detail15normal_iteratorINS9_10device_ptrIiEEEESK_iNS9_4plusIvEENS9_8equal_toIvEEiEE10hipError_tPvRmT2_T3_T4_T5_mT6_T7_P12ihipStream_tbENKUlT_T0_E_clISt17integral_constantIbLb0EES14_IbLb1EEEEDaS10_S11_EUlS10_E_NS1_11comp_targetILNS1_3genE3ELNS1_11target_archE908ELNS1_3gpuE7ELNS1_3repE0EEENS1_30default_config_static_selectorELNS0_4arch9wavefront6targetE0EEEvT1_.uses_flat_scratch, 0
	.set _ZN7rocprim17ROCPRIM_400000_NS6detail17trampoline_kernelINS0_14default_configENS1_27scan_by_key_config_selectorIiiEEZZNS1_16scan_by_key_implILNS1_25lookback_scan_determinismE0ELb0ES3_N6thrust23THRUST_200600_302600_NS18transform_iteratorI9which_rowNS9_17counting_iteratorIiNS9_11use_defaultESD_SD_EESD_SD_EENS9_6detail15normal_iteratorINS9_10device_ptrIiEEEESK_iNS9_4plusIvEENS9_8equal_toIvEEiEE10hipError_tPvRmT2_T3_T4_T5_mT6_T7_P12ihipStream_tbENKUlT_T0_E_clISt17integral_constantIbLb0EES14_IbLb1EEEEDaS10_S11_EUlS10_E_NS1_11comp_targetILNS1_3genE3ELNS1_11target_archE908ELNS1_3gpuE7ELNS1_3repE0EEENS1_30default_config_static_selectorELNS0_4arch9wavefront6targetE0EEEvT1_.has_dyn_sized_stack, 0
	.set _ZN7rocprim17ROCPRIM_400000_NS6detail17trampoline_kernelINS0_14default_configENS1_27scan_by_key_config_selectorIiiEEZZNS1_16scan_by_key_implILNS1_25lookback_scan_determinismE0ELb0ES3_N6thrust23THRUST_200600_302600_NS18transform_iteratorI9which_rowNS9_17counting_iteratorIiNS9_11use_defaultESD_SD_EESD_SD_EENS9_6detail15normal_iteratorINS9_10device_ptrIiEEEESK_iNS9_4plusIvEENS9_8equal_toIvEEiEE10hipError_tPvRmT2_T3_T4_T5_mT6_T7_P12ihipStream_tbENKUlT_T0_E_clISt17integral_constantIbLb0EES14_IbLb1EEEEDaS10_S11_EUlS10_E_NS1_11comp_targetILNS1_3genE3ELNS1_11target_archE908ELNS1_3gpuE7ELNS1_3repE0EEENS1_30default_config_static_selectorELNS0_4arch9wavefront6targetE0EEEvT1_.has_recursion, 0
	.set _ZN7rocprim17ROCPRIM_400000_NS6detail17trampoline_kernelINS0_14default_configENS1_27scan_by_key_config_selectorIiiEEZZNS1_16scan_by_key_implILNS1_25lookback_scan_determinismE0ELb0ES3_N6thrust23THRUST_200600_302600_NS18transform_iteratorI9which_rowNS9_17counting_iteratorIiNS9_11use_defaultESD_SD_EESD_SD_EENS9_6detail15normal_iteratorINS9_10device_ptrIiEEEESK_iNS9_4plusIvEENS9_8equal_toIvEEiEE10hipError_tPvRmT2_T3_T4_T5_mT6_T7_P12ihipStream_tbENKUlT_T0_E_clISt17integral_constantIbLb0EES14_IbLb1EEEEDaS10_S11_EUlS10_E_NS1_11comp_targetILNS1_3genE3ELNS1_11target_archE908ELNS1_3gpuE7ELNS1_3repE0EEENS1_30default_config_static_selectorELNS0_4arch9wavefront6targetE0EEEvT1_.has_indirect_call, 0
	.section	.AMDGPU.csdata,"",@progbits
; Kernel info:
; codeLenInByte = 0
; TotalNumSgprs: 0
; NumVgprs: 0
; ScratchSize: 0
; MemoryBound: 0
; FloatMode: 240
; IeeeMode: 1
; LDSByteSize: 0 bytes/workgroup (compile time only)
; SGPRBlocks: 0
; VGPRBlocks: 0
; NumSGPRsForWavesPerEU: 1
; NumVGPRsForWavesPerEU: 1
; NamedBarCnt: 0
; Occupancy: 16
; WaveLimiterHint : 0
; COMPUTE_PGM_RSRC2:SCRATCH_EN: 0
; COMPUTE_PGM_RSRC2:USER_SGPR: 2
; COMPUTE_PGM_RSRC2:TRAP_HANDLER: 0
; COMPUTE_PGM_RSRC2:TGID_X_EN: 1
; COMPUTE_PGM_RSRC2:TGID_Y_EN: 0
; COMPUTE_PGM_RSRC2:TGID_Z_EN: 0
; COMPUTE_PGM_RSRC2:TIDIG_COMP_CNT: 0
	.section	.text._ZN7rocprim17ROCPRIM_400000_NS6detail17trampoline_kernelINS0_14default_configENS1_27scan_by_key_config_selectorIiiEEZZNS1_16scan_by_key_implILNS1_25lookback_scan_determinismE0ELb0ES3_N6thrust23THRUST_200600_302600_NS18transform_iteratorI9which_rowNS9_17counting_iteratorIiNS9_11use_defaultESD_SD_EESD_SD_EENS9_6detail15normal_iteratorINS9_10device_ptrIiEEEESK_iNS9_4plusIvEENS9_8equal_toIvEEiEE10hipError_tPvRmT2_T3_T4_T5_mT6_T7_P12ihipStream_tbENKUlT_T0_E_clISt17integral_constantIbLb0EES14_IbLb1EEEEDaS10_S11_EUlS10_E_NS1_11comp_targetILNS1_3genE2ELNS1_11target_archE906ELNS1_3gpuE6ELNS1_3repE0EEENS1_30default_config_static_selectorELNS0_4arch9wavefront6targetE0EEEvT1_,"axG",@progbits,_ZN7rocprim17ROCPRIM_400000_NS6detail17trampoline_kernelINS0_14default_configENS1_27scan_by_key_config_selectorIiiEEZZNS1_16scan_by_key_implILNS1_25lookback_scan_determinismE0ELb0ES3_N6thrust23THRUST_200600_302600_NS18transform_iteratorI9which_rowNS9_17counting_iteratorIiNS9_11use_defaultESD_SD_EESD_SD_EENS9_6detail15normal_iteratorINS9_10device_ptrIiEEEESK_iNS9_4plusIvEENS9_8equal_toIvEEiEE10hipError_tPvRmT2_T3_T4_T5_mT6_T7_P12ihipStream_tbENKUlT_T0_E_clISt17integral_constantIbLb0EES14_IbLb1EEEEDaS10_S11_EUlS10_E_NS1_11comp_targetILNS1_3genE2ELNS1_11target_archE906ELNS1_3gpuE6ELNS1_3repE0EEENS1_30default_config_static_selectorELNS0_4arch9wavefront6targetE0EEEvT1_,comdat
	.protected	_ZN7rocprim17ROCPRIM_400000_NS6detail17trampoline_kernelINS0_14default_configENS1_27scan_by_key_config_selectorIiiEEZZNS1_16scan_by_key_implILNS1_25lookback_scan_determinismE0ELb0ES3_N6thrust23THRUST_200600_302600_NS18transform_iteratorI9which_rowNS9_17counting_iteratorIiNS9_11use_defaultESD_SD_EESD_SD_EENS9_6detail15normal_iteratorINS9_10device_ptrIiEEEESK_iNS9_4plusIvEENS9_8equal_toIvEEiEE10hipError_tPvRmT2_T3_T4_T5_mT6_T7_P12ihipStream_tbENKUlT_T0_E_clISt17integral_constantIbLb0EES14_IbLb1EEEEDaS10_S11_EUlS10_E_NS1_11comp_targetILNS1_3genE2ELNS1_11target_archE906ELNS1_3gpuE6ELNS1_3repE0EEENS1_30default_config_static_selectorELNS0_4arch9wavefront6targetE0EEEvT1_ ; -- Begin function _ZN7rocprim17ROCPRIM_400000_NS6detail17trampoline_kernelINS0_14default_configENS1_27scan_by_key_config_selectorIiiEEZZNS1_16scan_by_key_implILNS1_25lookback_scan_determinismE0ELb0ES3_N6thrust23THRUST_200600_302600_NS18transform_iteratorI9which_rowNS9_17counting_iteratorIiNS9_11use_defaultESD_SD_EESD_SD_EENS9_6detail15normal_iteratorINS9_10device_ptrIiEEEESK_iNS9_4plusIvEENS9_8equal_toIvEEiEE10hipError_tPvRmT2_T3_T4_T5_mT6_T7_P12ihipStream_tbENKUlT_T0_E_clISt17integral_constantIbLb0EES14_IbLb1EEEEDaS10_S11_EUlS10_E_NS1_11comp_targetILNS1_3genE2ELNS1_11target_archE906ELNS1_3gpuE6ELNS1_3repE0EEENS1_30default_config_static_selectorELNS0_4arch9wavefront6targetE0EEEvT1_
	.globl	_ZN7rocprim17ROCPRIM_400000_NS6detail17trampoline_kernelINS0_14default_configENS1_27scan_by_key_config_selectorIiiEEZZNS1_16scan_by_key_implILNS1_25lookback_scan_determinismE0ELb0ES3_N6thrust23THRUST_200600_302600_NS18transform_iteratorI9which_rowNS9_17counting_iteratorIiNS9_11use_defaultESD_SD_EESD_SD_EENS9_6detail15normal_iteratorINS9_10device_ptrIiEEEESK_iNS9_4plusIvEENS9_8equal_toIvEEiEE10hipError_tPvRmT2_T3_T4_T5_mT6_T7_P12ihipStream_tbENKUlT_T0_E_clISt17integral_constantIbLb0EES14_IbLb1EEEEDaS10_S11_EUlS10_E_NS1_11comp_targetILNS1_3genE2ELNS1_11target_archE906ELNS1_3gpuE6ELNS1_3repE0EEENS1_30default_config_static_selectorELNS0_4arch9wavefront6targetE0EEEvT1_
	.p2align	8
	.type	_ZN7rocprim17ROCPRIM_400000_NS6detail17trampoline_kernelINS0_14default_configENS1_27scan_by_key_config_selectorIiiEEZZNS1_16scan_by_key_implILNS1_25lookback_scan_determinismE0ELb0ES3_N6thrust23THRUST_200600_302600_NS18transform_iteratorI9which_rowNS9_17counting_iteratorIiNS9_11use_defaultESD_SD_EESD_SD_EENS9_6detail15normal_iteratorINS9_10device_ptrIiEEEESK_iNS9_4plusIvEENS9_8equal_toIvEEiEE10hipError_tPvRmT2_T3_T4_T5_mT6_T7_P12ihipStream_tbENKUlT_T0_E_clISt17integral_constantIbLb0EES14_IbLb1EEEEDaS10_S11_EUlS10_E_NS1_11comp_targetILNS1_3genE2ELNS1_11target_archE906ELNS1_3gpuE6ELNS1_3repE0EEENS1_30default_config_static_selectorELNS0_4arch9wavefront6targetE0EEEvT1_,@function
_ZN7rocprim17ROCPRIM_400000_NS6detail17trampoline_kernelINS0_14default_configENS1_27scan_by_key_config_selectorIiiEEZZNS1_16scan_by_key_implILNS1_25lookback_scan_determinismE0ELb0ES3_N6thrust23THRUST_200600_302600_NS18transform_iteratorI9which_rowNS9_17counting_iteratorIiNS9_11use_defaultESD_SD_EESD_SD_EENS9_6detail15normal_iteratorINS9_10device_ptrIiEEEESK_iNS9_4plusIvEENS9_8equal_toIvEEiEE10hipError_tPvRmT2_T3_T4_T5_mT6_T7_P12ihipStream_tbENKUlT_T0_E_clISt17integral_constantIbLb0EES14_IbLb1EEEEDaS10_S11_EUlS10_E_NS1_11comp_targetILNS1_3genE2ELNS1_11target_archE906ELNS1_3gpuE6ELNS1_3repE0EEENS1_30default_config_static_selectorELNS0_4arch9wavefront6targetE0EEEvT1_: ; @_ZN7rocprim17ROCPRIM_400000_NS6detail17trampoline_kernelINS0_14default_configENS1_27scan_by_key_config_selectorIiiEEZZNS1_16scan_by_key_implILNS1_25lookback_scan_determinismE0ELb0ES3_N6thrust23THRUST_200600_302600_NS18transform_iteratorI9which_rowNS9_17counting_iteratorIiNS9_11use_defaultESD_SD_EESD_SD_EENS9_6detail15normal_iteratorINS9_10device_ptrIiEEEESK_iNS9_4plusIvEENS9_8equal_toIvEEiEE10hipError_tPvRmT2_T3_T4_T5_mT6_T7_P12ihipStream_tbENKUlT_T0_E_clISt17integral_constantIbLb0EES14_IbLb1EEEEDaS10_S11_EUlS10_E_NS1_11comp_targetILNS1_3genE2ELNS1_11target_archE906ELNS1_3gpuE6ELNS1_3repE0EEENS1_30default_config_static_selectorELNS0_4arch9wavefront6targetE0EEEvT1_
; %bb.0:
	.section	.rodata,"a",@progbits
	.p2align	6, 0x0
	.amdhsa_kernel _ZN7rocprim17ROCPRIM_400000_NS6detail17trampoline_kernelINS0_14default_configENS1_27scan_by_key_config_selectorIiiEEZZNS1_16scan_by_key_implILNS1_25lookback_scan_determinismE0ELb0ES3_N6thrust23THRUST_200600_302600_NS18transform_iteratorI9which_rowNS9_17counting_iteratorIiNS9_11use_defaultESD_SD_EESD_SD_EENS9_6detail15normal_iteratorINS9_10device_ptrIiEEEESK_iNS9_4plusIvEENS9_8equal_toIvEEiEE10hipError_tPvRmT2_T3_T4_T5_mT6_T7_P12ihipStream_tbENKUlT_T0_E_clISt17integral_constantIbLb0EES14_IbLb1EEEEDaS10_S11_EUlS10_E_NS1_11comp_targetILNS1_3genE2ELNS1_11target_archE906ELNS1_3gpuE6ELNS1_3repE0EEENS1_30default_config_static_selectorELNS0_4arch9wavefront6targetE0EEEvT1_
		.amdhsa_group_segment_fixed_size 0
		.amdhsa_private_segment_fixed_size 0
		.amdhsa_kernarg_size 112
		.amdhsa_user_sgpr_count 2
		.amdhsa_user_sgpr_dispatch_ptr 0
		.amdhsa_user_sgpr_queue_ptr 0
		.amdhsa_user_sgpr_kernarg_segment_ptr 1
		.amdhsa_user_sgpr_dispatch_id 0
		.amdhsa_user_sgpr_kernarg_preload_length 0
		.amdhsa_user_sgpr_kernarg_preload_offset 0
		.amdhsa_user_sgpr_private_segment_size 0
		.amdhsa_wavefront_size32 1
		.amdhsa_uses_dynamic_stack 0
		.amdhsa_enable_private_segment 0
		.amdhsa_system_sgpr_workgroup_id_x 1
		.amdhsa_system_sgpr_workgroup_id_y 0
		.amdhsa_system_sgpr_workgroup_id_z 0
		.amdhsa_system_sgpr_workgroup_info 0
		.amdhsa_system_vgpr_workitem_id 0
		.amdhsa_next_free_vgpr 1
		.amdhsa_next_free_sgpr 1
		.amdhsa_named_barrier_count 0
		.amdhsa_reserve_vcc 0
		.amdhsa_float_round_mode_32 0
		.amdhsa_float_round_mode_16_64 0
		.amdhsa_float_denorm_mode_32 3
		.amdhsa_float_denorm_mode_16_64 3
		.amdhsa_fp16_overflow 0
		.amdhsa_memory_ordered 1
		.amdhsa_forward_progress 1
		.amdhsa_inst_pref_size 0
		.amdhsa_round_robin_scheduling 0
		.amdhsa_exception_fp_ieee_invalid_op 0
		.amdhsa_exception_fp_denorm_src 0
		.amdhsa_exception_fp_ieee_div_zero 0
		.amdhsa_exception_fp_ieee_overflow 0
		.amdhsa_exception_fp_ieee_underflow 0
		.amdhsa_exception_fp_ieee_inexact 0
		.amdhsa_exception_int_div_zero 0
	.end_amdhsa_kernel
	.section	.text._ZN7rocprim17ROCPRIM_400000_NS6detail17trampoline_kernelINS0_14default_configENS1_27scan_by_key_config_selectorIiiEEZZNS1_16scan_by_key_implILNS1_25lookback_scan_determinismE0ELb0ES3_N6thrust23THRUST_200600_302600_NS18transform_iteratorI9which_rowNS9_17counting_iteratorIiNS9_11use_defaultESD_SD_EESD_SD_EENS9_6detail15normal_iteratorINS9_10device_ptrIiEEEESK_iNS9_4plusIvEENS9_8equal_toIvEEiEE10hipError_tPvRmT2_T3_T4_T5_mT6_T7_P12ihipStream_tbENKUlT_T0_E_clISt17integral_constantIbLb0EES14_IbLb1EEEEDaS10_S11_EUlS10_E_NS1_11comp_targetILNS1_3genE2ELNS1_11target_archE906ELNS1_3gpuE6ELNS1_3repE0EEENS1_30default_config_static_selectorELNS0_4arch9wavefront6targetE0EEEvT1_,"axG",@progbits,_ZN7rocprim17ROCPRIM_400000_NS6detail17trampoline_kernelINS0_14default_configENS1_27scan_by_key_config_selectorIiiEEZZNS1_16scan_by_key_implILNS1_25lookback_scan_determinismE0ELb0ES3_N6thrust23THRUST_200600_302600_NS18transform_iteratorI9which_rowNS9_17counting_iteratorIiNS9_11use_defaultESD_SD_EESD_SD_EENS9_6detail15normal_iteratorINS9_10device_ptrIiEEEESK_iNS9_4plusIvEENS9_8equal_toIvEEiEE10hipError_tPvRmT2_T3_T4_T5_mT6_T7_P12ihipStream_tbENKUlT_T0_E_clISt17integral_constantIbLb0EES14_IbLb1EEEEDaS10_S11_EUlS10_E_NS1_11comp_targetILNS1_3genE2ELNS1_11target_archE906ELNS1_3gpuE6ELNS1_3repE0EEENS1_30default_config_static_selectorELNS0_4arch9wavefront6targetE0EEEvT1_,comdat
.Lfunc_end124:
	.size	_ZN7rocprim17ROCPRIM_400000_NS6detail17trampoline_kernelINS0_14default_configENS1_27scan_by_key_config_selectorIiiEEZZNS1_16scan_by_key_implILNS1_25lookback_scan_determinismE0ELb0ES3_N6thrust23THRUST_200600_302600_NS18transform_iteratorI9which_rowNS9_17counting_iteratorIiNS9_11use_defaultESD_SD_EESD_SD_EENS9_6detail15normal_iteratorINS9_10device_ptrIiEEEESK_iNS9_4plusIvEENS9_8equal_toIvEEiEE10hipError_tPvRmT2_T3_T4_T5_mT6_T7_P12ihipStream_tbENKUlT_T0_E_clISt17integral_constantIbLb0EES14_IbLb1EEEEDaS10_S11_EUlS10_E_NS1_11comp_targetILNS1_3genE2ELNS1_11target_archE906ELNS1_3gpuE6ELNS1_3repE0EEENS1_30default_config_static_selectorELNS0_4arch9wavefront6targetE0EEEvT1_, .Lfunc_end124-_ZN7rocprim17ROCPRIM_400000_NS6detail17trampoline_kernelINS0_14default_configENS1_27scan_by_key_config_selectorIiiEEZZNS1_16scan_by_key_implILNS1_25lookback_scan_determinismE0ELb0ES3_N6thrust23THRUST_200600_302600_NS18transform_iteratorI9which_rowNS9_17counting_iteratorIiNS9_11use_defaultESD_SD_EESD_SD_EENS9_6detail15normal_iteratorINS9_10device_ptrIiEEEESK_iNS9_4plusIvEENS9_8equal_toIvEEiEE10hipError_tPvRmT2_T3_T4_T5_mT6_T7_P12ihipStream_tbENKUlT_T0_E_clISt17integral_constantIbLb0EES14_IbLb1EEEEDaS10_S11_EUlS10_E_NS1_11comp_targetILNS1_3genE2ELNS1_11target_archE906ELNS1_3gpuE6ELNS1_3repE0EEENS1_30default_config_static_selectorELNS0_4arch9wavefront6targetE0EEEvT1_
                                        ; -- End function
	.set _ZN7rocprim17ROCPRIM_400000_NS6detail17trampoline_kernelINS0_14default_configENS1_27scan_by_key_config_selectorIiiEEZZNS1_16scan_by_key_implILNS1_25lookback_scan_determinismE0ELb0ES3_N6thrust23THRUST_200600_302600_NS18transform_iteratorI9which_rowNS9_17counting_iteratorIiNS9_11use_defaultESD_SD_EESD_SD_EENS9_6detail15normal_iteratorINS9_10device_ptrIiEEEESK_iNS9_4plusIvEENS9_8equal_toIvEEiEE10hipError_tPvRmT2_T3_T4_T5_mT6_T7_P12ihipStream_tbENKUlT_T0_E_clISt17integral_constantIbLb0EES14_IbLb1EEEEDaS10_S11_EUlS10_E_NS1_11comp_targetILNS1_3genE2ELNS1_11target_archE906ELNS1_3gpuE6ELNS1_3repE0EEENS1_30default_config_static_selectorELNS0_4arch9wavefront6targetE0EEEvT1_.num_vgpr, 0
	.set _ZN7rocprim17ROCPRIM_400000_NS6detail17trampoline_kernelINS0_14default_configENS1_27scan_by_key_config_selectorIiiEEZZNS1_16scan_by_key_implILNS1_25lookback_scan_determinismE0ELb0ES3_N6thrust23THRUST_200600_302600_NS18transform_iteratorI9which_rowNS9_17counting_iteratorIiNS9_11use_defaultESD_SD_EESD_SD_EENS9_6detail15normal_iteratorINS9_10device_ptrIiEEEESK_iNS9_4plusIvEENS9_8equal_toIvEEiEE10hipError_tPvRmT2_T3_T4_T5_mT6_T7_P12ihipStream_tbENKUlT_T0_E_clISt17integral_constantIbLb0EES14_IbLb1EEEEDaS10_S11_EUlS10_E_NS1_11comp_targetILNS1_3genE2ELNS1_11target_archE906ELNS1_3gpuE6ELNS1_3repE0EEENS1_30default_config_static_selectorELNS0_4arch9wavefront6targetE0EEEvT1_.num_agpr, 0
	.set _ZN7rocprim17ROCPRIM_400000_NS6detail17trampoline_kernelINS0_14default_configENS1_27scan_by_key_config_selectorIiiEEZZNS1_16scan_by_key_implILNS1_25lookback_scan_determinismE0ELb0ES3_N6thrust23THRUST_200600_302600_NS18transform_iteratorI9which_rowNS9_17counting_iteratorIiNS9_11use_defaultESD_SD_EESD_SD_EENS9_6detail15normal_iteratorINS9_10device_ptrIiEEEESK_iNS9_4plusIvEENS9_8equal_toIvEEiEE10hipError_tPvRmT2_T3_T4_T5_mT6_T7_P12ihipStream_tbENKUlT_T0_E_clISt17integral_constantIbLb0EES14_IbLb1EEEEDaS10_S11_EUlS10_E_NS1_11comp_targetILNS1_3genE2ELNS1_11target_archE906ELNS1_3gpuE6ELNS1_3repE0EEENS1_30default_config_static_selectorELNS0_4arch9wavefront6targetE0EEEvT1_.numbered_sgpr, 0
	.set _ZN7rocprim17ROCPRIM_400000_NS6detail17trampoline_kernelINS0_14default_configENS1_27scan_by_key_config_selectorIiiEEZZNS1_16scan_by_key_implILNS1_25lookback_scan_determinismE0ELb0ES3_N6thrust23THRUST_200600_302600_NS18transform_iteratorI9which_rowNS9_17counting_iteratorIiNS9_11use_defaultESD_SD_EESD_SD_EENS9_6detail15normal_iteratorINS9_10device_ptrIiEEEESK_iNS9_4plusIvEENS9_8equal_toIvEEiEE10hipError_tPvRmT2_T3_T4_T5_mT6_T7_P12ihipStream_tbENKUlT_T0_E_clISt17integral_constantIbLb0EES14_IbLb1EEEEDaS10_S11_EUlS10_E_NS1_11comp_targetILNS1_3genE2ELNS1_11target_archE906ELNS1_3gpuE6ELNS1_3repE0EEENS1_30default_config_static_selectorELNS0_4arch9wavefront6targetE0EEEvT1_.num_named_barrier, 0
	.set _ZN7rocprim17ROCPRIM_400000_NS6detail17trampoline_kernelINS0_14default_configENS1_27scan_by_key_config_selectorIiiEEZZNS1_16scan_by_key_implILNS1_25lookback_scan_determinismE0ELb0ES3_N6thrust23THRUST_200600_302600_NS18transform_iteratorI9which_rowNS9_17counting_iteratorIiNS9_11use_defaultESD_SD_EESD_SD_EENS9_6detail15normal_iteratorINS9_10device_ptrIiEEEESK_iNS9_4plusIvEENS9_8equal_toIvEEiEE10hipError_tPvRmT2_T3_T4_T5_mT6_T7_P12ihipStream_tbENKUlT_T0_E_clISt17integral_constantIbLb0EES14_IbLb1EEEEDaS10_S11_EUlS10_E_NS1_11comp_targetILNS1_3genE2ELNS1_11target_archE906ELNS1_3gpuE6ELNS1_3repE0EEENS1_30default_config_static_selectorELNS0_4arch9wavefront6targetE0EEEvT1_.private_seg_size, 0
	.set _ZN7rocprim17ROCPRIM_400000_NS6detail17trampoline_kernelINS0_14default_configENS1_27scan_by_key_config_selectorIiiEEZZNS1_16scan_by_key_implILNS1_25lookback_scan_determinismE0ELb0ES3_N6thrust23THRUST_200600_302600_NS18transform_iteratorI9which_rowNS9_17counting_iteratorIiNS9_11use_defaultESD_SD_EESD_SD_EENS9_6detail15normal_iteratorINS9_10device_ptrIiEEEESK_iNS9_4plusIvEENS9_8equal_toIvEEiEE10hipError_tPvRmT2_T3_T4_T5_mT6_T7_P12ihipStream_tbENKUlT_T0_E_clISt17integral_constantIbLb0EES14_IbLb1EEEEDaS10_S11_EUlS10_E_NS1_11comp_targetILNS1_3genE2ELNS1_11target_archE906ELNS1_3gpuE6ELNS1_3repE0EEENS1_30default_config_static_selectorELNS0_4arch9wavefront6targetE0EEEvT1_.uses_vcc, 0
	.set _ZN7rocprim17ROCPRIM_400000_NS6detail17trampoline_kernelINS0_14default_configENS1_27scan_by_key_config_selectorIiiEEZZNS1_16scan_by_key_implILNS1_25lookback_scan_determinismE0ELb0ES3_N6thrust23THRUST_200600_302600_NS18transform_iteratorI9which_rowNS9_17counting_iteratorIiNS9_11use_defaultESD_SD_EESD_SD_EENS9_6detail15normal_iteratorINS9_10device_ptrIiEEEESK_iNS9_4plusIvEENS9_8equal_toIvEEiEE10hipError_tPvRmT2_T3_T4_T5_mT6_T7_P12ihipStream_tbENKUlT_T0_E_clISt17integral_constantIbLb0EES14_IbLb1EEEEDaS10_S11_EUlS10_E_NS1_11comp_targetILNS1_3genE2ELNS1_11target_archE906ELNS1_3gpuE6ELNS1_3repE0EEENS1_30default_config_static_selectorELNS0_4arch9wavefront6targetE0EEEvT1_.uses_flat_scratch, 0
	.set _ZN7rocprim17ROCPRIM_400000_NS6detail17trampoline_kernelINS0_14default_configENS1_27scan_by_key_config_selectorIiiEEZZNS1_16scan_by_key_implILNS1_25lookback_scan_determinismE0ELb0ES3_N6thrust23THRUST_200600_302600_NS18transform_iteratorI9which_rowNS9_17counting_iteratorIiNS9_11use_defaultESD_SD_EESD_SD_EENS9_6detail15normal_iteratorINS9_10device_ptrIiEEEESK_iNS9_4plusIvEENS9_8equal_toIvEEiEE10hipError_tPvRmT2_T3_T4_T5_mT6_T7_P12ihipStream_tbENKUlT_T0_E_clISt17integral_constantIbLb0EES14_IbLb1EEEEDaS10_S11_EUlS10_E_NS1_11comp_targetILNS1_3genE2ELNS1_11target_archE906ELNS1_3gpuE6ELNS1_3repE0EEENS1_30default_config_static_selectorELNS0_4arch9wavefront6targetE0EEEvT1_.has_dyn_sized_stack, 0
	.set _ZN7rocprim17ROCPRIM_400000_NS6detail17trampoline_kernelINS0_14default_configENS1_27scan_by_key_config_selectorIiiEEZZNS1_16scan_by_key_implILNS1_25lookback_scan_determinismE0ELb0ES3_N6thrust23THRUST_200600_302600_NS18transform_iteratorI9which_rowNS9_17counting_iteratorIiNS9_11use_defaultESD_SD_EESD_SD_EENS9_6detail15normal_iteratorINS9_10device_ptrIiEEEESK_iNS9_4plusIvEENS9_8equal_toIvEEiEE10hipError_tPvRmT2_T3_T4_T5_mT6_T7_P12ihipStream_tbENKUlT_T0_E_clISt17integral_constantIbLb0EES14_IbLb1EEEEDaS10_S11_EUlS10_E_NS1_11comp_targetILNS1_3genE2ELNS1_11target_archE906ELNS1_3gpuE6ELNS1_3repE0EEENS1_30default_config_static_selectorELNS0_4arch9wavefront6targetE0EEEvT1_.has_recursion, 0
	.set _ZN7rocprim17ROCPRIM_400000_NS6detail17trampoline_kernelINS0_14default_configENS1_27scan_by_key_config_selectorIiiEEZZNS1_16scan_by_key_implILNS1_25lookback_scan_determinismE0ELb0ES3_N6thrust23THRUST_200600_302600_NS18transform_iteratorI9which_rowNS9_17counting_iteratorIiNS9_11use_defaultESD_SD_EESD_SD_EENS9_6detail15normal_iteratorINS9_10device_ptrIiEEEESK_iNS9_4plusIvEENS9_8equal_toIvEEiEE10hipError_tPvRmT2_T3_T4_T5_mT6_T7_P12ihipStream_tbENKUlT_T0_E_clISt17integral_constantIbLb0EES14_IbLb1EEEEDaS10_S11_EUlS10_E_NS1_11comp_targetILNS1_3genE2ELNS1_11target_archE906ELNS1_3gpuE6ELNS1_3repE0EEENS1_30default_config_static_selectorELNS0_4arch9wavefront6targetE0EEEvT1_.has_indirect_call, 0
	.section	.AMDGPU.csdata,"",@progbits
; Kernel info:
; codeLenInByte = 0
; TotalNumSgprs: 0
; NumVgprs: 0
; ScratchSize: 0
; MemoryBound: 0
; FloatMode: 240
; IeeeMode: 1
; LDSByteSize: 0 bytes/workgroup (compile time only)
; SGPRBlocks: 0
; VGPRBlocks: 0
; NumSGPRsForWavesPerEU: 1
; NumVGPRsForWavesPerEU: 1
; NamedBarCnt: 0
; Occupancy: 16
; WaveLimiterHint : 0
; COMPUTE_PGM_RSRC2:SCRATCH_EN: 0
; COMPUTE_PGM_RSRC2:USER_SGPR: 2
; COMPUTE_PGM_RSRC2:TRAP_HANDLER: 0
; COMPUTE_PGM_RSRC2:TGID_X_EN: 1
; COMPUTE_PGM_RSRC2:TGID_Y_EN: 0
; COMPUTE_PGM_RSRC2:TGID_Z_EN: 0
; COMPUTE_PGM_RSRC2:TIDIG_COMP_CNT: 0
	.section	.text._ZN7rocprim17ROCPRIM_400000_NS6detail17trampoline_kernelINS0_14default_configENS1_27scan_by_key_config_selectorIiiEEZZNS1_16scan_by_key_implILNS1_25lookback_scan_determinismE0ELb0ES3_N6thrust23THRUST_200600_302600_NS18transform_iteratorI9which_rowNS9_17counting_iteratorIiNS9_11use_defaultESD_SD_EESD_SD_EENS9_6detail15normal_iteratorINS9_10device_ptrIiEEEESK_iNS9_4plusIvEENS9_8equal_toIvEEiEE10hipError_tPvRmT2_T3_T4_T5_mT6_T7_P12ihipStream_tbENKUlT_T0_E_clISt17integral_constantIbLb0EES14_IbLb1EEEEDaS10_S11_EUlS10_E_NS1_11comp_targetILNS1_3genE10ELNS1_11target_archE1200ELNS1_3gpuE4ELNS1_3repE0EEENS1_30default_config_static_selectorELNS0_4arch9wavefront6targetE0EEEvT1_,"axG",@progbits,_ZN7rocprim17ROCPRIM_400000_NS6detail17trampoline_kernelINS0_14default_configENS1_27scan_by_key_config_selectorIiiEEZZNS1_16scan_by_key_implILNS1_25lookback_scan_determinismE0ELb0ES3_N6thrust23THRUST_200600_302600_NS18transform_iteratorI9which_rowNS9_17counting_iteratorIiNS9_11use_defaultESD_SD_EESD_SD_EENS9_6detail15normal_iteratorINS9_10device_ptrIiEEEESK_iNS9_4plusIvEENS9_8equal_toIvEEiEE10hipError_tPvRmT2_T3_T4_T5_mT6_T7_P12ihipStream_tbENKUlT_T0_E_clISt17integral_constantIbLb0EES14_IbLb1EEEEDaS10_S11_EUlS10_E_NS1_11comp_targetILNS1_3genE10ELNS1_11target_archE1200ELNS1_3gpuE4ELNS1_3repE0EEENS1_30default_config_static_selectorELNS0_4arch9wavefront6targetE0EEEvT1_,comdat
	.protected	_ZN7rocprim17ROCPRIM_400000_NS6detail17trampoline_kernelINS0_14default_configENS1_27scan_by_key_config_selectorIiiEEZZNS1_16scan_by_key_implILNS1_25lookback_scan_determinismE0ELb0ES3_N6thrust23THRUST_200600_302600_NS18transform_iteratorI9which_rowNS9_17counting_iteratorIiNS9_11use_defaultESD_SD_EESD_SD_EENS9_6detail15normal_iteratorINS9_10device_ptrIiEEEESK_iNS9_4plusIvEENS9_8equal_toIvEEiEE10hipError_tPvRmT2_T3_T4_T5_mT6_T7_P12ihipStream_tbENKUlT_T0_E_clISt17integral_constantIbLb0EES14_IbLb1EEEEDaS10_S11_EUlS10_E_NS1_11comp_targetILNS1_3genE10ELNS1_11target_archE1200ELNS1_3gpuE4ELNS1_3repE0EEENS1_30default_config_static_selectorELNS0_4arch9wavefront6targetE0EEEvT1_ ; -- Begin function _ZN7rocprim17ROCPRIM_400000_NS6detail17trampoline_kernelINS0_14default_configENS1_27scan_by_key_config_selectorIiiEEZZNS1_16scan_by_key_implILNS1_25lookback_scan_determinismE0ELb0ES3_N6thrust23THRUST_200600_302600_NS18transform_iteratorI9which_rowNS9_17counting_iteratorIiNS9_11use_defaultESD_SD_EESD_SD_EENS9_6detail15normal_iteratorINS9_10device_ptrIiEEEESK_iNS9_4plusIvEENS9_8equal_toIvEEiEE10hipError_tPvRmT2_T3_T4_T5_mT6_T7_P12ihipStream_tbENKUlT_T0_E_clISt17integral_constantIbLb0EES14_IbLb1EEEEDaS10_S11_EUlS10_E_NS1_11comp_targetILNS1_3genE10ELNS1_11target_archE1200ELNS1_3gpuE4ELNS1_3repE0EEENS1_30default_config_static_selectorELNS0_4arch9wavefront6targetE0EEEvT1_
	.globl	_ZN7rocprim17ROCPRIM_400000_NS6detail17trampoline_kernelINS0_14default_configENS1_27scan_by_key_config_selectorIiiEEZZNS1_16scan_by_key_implILNS1_25lookback_scan_determinismE0ELb0ES3_N6thrust23THRUST_200600_302600_NS18transform_iteratorI9which_rowNS9_17counting_iteratorIiNS9_11use_defaultESD_SD_EESD_SD_EENS9_6detail15normal_iteratorINS9_10device_ptrIiEEEESK_iNS9_4plusIvEENS9_8equal_toIvEEiEE10hipError_tPvRmT2_T3_T4_T5_mT6_T7_P12ihipStream_tbENKUlT_T0_E_clISt17integral_constantIbLb0EES14_IbLb1EEEEDaS10_S11_EUlS10_E_NS1_11comp_targetILNS1_3genE10ELNS1_11target_archE1200ELNS1_3gpuE4ELNS1_3repE0EEENS1_30default_config_static_selectorELNS0_4arch9wavefront6targetE0EEEvT1_
	.p2align	8
	.type	_ZN7rocprim17ROCPRIM_400000_NS6detail17trampoline_kernelINS0_14default_configENS1_27scan_by_key_config_selectorIiiEEZZNS1_16scan_by_key_implILNS1_25lookback_scan_determinismE0ELb0ES3_N6thrust23THRUST_200600_302600_NS18transform_iteratorI9which_rowNS9_17counting_iteratorIiNS9_11use_defaultESD_SD_EESD_SD_EENS9_6detail15normal_iteratorINS9_10device_ptrIiEEEESK_iNS9_4plusIvEENS9_8equal_toIvEEiEE10hipError_tPvRmT2_T3_T4_T5_mT6_T7_P12ihipStream_tbENKUlT_T0_E_clISt17integral_constantIbLb0EES14_IbLb1EEEEDaS10_S11_EUlS10_E_NS1_11comp_targetILNS1_3genE10ELNS1_11target_archE1200ELNS1_3gpuE4ELNS1_3repE0EEENS1_30default_config_static_selectorELNS0_4arch9wavefront6targetE0EEEvT1_,@function
_ZN7rocprim17ROCPRIM_400000_NS6detail17trampoline_kernelINS0_14default_configENS1_27scan_by_key_config_selectorIiiEEZZNS1_16scan_by_key_implILNS1_25lookback_scan_determinismE0ELb0ES3_N6thrust23THRUST_200600_302600_NS18transform_iteratorI9which_rowNS9_17counting_iteratorIiNS9_11use_defaultESD_SD_EESD_SD_EENS9_6detail15normal_iteratorINS9_10device_ptrIiEEEESK_iNS9_4plusIvEENS9_8equal_toIvEEiEE10hipError_tPvRmT2_T3_T4_T5_mT6_T7_P12ihipStream_tbENKUlT_T0_E_clISt17integral_constantIbLb0EES14_IbLb1EEEEDaS10_S11_EUlS10_E_NS1_11comp_targetILNS1_3genE10ELNS1_11target_archE1200ELNS1_3gpuE4ELNS1_3repE0EEENS1_30default_config_static_selectorELNS0_4arch9wavefront6targetE0EEEvT1_: ; @_ZN7rocprim17ROCPRIM_400000_NS6detail17trampoline_kernelINS0_14default_configENS1_27scan_by_key_config_selectorIiiEEZZNS1_16scan_by_key_implILNS1_25lookback_scan_determinismE0ELb0ES3_N6thrust23THRUST_200600_302600_NS18transform_iteratorI9which_rowNS9_17counting_iteratorIiNS9_11use_defaultESD_SD_EESD_SD_EENS9_6detail15normal_iteratorINS9_10device_ptrIiEEEESK_iNS9_4plusIvEENS9_8equal_toIvEEiEE10hipError_tPvRmT2_T3_T4_T5_mT6_T7_P12ihipStream_tbENKUlT_T0_E_clISt17integral_constantIbLb0EES14_IbLb1EEEEDaS10_S11_EUlS10_E_NS1_11comp_targetILNS1_3genE10ELNS1_11target_archE1200ELNS1_3gpuE4ELNS1_3repE0EEENS1_30default_config_static_selectorELNS0_4arch9wavefront6targetE0EEEvT1_
; %bb.0:
	.section	.rodata,"a",@progbits
	.p2align	6, 0x0
	.amdhsa_kernel _ZN7rocprim17ROCPRIM_400000_NS6detail17trampoline_kernelINS0_14default_configENS1_27scan_by_key_config_selectorIiiEEZZNS1_16scan_by_key_implILNS1_25lookback_scan_determinismE0ELb0ES3_N6thrust23THRUST_200600_302600_NS18transform_iteratorI9which_rowNS9_17counting_iteratorIiNS9_11use_defaultESD_SD_EESD_SD_EENS9_6detail15normal_iteratorINS9_10device_ptrIiEEEESK_iNS9_4plusIvEENS9_8equal_toIvEEiEE10hipError_tPvRmT2_T3_T4_T5_mT6_T7_P12ihipStream_tbENKUlT_T0_E_clISt17integral_constantIbLb0EES14_IbLb1EEEEDaS10_S11_EUlS10_E_NS1_11comp_targetILNS1_3genE10ELNS1_11target_archE1200ELNS1_3gpuE4ELNS1_3repE0EEENS1_30default_config_static_selectorELNS0_4arch9wavefront6targetE0EEEvT1_
		.amdhsa_group_segment_fixed_size 0
		.amdhsa_private_segment_fixed_size 0
		.amdhsa_kernarg_size 112
		.amdhsa_user_sgpr_count 2
		.amdhsa_user_sgpr_dispatch_ptr 0
		.amdhsa_user_sgpr_queue_ptr 0
		.amdhsa_user_sgpr_kernarg_segment_ptr 1
		.amdhsa_user_sgpr_dispatch_id 0
		.amdhsa_user_sgpr_kernarg_preload_length 0
		.amdhsa_user_sgpr_kernarg_preload_offset 0
		.amdhsa_user_sgpr_private_segment_size 0
		.amdhsa_wavefront_size32 1
		.amdhsa_uses_dynamic_stack 0
		.amdhsa_enable_private_segment 0
		.amdhsa_system_sgpr_workgroup_id_x 1
		.amdhsa_system_sgpr_workgroup_id_y 0
		.amdhsa_system_sgpr_workgroup_id_z 0
		.amdhsa_system_sgpr_workgroup_info 0
		.amdhsa_system_vgpr_workitem_id 0
		.amdhsa_next_free_vgpr 1
		.amdhsa_next_free_sgpr 1
		.amdhsa_named_barrier_count 0
		.amdhsa_reserve_vcc 0
		.amdhsa_float_round_mode_32 0
		.amdhsa_float_round_mode_16_64 0
		.amdhsa_float_denorm_mode_32 3
		.amdhsa_float_denorm_mode_16_64 3
		.amdhsa_fp16_overflow 0
		.amdhsa_memory_ordered 1
		.amdhsa_forward_progress 1
		.amdhsa_inst_pref_size 0
		.amdhsa_round_robin_scheduling 0
		.amdhsa_exception_fp_ieee_invalid_op 0
		.amdhsa_exception_fp_denorm_src 0
		.amdhsa_exception_fp_ieee_div_zero 0
		.amdhsa_exception_fp_ieee_overflow 0
		.amdhsa_exception_fp_ieee_underflow 0
		.amdhsa_exception_fp_ieee_inexact 0
		.amdhsa_exception_int_div_zero 0
	.end_amdhsa_kernel
	.section	.text._ZN7rocprim17ROCPRIM_400000_NS6detail17trampoline_kernelINS0_14default_configENS1_27scan_by_key_config_selectorIiiEEZZNS1_16scan_by_key_implILNS1_25lookback_scan_determinismE0ELb0ES3_N6thrust23THRUST_200600_302600_NS18transform_iteratorI9which_rowNS9_17counting_iteratorIiNS9_11use_defaultESD_SD_EESD_SD_EENS9_6detail15normal_iteratorINS9_10device_ptrIiEEEESK_iNS9_4plusIvEENS9_8equal_toIvEEiEE10hipError_tPvRmT2_T3_T4_T5_mT6_T7_P12ihipStream_tbENKUlT_T0_E_clISt17integral_constantIbLb0EES14_IbLb1EEEEDaS10_S11_EUlS10_E_NS1_11comp_targetILNS1_3genE10ELNS1_11target_archE1200ELNS1_3gpuE4ELNS1_3repE0EEENS1_30default_config_static_selectorELNS0_4arch9wavefront6targetE0EEEvT1_,"axG",@progbits,_ZN7rocprim17ROCPRIM_400000_NS6detail17trampoline_kernelINS0_14default_configENS1_27scan_by_key_config_selectorIiiEEZZNS1_16scan_by_key_implILNS1_25lookback_scan_determinismE0ELb0ES3_N6thrust23THRUST_200600_302600_NS18transform_iteratorI9which_rowNS9_17counting_iteratorIiNS9_11use_defaultESD_SD_EESD_SD_EENS9_6detail15normal_iteratorINS9_10device_ptrIiEEEESK_iNS9_4plusIvEENS9_8equal_toIvEEiEE10hipError_tPvRmT2_T3_T4_T5_mT6_T7_P12ihipStream_tbENKUlT_T0_E_clISt17integral_constantIbLb0EES14_IbLb1EEEEDaS10_S11_EUlS10_E_NS1_11comp_targetILNS1_3genE10ELNS1_11target_archE1200ELNS1_3gpuE4ELNS1_3repE0EEENS1_30default_config_static_selectorELNS0_4arch9wavefront6targetE0EEEvT1_,comdat
.Lfunc_end125:
	.size	_ZN7rocprim17ROCPRIM_400000_NS6detail17trampoline_kernelINS0_14default_configENS1_27scan_by_key_config_selectorIiiEEZZNS1_16scan_by_key_implILNS1_25lookback_scan_determinismE0ELb0ES3_N6thrust23THRUST_200600_302600_NS18transform_iteratorI9which_rowNS9_17counting_iteratorIiNS9_11use_defaultESD_SD_EESD_SD_EENS9_6detail15normal_iteratorINS9_10device_ptrIiEEEESK_iNS9_4plusIvEENS9_8equal_toIvEEiEE10hipError_tPvRmT2_T3_T4_T5_mT6_T7_P12ihipStream_tbENKUlT_T0_E_clISt17integral_constantIbLb0EES14_IbLb1EEEEDaS10_S11_EUlS10_E_NS1_11comp_targetILNS1_3genE10ELNS1_11target_archE1200ELNS1_3gpuE4ELNS1_3repE0EEENS1_30default_config_static_selectorELNS0_4arch9wavefront6targetE0EEEvT1_, .Lfunc_end125-_ZN7rocprim17ROCPRIM_400000_NS6detail17trampoline_kernelINS0_14default_configENS1_27scan_by_key_config_selectorIiiEEZZNS1_16scan_by_key_implILNS1_25lookback_scan_determinismE0ELb0ES3_N6thrust23THRUST_200600_302600_NS18transform_iteratorI9which_rowNS9_17counting_iteratorIiNS9_11use_defaultESD_SD_EESD_SD_EENS9_6detail15normal_iteratorINS9_10device_ptrIiEEEESK_iNS9_4plusIvEENS9_8equal_toIvEEiEE10hipError_tPvRmT2_T3_T4_T5_mT6_T7_P12ihipStream_tbENKUlT_T0_E_clISt17integral_constantIbLb0EES14_IbLb1EEEEDaS10_S11_EUlS10_E_NS1_11comp_targetILNS1_3genE10ELNS1_11target_archE1200ELNS1_3gpuE4ELNS1_3repE0EEENS1_30default_config_static_selectorELNS0_4arch9wavefront6targetE0EEEvT1_
                                        ; -- End function
	.set _ZN7rocprim17ROCPRIM_400000_NS6detail17trampoline_kernelINS0_14default_configENS1_27scan_by_key_config_selectorIiiEEZZNS1_16scan_by_key_implILNS1_25lookback_scan_determinismE0ELb0ES3_N6thrust23THRUST_200600_302600_NS18transform_iteratorI9which_rowNS9_17counting_iteratorIiNS9_11use_defaultESD_SD_EESD_SD_EENS9_6detail15normal_iteratorINS9_10device_ptrIiEEEESK_iNS9_4plusIvEENS9_8equal_toIvEEiEE10hipError_tPvRmT2_T3_T4_T5_mT6_T7_P12ihipStream_tbENKUlT_T0_E_clISt17integral_constantIbLb0EES14_IbLb1EEEEDaS10_S11_EUlS10_E_NS1_11comp_targetILNS1_3genE10ELNS1_11target_archE1200ELNS1_3gpuE4ELNS1_3repE0EEENS1_30default_config_static_selectorELNS0_4arch9wavefront6targetE0EEEvT1_.num_vgpr, 0
	.set _ZN7rocprim17ROCPRIM_400000_NS6detail17trampoline_kernelINS0_14default_configENS1_27scan_by_key_config_selectorIiiEEZZNS1_16scan_by_key_implILNS1_25lookback_scan_determinismE0ELb0ES3_N6thrust23THRUST_200600_302600_NS18transform_iteratorI9which_rowNS9_17counting_iteratorIiNS9_11use_defaultESD_SD_EESD_SD_EENS9_6detail15normal_iteratorINS9_10device_ptrIiEEEESK_iNS9_4plusIvEENS9_8equal_toIvEEiEE10hipError_tPvRmT2_T3_T4_T5_mT6_T7_P12ihipStream_tbENKUlT_T0_E_clISt17integral_constantIbLb0EES14_IbLb1EEEEDaS10_S11_EUlS10_E_NS1_11comp_targetILNS1_3genE10ELNS1_11target_archE1200ELNS1_3gpuE4ELNS1_3repE0EEENS1_30default_config_static_selectorELNS0_4arch9wavefront6targetE0EEEvT1_.num_agpr, 0
	.set _ZN7rocprim17ROCPRIM_400000_NS6detail17trampoline_kernelINS0_14default_configENS1_27scan_by_key_config_selectorIiiEEZZNS1_16scan_by_key_implILNS1_25lookback_scan_determinismE0ELb0ES3_N6thrust23THRUST_200600_302600_NS18transform_iteratorI9which_rowNS9_17counting_iteratorIiNS9_11use_defaultESD_SD_EESD_SD_EENS9_6detail15normal_iteratorINS9_10device_ptrIiEEEESK_iNS9_4plusIvEENS9_8equal_toIvEEiEE10hipError_tPvRmT2_T3_T4_T5_mT6_T7_P12ihipStream_tbENKUlT_T0_E_clISt17integral_constantIbLb0EES14_IbLb1EEEEDaS10_S11_EUlS10_E_NS1_11comp_targetILNS1_3genE10ELNS1_11target_archE1200ELNS1_3gpuE4ELNS1_3repE0EEENS1_30default_config_static_selectorELNS0_4arch9wavefront6targetE0EEEvT1_.numbered_sgpr, 0
	.set _ZN7rocprim17ROCPRIM_400000_NS6detail17trampoline_kernelINS0_14default_configENS1_27scan_by_key_config_selectorIiiEEZZNS1_16scan_by_key_implILNS1_25lookback_scan_determinismE0ELb0ES3_N6thrust23THRUST_200600_302600_NS18transform_iteratorI9which_rowNS9_17counting_iteratorIiNS9_11use_defaultESD_SD_EESD_SD_EENS9_6detail15normal_iteratorINS9_10device_ptrIiEEEESK_iNS9_4plusIvEENS9_8equal_toIvEEiEE10hipError_tPvRmT2_T3_T4_T5_mT6_T7_P12ihipStream_tbENKUlT_T0_E_clISt17integral_constantIbLb0EES14_IbLb1EEEEDaS10_S11_EUlS10_E_NS1_11comp_targetILNS1_3genE10ELNS1_11target_archE1200ELNS1_3gpuE4ELNS1_3repE0EEENS1_30default_config_static_selectorELNS0_4arch9wavefront6targetE0EEEvT1_.num_named_barrier, 0
	.set _ZN7rocprim17ROCPRIM_400000_NS6detail17trampoline_kernelINS0_14default_configENS1_27scan_by_key_config_selectorIiiEEZZNS1_16scan_by_key_implILNS1_25lookback_scan_determinismE0ELb0ES3_N6thrust23THRUST_200600_302600_NS18transform_iteratorI9which_rowNS9_17counting_iteratorIiNS9_11use_defaultESD_SD_EESD_SD_EENS9_6detail15normal_iteratorINS9_10device_ptrIiEEEESK_iNS9_4plusIvEENS9_8equal_toIvEEiEE10hipError_tPvRmT2_T3_T4_T5_mT6_T7_P12ihipStream_tbENKUlT_T0_E_clISt17integral_constantIbLb0EES14_IbLb1EEEEDaS10_S11_EUlS10_E_NS1_11comp_targetILNS1_3genE10ELNS1_11target_archE1200ELNS1_3gpuE4ELNS1_3repE0EEENS1_30default_config_static_selectorELNS0_4arch9wavefront6targetE0EEEvT1_.private_seg_size, 0
	.set _ZN7rocprim17ROCPRIM_400000_NS6detail17trampoline_kernelINS0_14default_configENS1_27scan_by_key_config_selectorIiiEEZZNS1_16scan_by_key_implILNS1_25lookback_scan_determinismE0ELb0ES3_N6thrust23THRUST_200600_302600_NS18transform_iteratorI9which_rowNS9_17counting_iteratorIiNS9_11use_defaultESD_SD_EESD_SD_EENS9_6detail15normal_iteratorINS9_10device_ptrIiEEEESK_iNS9_4plusIvEENS9_8equal_toIvEEiEE10hipError_tPvRmT2_T3_T4_T5_mT6_T7_P12ihipStream_tbENKUlT_T0_E_clISt17integral_constantIbLb0EES14_IbLb1EEEEDaS10_S11_EUlS10_E_NS1_11comp_targetILNS1_3genE10ELNS1_11target_archE1200ELNS1_3gpuE4ELNS1_3repE0EEENS1_30default_config_static_selectorELNS0_4arch9wavefront6targetE0EEEvT1_.uses_vcc, 0
	.set _ZN7rocprim17ROCPRIM_400000_NS6detail17trampoline_kernelINS0_14default_configENS1_27scan_by_key_config_selectorIiiEEZZNS1_16scan_by_key_implILNS1_25lookback_scan_determinismE0ELb0ES3_N6thrust23THRUST_200600_302600_NS18transform_iteratorI9which_rowNS9_17counting_iteratorIiNS9_11use_defaultESD_SD_EESD_SD_EENS9_6detail15normal_iteratorINS9_10device_ptrIiEEEESK_iNS9_4plusIvEENS9_8equal_toIvEEiEE10hipError_tPvRmT2_T3_T4_T5_mT6_T7_P12ihipStream_tbENKUlT_T0_E_clISt17integral_constantIbLb0EES14_IbLb1EEEEDaS10_S11_EUlS10_E_NS1_11comp_targetILNS1_3genE10ELNS1_11target_archE1200ELNS1_3gpuE4ELNS1_3repE0EEENS1_30default_config_static_selectorELNS0_4arch9wavefront6targetE0EEEvT1_.uses_flat_scratch, 0
	.set _ZN7rocprim17ROCPRIM_400000_NS6detail17trampoline_kernelINS0_14default_configENS1_27scan_by_key_config_selectorIiiEEZZNS1_16scan_by_key_implILNS1_25lookback_scan_determinismE0ELb0ES3_N6thrust23THRUST_200600_302600_NS18transform_iteratorI9which_rowNS9_17counting_iteratorIiNS9_11use_defaultESD_SD_EESD_SD_EENS9_6detail15normal_iteratorINS9_10device_ptrIiEEEESK_iNS9_4plusIvEENS9_8equal_toIvEEiEE10hipError_tPvRmT2_T3_T4_T5_mT6_T7_P12ihipStream_tbENKUlT_T0_E_clISt17integral_constantIbLb0EES14_IbLb1EEEEDaS10_S11_EUlS10_E_NS1_11comp_targetILNS1_3genE10ELNS1_11target_archE1200ELNS1_3gpuE4ELNS1_3repE0EEENS1_30default_config_static_selectorELNS0_4arch9wavefront6targetE0EEEvT1_.has_dyn_sized_stack, 0
	.set _ZN7rocprim17ROCPRIM_400000_NS6detail17trampoline_kernelINS0_14default_configENS1_27scan_by_key_config_selectorIiiEEZZNS1_16scan_by_key_implILNS1_25lookback_scan_determinismE0ELb0ES3_N6thrust23THRUST_200600_302600_NS18transform_iteratorI9which_rowNS9_17counting_iteratorIiNS9_11use_defaultESD_SD_EESD_SD_EENS9_6detail15normal_iteratorINS9_10device_ptrIiEEEESK_iNS9_4plusIvEENS9_8equal_toIvEEiEE10hipError_tPvRmT2_T3_T4_T5_mT6_T7_P12ihipStream_tbENKUlT_T0_E_clISt17integral_constantIbLb0EES14_IbLb1EEEEDaS10_S11_EUlS10_E_NS1_11comp_targetILNS1_3genE10ELNS1_11target_archE1200ELNS1_3gpuE4ELNS1_3repE0EEENS1_30default_config_static_selectorELNS0_4arch9wavefront6targetE0EEEvT1_.has_recursion, 0
	.set _ZN7rocprim17ROCPRIM_400000_NS6detail17trampoline_kernelINS0_14default_configENS1_27scan_by_key_config_selectorIiiEEZZNS1_16scan_by_key_implILNS1_25lookback_scan_determinismE0ELb0ES3_N6thrust23THRUST_200600_302600_NS18transform_iteratorI9which_rowNS9_17counting_iteratorIiNS9_11use_defaultESD_SD_EESD_SD_EENS9_6detail15normal_iteratorINS9_10device_ptrIiEEEESK_iNS9_4plusIvEENS9_8equal_toIvEEiEE10hipError_tPvRmT2_T3_T4_T5_mT6_T7_P12ihipStream_tbENKUlT_T0_E_clISt17integral_constantIbLb0EES14_IbLb1EEEEDaS10_S11_EUlS10_E_NS1_11comp_targetILNS1_3genE10ELNS1_11target_archE1200ELNS1_3gpuE4ELNS1_3repE0EEENS1_30default_config_static_selectorELNS0_4arch9wavefront6targetE0EEEvT1_.has_indirect_call, 0
	.section	.AMDGPU.csdata,"",@progbits
; Kernel info:
; codeLenInByte = 0
; TotalNumSgprs: 0
; NumVgprs: 0
; ScratchSize: 0
; MemoryBound: 0
; FloatMode: 240
; IeeeMode: 1
; LDSByteSize: 0 bytes/workgroup (compile time only)
; SGPRBlocks: 0
; VGPRBlocks: 0
; NumSGPRsForWavesPerEU: 1
; NumVGPRsForWavesPerEU: 1
; NamedBarCnt: 0
; Occupancy: 16
; WaveLimiterHint : 0
; COMPUTE_PGM_RSRC2:SCRATCH_EN: 0
; COMPUTE_PGM_RSRC2:USER_SGPR: 2
; COMPUTE_PGM_RSRC2:TRAP_HANDLER: 0
; COMPUTE_PGM_RSRC2:TGID_X_EN: 1
; COMPUTE_PGM_RSRC2:TGID_Y_EN: 0
; COMPUTE_PGM_RSRC2:TGID_Z_EN: 0
; COMPUTE_PGM_RSRC2:TIDIG_COMP_CNT: 0
	.section	.text._ZN7rocprim17ROCPRIM_400000_NS6detail17trampoline_kernelINS0_14default_configENS1_27scan_by_key_config_selectorIiiEEZZNS1_16scan_by_key_implILNS1_25lookback_scan_determinismE0ELb0ES3_N6thrust23THRUST_200600_302600_NS18transform_iteratorI9which_rowNS9_17counting_iteratorIiNS9_11use_defaultESD_SD_EESD_SD_EENS9_6detail15normal_iteratorINS9_10device_ptrIiEEEESK_iNS9_4plusIvEENS9_8equal_toIvEEiEE10hipError_tPvRmT2_T3_T4_T5_mT6_T7_P12ihipStream_tbENKUlT_T0_E_clISt17integral_constantIbLb0EES14_IbLb1EEEEDaS10_S11_EUlS10_E_NS1_11comp_targetILNS1_3genE9ELNS1_11target_archE1100ELNS1_3gpuE3ELNS1_3repE0EEENS1_30default_config_static_selectorELNS0_4arch9wavefront6targetE0EEEvT1_,"axG",@progbits,_ZN7rocprim17ROCPRIM_400000_NS6detail17trampoline_kernelINS0_14default_configENS1_27scan_by_key_config_selectorIiiEEZZNS1_16scan_by_key_implILNS1_25lookback_scan_determinismE0ELb0ES3_N6thrust23THRUST_200600_302600_NS18transform_iteratorI9which_rowNS9_17counting_iteratorIiNS9_11use_defaultESD_SD_EESD_SD_EENS9_6detail15normal_iteratorINS9_10device_ptrIiEEEESK_iNS9_4plusIvEENS9_8equal_toIvEEiEE10hipError_tPvRmT2_T3_T4_T5_mT6_T7_P12ihipStream_tbENKUlT_T0_E_clISt17integral_constantIbLb0EES14_IbLb1EEEEDaS10_S11_EUlS10_E_NS1_11comp_targetILNS1_3genE9ELNS1_11target_archE1100ELNS1_3gpuE3ELNS1_3repE0EEENS1_30default_config_static_selectorELNS0_4arch9wavefront6targetE0EEEvT1_,comdat
	.protected	_ZN7rocprim17ROCPRIM_400000_NS6detail17trampoline_kernelINS0_14default_configENS1_27scan_by_key_config_selectorIiiEEZZNS1_16scan_by_key_implILNS1_25lookback_scan_determinismE0ELb0ES3_N6thrust23THRUST_200600_302600_NS18transform_iteratorI9which_rowNS9_17counting_iteratorIiNS9_11use_defaultESD_SD_EESD_SD_EENS9_6detail15normal_iteratorINS9_10device_ptrIiEEEESK_iNS9_4plusIvEENS9_8equal_toIvEEiEE10hipError_tPvRmT2_T3_T4_T5_mT6_T7_P12ihipStream_tbENKUlT_T0_E_clISt17integral_constantIbLb0EES14_IbLb1EEEEDaS10_S11_EUlS10_E_NS1_11comp_targetILNS1_3genE9ELNS1_11target_archE1100ELNS1_3gpuE3ELNS1_3repE0EEENS1_30default_config_static_selectorELNS0_4arch9wavefront6targetE0EEEvT1_ ; -- Begin function _ZN7rocprim17ROCPRIM_400000_NS6detail17trampoline_kernelINS0_14default_configENS1_27scan_by_key_config_selectorIiiEEZZNS1_16scan_by_key_implILNS1_25lookback_scan_determinismE0ELb0ES3_N6thrust23THRUST_200600_302600_NS18transform_iteratorI9which_rowNS9_17counting_iteratorIiNS9_11use_defaultESD_SD_EESD_SD_EENS9_6detail15normal_iteratorINS9_10device_ptrIiEEEESK_iNS9_4plusIvEENS9_8equal_toIvEEiEE10hipError_tPvRmT2_T3_T4_T5_mT6_T7_P12ihipStream_tbENKUlT_T0_E_clISt17integral_constantIbLb0EES14_IbLb1EEEEDaS10_S11_EUlS10_E_NS1_11comp_targetILNS1_3genE9ELNS1_11target_archE1100ELNS1_3gpuE3ELNS1_3repE0EEENS1_30default_config_static_selectorELNS0_4arch9wavefront6targetE0EEEvT1_
	.globl	_ZN7rocprim17ROCPRIM_400000_NS6detail17trampoline_kernelINS0_14default_configENS1_27scan_by_key_config_selectorIiiEEZZNS1_16scan_by_key_implILNS1_25lookback_scan_determinismE0ELb0ES3_N6thrust23THRUST_200600_302600_NS18transform_iteratorI9which_rowNS9_17counting_iteratorIiNS9_11use_defaultESD_SD_EESD_SD_EENS9_6detail15normal_iteratorINS9_10device_ptrIiEEEESK_iNS9_4plusIvEENS9_8equal_toIvEEiEE10hipError_tPvRmT2_T3_T4_T5_mT6_T7_P12ihipStream_tbENKUlT_T0_E_clISt17integral_constantIbLb0EES14_IbLb1EEEEDaS10_S11_EUlS10_E_NS1_11comp_targetILNS1_3genE9ELNS1_11target_archE1100ELNS1_3gpuE3ELNS1_3repE0EEENS1_30default_config_static_selectorELNS0_4arch9wavefront6targetE0EEEvT1_
	.p2align	8
	.type	_ZN7rocprim17ROCPRIM_400000_NS6detail17trampoline_kernelINS0_14default_configENS1_27scan_by_key_config_selectorIiiEEZZNS1_16scan_by_key_implILNS1_25lookback_scan_determinismE0ELb0ES3_N6thrust23THRUST_200600_302600_NS18transform_iteratorI9which_rowNS9_17counting_iteratorIiNS9_11use_defaultESD_SD_EESD_SD_EENS9_6detail15normal_iteratorINS9_10device_ptrIiEEEESK_iNS9_4plusIvEENS9_8equal_toIvEEiEE10hipError_tPvRmT2_T3_T4_T5_mT6_T7_P12ihipStream_tbENKUlT_T0_E_clISt17integral_constantIbLb0EES14_IbLb1EEEEDaS10_S11_EUlS10_E_NS1_11comp_targetILNS1_3genE9ELNS1_11target_archE1100ELNS1_3gpuE3ELNS1_3repE0EEENS1_30default_config_static_selectorELNS0_4arch9wavefront6targetE0EEEvT1_,@function
_ZN7rocprim17ROCPRIM_400000_NS6detail17trampoline_kernelINS0_14default_configENS1_27scan_by_key_config_selectorIiiEEZZNS1_16scan_by_key_implILNS1_25lookback_scan_determinismE0ELb0ES3_N6thrust23THRUST_200600_302600_NS18transform_iteratorI9which_rowNS9_17counting_iteratorIiNS9_11use_defaultESD_SD_EESD_SD_EENS9_6detail15normal_iteratorINS9_10device_ptrIiEEEESK_iNS9_4plusIvEENS9_8equal_toIvEEiEE10hipError_tPvRmT2_T3_T4_T5_mT6_T7_P12ihipStream_tbENKUlT_T0_E_clISt17integral_constantIbLb0EES14_IbLb1EEEEDaS10_S11_EUlS10_E_NS1_11comp_targetILNS1_3genE9ELNS1_11target_archE1100ELNS1_3gpuE3ELNS1_3repE0EEENS1_30default_config_static_selectorELNS0_4arch9wavefront6targetE0EEEvT1_: ; @_ZN7rocprim17ROCPRIM_400000_NS6detail17trampoline_kernelINS0_14default_configENS1_27scan_by_key_config_selectorIiiEEZZNS1_16scan_by_key_implILNS1_25lookback_scan_determinismE0ELb0ES3_N6thrust23THRUST_200600_302600_NS18transform_iteratorI9which_rowNS9_17counting_iteratorIiNS9_11use_defaultESD_SD_EESD_SD_EENS9_6detail15normal_iteratorINS9_10device_ptrIiEEEESK_iNS9_4plusIvEENS9_8equal_toIvEEiEE10hipError_tPvRmT2_T3_T4_T5_mT6_T7_P12ihipStream_tbENKUlT_T0_E_clISt17integral_constantIbLb0EES14_IbLb1EEEEDaS10_S11_EUlS10_E_NS1_11comp_targetILNS1_3genE9ELNS1_11target_archE1100ELNS1_3gpuE3ELNS1_3repE0EEENS1_30default_config_static_selectorELNS0_4arch9wavefront6targetE0EEEvT1_
; %bb.0:
	.section	.rodata,"a",@progbits
	.p2align	6, 0x0
	.amdhsa_kernel _ZN7rocprim17ROCPRIM_400000_NS6detail17trampoline_kernelINS0_14default_configENS1_27scan_by_key_config_selectorIiiEEZZNS1_16scan_by_key_implILNS1_25lookback_scan_determinismE0ELb0ES3_N6thrust23THRUST_200600_302600_NS18transform_iteratorI9which_rowNS9_17counting_iteratorIiNS9_11use_defaultESD_SD_EESD_SD_EENS9_6detail15normal_iteratorINS9_10device_ptrIiEEEESK_iNS9_4plusIvEENS9_8equal_toIvEEiEE10hipError_tPvRmT2_T3_T4_T5_mT6_T7_P12ihipStream_tbENKUlT_T0_E_clISt17integral_constantIbLb0EES14_IbLb1EEEEDaS10_S11_EUlS10_E_NS1_11comp_targetILNS1_3genE9ELNS1_11target_archE1100ELNS1_3gpuE3ELNS1_3repE0EEENS1_30default_config_static_selectorELNS0_4arch9wavefront6targetE0EEEvT1_
		.amdhsa_group_segment_fixed_size 0
		.amdhsa_private_segment_fixed_size 0
		.amdhsa_kernarg_size 112
		.amdhsa_user_sgpr_count 2
		.amdhsa_user_sgpr_dispatch_ptr 0
		.amdhsa_user_sgpr_queue_ptr 0
		.amdhsa_user_sgpr_kernarg_segment_ptr 1
		.amdhsa_user_sgpr_dispatch_id 0
		.amdhsa_user_sgpr_kernarg_preload_length 0
		.amdhsa_user_sgpr_kernarg_preload_offset 0
		.amdhsa_user_sgpr_private_segment_size 0
		.amdhsa_wavefront_size32 1
		.amdhsa_uses_dynamic_stack 0
		.amdhsa_enable_private_segment 0
		.amdhsa_system_sgpr_workgroup_id_x 1
		.amdhsa_system_sgpr_workgroup_id_y 0
		.amdhsa_system_sgpr_workgroup_id_z 0
		.amdhsa_system_sgpr_workgroup_info 0
		.amdhsa_system_vgpr_workitem_id 0
		.amdhsa_next_free_vgpr 1
		.amdhsa_next_free_sgpr 1
		.amdhsa_named_barrier_count 0
		.amdhsa_reserve_vcc 0
		.amdhsa_float_round_mode_32 0
		.amdhsa_float_round_mode_16_64 0
		.amdhsa_float_denorm_mode_32 3
		.amdhsa_float_denorm_mode_16_64 3
		.amdhsa_fp16_overflow 0
		.amdhsa_memory_ordered 1
		.amdhsa_forward_progress 1
		.amdhsa_inst_pref_size 0
		.amdhsa_round_robin_scheduling 0
		.amdhsa_exception_fp_ieee_invalid_op 0
		.amdhsa_exception_fp_denorm_src 0
		.amdhsa_exception_fp_ieee_div_zero 0
		.amdhsa_exception_fp_ieee_overflow 0
		.amdhsa_exception_fp_ieee_underflow 0
		.amdhsa_exception_fp_ieee_inexact 0
		.amdhsa_exception_int_div_zero 0
	.end_amdhsa_kernel
	.section	.text._ZN7rocprim17ROCPRIM_400000_NS6detail17trampoline_kernelINS0_14default_configENS1_27scan_by_key_config_selectorIiiEEZZNS1_16scan_by_key_implILNS1_25lookback_scan_determinismE0ELb0ES3_N6thrust23THRUST_200600_302600_NS18transform_iteratorI9which_rowNS9_17counting_iteratorIiNS9_11use_defaultESD_SD_EESD_SD_EENS9_6detail15normal_iteratorINS9_10device_ptrIiEEEESK_iNS9_4plusIvEENS9_8equal_toIvEEiEE10hipError_tPvRmT2_T3_T4_T5_mT6_T7_P12ihipStream_tbENKUlT_T0_E_clISt17integral_constantIbLb0EES14_IbLb1EEEEDaS10_S11_EUlS10_E_NS1_11comp_targetILNS1_3genE9ELNS1_11target_archE1100ELNS1_3gpuE3ELNS1_3repE0EEENS1_30default_config_static_selectorELNS0_4arch9wavefront6targetE0EEEvT1_,"axG",@progbits,_ZN7rocprim17ROCPRIM_400000_NS6detail17trampoline_kernelINS0_14default_configENS1_27scan_by_key_config_selectorIiiEEZZNS1_16scan_by_key_implILNS1_25lookback_scan_determinismE0ELb0ES3_N6thrust23THRUST_200600_302600_NS18transform_iteratorI9which_rowNS9_17counting_iteratorIiNS9_11use_defaultESD_SD_EESD_SD_EENS9_6detail15normal_iteratorINS9_10device_ptrIiEEEESK_iNS9_4plusIvEENS9_8equal_toIvEEiEE10hipError_tPvRmT2_T3_T4_T5_mT6_T7_P12ihipStream_tbENKUlT_T0_E_clISt17integral_constantIbLb0EES14_IbLb1EEEEDaS10_S11_EUlS10_E_NS1_11comp_targetILNS1_3genE9ELNS1_11target_archE1100ELNS1_3gpuE3ELNS1_3repE0EEENS1_30default_config_static_selectorELNS0_4arch9wavefront6targetE0EEEvT1_,comdat
.Lfunc_end126:
	.size	_ZN7rocprim17ROCPRIM_400000_NS6detail17trampoline_kernelINS0_14default_configENS1_27scan_by_key_config_selectorIiiEEZZNS1_16scan_by_key_implILNS1_25lookback_scan_determinismE0ELb0ES3_N6thrust23THRUST_200600_302600_NS18transform_iteratorI9which_rowNS9_17counting_iteratorIiNS9_11use_defaultESD_SD_EESD_SD_EENS9_6detail15normal_iteratorINS9_10device_ptrIiEEEESK_iNS9_4plusIvEENS9_8equal_toIvEEiEE10hipError_tPvRmT2_T3_T4_T5_mT6_T7_P12ihipStream_tbENKUlT_T0_E_clISt17integral_constantIbLb0EES14_IbLb1EEEEDaS10_S11_EUlS10_E_NS1_11comp_targetILNS1_3genE9ELNS1_11target_archE1100ELNS1_3gpuE3ELNS1_3repE0EEENS1_30default_config_static_selectorELNS0_4arch9wavefront6targetE0EEEvT1_, .Lfunc_end126-_ZN7rocprim17ROCPRIM_400000_NS6detail17trampoline_kernelINS0_14default_configENS1_27scan_by_key_config_selectorIiiEEZZNS1_16scan_by_key_implILNS1_25lookback_scan_determinismE0ELb0ES3_N6thrust23THRUST_200600_302600_NS18transform_iteratorI9which_rowNS9_17counting_iteratorIiNS9_11use_defaultESD_SD_EESD_SD_EENS9_6detail15normal_iteratorINS9_10device_ptrIiEEEESK_iNS9_4plusIvEENS9_8equal_toIvEEiEE10hipError_tPvRmT2_T3_T4_T5_mT6_T7_P12ihipStream_tbENKUlT_T0_E_clISt17integral_constantIbLb0EES14_IbLb1EEEEDaS10_S11_EUlS10_E_NS1_11comp_targetILNS1_3genE9ELNS1_11target_archE1100ELNS1_3gpuE3ELNS1_3repE0EEENS1_30default_config_static_selectorELNS0_4arch9wavefront6targetE0EEEvT1_
                                        ; -- End function
	.set _ZN7rocprim17ROCPRIM_400000_NS6detail17trampoline_kernelINS0_14default_configENS1_27scan_by_key_config_selectorIiiEEZZNS1_16scan_by_key_implILNS1_25lookback_scan_determinismE0ELb0ES3_N6thrust23THRUST_200600_302600_NS18transform_iteratorI9which_rowNS9_17counting_iteratorIiNS9_11use_defaultESD_SD_EESD_SD_EENS9_6detail15normal_iteratorINS9_10device_ptrIiEEEESK_iNS9_4plusIvEENS9_8equal_toIvEEiEE10hipError_tPvRmT2_T3_T4_T5_mT6_T7_P12ihipStream_tbENKUlT_T0_E_clISt17integral_constantIbLb0EES14_IbLb1EEEEDaS10_S11_EUlS10_E_NS1_11comp_targetILNS1_3genE9ELNS1_11target_archE1100ELNS1_3gpuE3ELNS1_3repE0EEENS1_30default_config_static_selectorELNS0_4arch9wavefront6targetE0EEEvT1_.num_vgpr, 0
	.set _ZN7rocprim17ROCPRIM_400000_NS6detail17trampoline_kernelINS0_14default_configENS1_27scan_by_key_config_selectorIiiEEZZNS1_16scan_by_key_implILNS1_25lookback_scan_determinismE0ELb0ES3_N6thrust23THRUST_200600_302600_NS18transform_iteratorI9which_rowNS9_17counting_iteratorIiNS9_11use_defaultESD_SD_EESD_SD_EENS9_6detail15normal_iteratorINS9_10device_ptrIiEEEESK_iNS9_4plusIvEENS9_8equal_toIvEEiEE10hipError_tPvRmT2_T3_T4_T5_mT6_T7_P12ihipStream_tbENKUlT_T0_E_clISt17integral_constantIbLb0EES14_IbLb1EEEEDaS10_S11_EUlS10_E_NS1_11comp_targetILNS1_3genE9ELNS1_11target_archE1100ELNS1_3gpuE3ELNS1_3repE0EEENS1_30default_config_static_selectorELNS0_4arch9wavefront6targetE0EEEvT1_.num_agpr, 0
	.set _ZN7rocprim17ROCPRIM_400000_NS6detail17trampoline_kernelINS0_14default_configENS1_27scan_by_key_config_selectorIiiEEZZNS1_16scan_by_key_implILNS1_25lookback_scan_determinismE0ELb0ES3_N6thrust23THRUST_200600_302600_NS18transform_iteratorI9which_rowNS9_17counting_iteratorIiNS9_11use_defaultESD_SD_EESD_SD_EENS9_6detail15normal_iteratorINS9_10device_ptrIiEEEESK_iNS9_4plusIvEENS9_8equal_toIvEEiEE10hipError_tPvRmT2_T3_T4_T5_mT6_T7_P12ihipStream_tbENKUlT_T0_E_clISt17integral_constantIbLb0EES14_IbLb1EEEEDaS10_S11_EUlS10_E_NS1_11comp_targetILNS1_3genE9ELNS1_11target_archE1100ELNS1_3gpuE3ELNS1_3repE0EEENS1_30default_config_static_selectorELNS0_4arch9wavefront6targetE0EEEvT1_.numbered_sgpr, 0
	.set _ZN7rocprim17ROCPRIM_400000_NS6detail17trampoline_kernelINS0_14default_configENS1_27scan_by_key_config_selectorIiiEEZZNS1_16scan_by_key_implILNS1_25lookback_scan_determinismE0ELb0ES3_N6thrust23THRUST_200600_302600_NS18transform_iteratorI9which_rowNS9_17counting_iteratorIiNS9_11use_defaultESD_SD_EESD_SD_EENS9_6detail15normal_iteratorINS9_10device_ptrIiEEEESK_iNS9_4plusIvEENS9_8equal_toIvEEiEE10hipError_tPvRmT2_T3_T4_T5_mT6_T7_P12ihipStream_tbENKUlT_T0_E_clISt17integral_constantIbLb0EES14_IbLb1EEEEDaS10_S11_EUlS10_E_NS1_11comp_targetILNS1_3genE9ELNS1_11target_archE1100ELNS1_3gpuE3ELNS1_3repE0EEENS1_30default_config_static_selectorELNS0_4arch9wavefront6targetE0EEEvT1_.num_named_barrier, 0
	.set _ZN7rocprim17ROCPRIM_400000_NS6detail17trampoline_kernelINS0_14default_configENS1_27scan_by_key_config_selectorIiiEEZZNS1_16scan_by_key_implILNS1_25lookback_scan_determinismE0ELb0ES3_N6thrust23THRUST_200600_302600_NS18transform_iteratorI9which_rowNS9_17counting_iteratorIiNS9_11use_defaultESD_SD_EESD_SD_EENS9_6detail15normal_iteratorINS9_10device_ptrIiEEEESK_iNS9_4plusIvEENS9_8equal_toIvEEiEE10hipError_tPvRmT2_T3_T4_T5_mT6_T7_P12ihipStream_tbENKUlT_T0_E_clISt17integral_constantIbLb0EES14_IbLb1EEEEDaS10_S11_EUlS10_E_NS1_11comp_targetILNS1_3genE9ELNS1_11target_archE1100ELNS1_3gpuE3ELNS1_3repE0EEENS1_30default_config_static_selectorELNS0_4arch9wavefront6targetE0EEEvT1_.private_seg_size, 0
	.set _ZN7rocprim17ROCPRIM_400000_NS6detail17trampoline_kernelINS0_14default_configENS1_27scan_by_key_config_selectorIiiEEZZNS1_16scan_by_key_implILNS1_25lookback_scan_determinismE0ELb0ES3_N6thrust23THRUST_200600_302600_NS18transform_iteratorI9which_rowNS9_17counting_iteratorIiNS9_11use_defaultESD_SD_EESD_SD_EENS9_6detail15normal_iteratorINS9_10device_ptrIiEEEESK_iNS9_4plusIvEENS9_8equal_toIvEEiEE10hipError_tPvRmT2_T3_T4_T5_mT6_T7_P12ihipStream_tbENKUlT_T0_E_clISt17integral_constantIbLb0EES14_IbLb1EEEEDaS10_S11_EUlS10_E_NS1_11comp_targetILNS1_3genE9ELNS1_11target_archE1100ELNS1_3gpuE3ELNS1_3repE0EEENS1_30default_config_static_selectorELNS0_4arch9wavefront6targetE0EEEvT1_.uses_vcc, 0
	.set _ZN7rocprim17ROCPRIM_400000_NS6detail17trampoline_kernelINS0_14default_configENS1_27scan_by_key_config_selectorIiiEEZZNS1_16scan_by_key_implILNS1_25lookback_scan_determinismE0ELb0ES3_N6thrust23THRUST_200600_302600_NS18transform_iteratorI9which_rowNS9_17counting_iteratorIiNS9_11use_defaultESD_SD_EESD_SD_EENS9_6detail15normal_iteratorINS9_10device_ptrIiEEEESK_iNS9_4plusIvEENS9_8equal_toIvEEiEE10hipError_tPvRmT2_T3_T4_T5_mT6_T7_P12ihipStream_tbENKUlT_T0_E_clISt17integral_constantIbLb0EES14_IbLb1EEEEDaS10_S11_EUlS10_E_NS1_11comp_targetILNS1_3genE9ELNS1_11target_archE1100ELNS1_3gpuE3ELNS1_3repE0EEENS1_30default_config_static_selectorELNS0_4arch9wavefront6targetE0EEEvT1_.uses_flat_scratch, 0
	.set _ZN7rocprim17ROCPRIM_400000_NS6detail17trampoline_kernelINS0_14default_configENS1_27scan_by_key_config_selectorIiiEEZZNS1_16scan_by_key_implILNS1_25lookback_scan_determinismE0ELb0ES3_N6thrust23THRUST_200600_302600_NS18transform_iteratorI9which_rowNS9_17counting_iteratorIiNS9_11use_defaultESD_SD_EESD_SD_EENS9_6detail15normal_iteratorINS9_10device_ptrIiEEEESK_iNS9_4plusIvEENS9_8equal_toIvEEiEE10hipError_tPvRmT2_T3_T4_T5_mT6_T7_P12ihipStream_tbENKUlT_T0_E_clISt17integral_constantIbLb0EES14_IbLb1EEEEDaS10_S11_EUlS10_E_NS1_11comp_targetILNS1_3genE9ELNS1_11target_archE1100ELNS1_3gpuE3ELNS1_3repE0EEENS1_30default_config_static_selectorELNS0_4arch9wavefront6targetE0EEEvT1_.has_dyn_sized_stack, 0
	.set _ZN7rocprim17ROCPRIM_400000_NS6detail17trampoline_kernelINS0_14default_configENS1_27scan_by_key_config_selectorIiiEEZZNS1_16scan_by_key_implILNS1_25lookback_scan_determinismE0ELb0ES3_N6thrust23THRUST_200600_302600_NS18transform_iteratorI9which_rowNS9_17counting_iteratorIiNS9_11use_defaultESD_SD_EESD_SD_EENS9_6detail15normal_iteratorINS9_10device_ptrIiEEEESK_iNS9_4plusIvEENS9_8equal_toIvEEiEE10hipError_tPvRmT2_T3_T4_T5_mT6_T7_P12ihipStream_tbENKUlT_T0_E_clISt17integral_constantIbLb0EES14_IbLb1EEEEDaS10_S11_EUlS10_E_NS1_11comp_targetILNS1_3genE9ELNS1_11target_archE1100ELNS1_3gpuE3ELNS1_3repE0EEENS1_30default_config_static_selectorELNS0_4arch9wavefront6targetE0EEEvT1_.has_recursion, 0
	.set _ZN7rocprim17ROCPRIM_400000_NS6detail17trampoline_kernelINS0_14default_configENS1_27scan_by_key_config_selectorIiiEEZZNS1_16scan_by_key_implILNS1_25lookback_scan_determinismE0ELb0ES3_N6thrust23THRUST_200600_302600_NS18transform_iteratorI9which_rowNS9_17counting_iteratorIiNS9_11use_defaultESD_SD_EESD_SD_EENS9_6detail15normal_iteratorINS9_10device_ptrIiEEEESK_iNS9_4plusIvEENS9_8equal_toIvEEiEE10hipError_tPvRmT2_T3_T4_T5_mT6_T7_P12ihipStream_tbENKUlT_T0_E_clISt17integral_constantIbLb0EES14_IbLb1EEEEDaS10_S11_EUlS10_E_NS1_11comp_targetILNS1_3genE9ELNS1_11target_archE1100ELNS1_3gpuE3ELNS1_3repE0EEENS1_30default_config_static_selectorELNS0_4arch9wavefront6targetE0EEEvT1_.has_indirect_call, 0
	.section	.AMDGPU.csdata,"",@progbits
; Kernel info:
; codeLenInByte = 0
; TotalNumSgprs: 0
; NumVgprs: 0
; ScratchSize: 0
; MemoryBound: 0
; FloatMode: 240
; IeeeMode: 1
; LDSByteSize: 0 bytes/workgroup (compile time only)
; SGPRBlocks: 0
; VGPRBlocks: 0
; NumSGPRsForWavesPerEU: 1
; NumVGPRsForWavesPerEU: 1
; NamedBarCnt: 0
; Occupancy: 16
; WaveLimiterHint : 0
; COMPUTE_PGM_RSRC2:SCRATCH_EN: 0
; COMPUTE_PGM_RSRC2:USER_SGPR: 2
; COMPUTE_PGM_RSRC2:TRAP_HANDLER: 0
; COMPUTE_PGM_RSRC2:TGID_X_EN: 1
; COMPUTE_PGM_RSRC2:TGID_Y_EN: 0
; COMPUTE_PGM_RSRC2:TGID_Z_EN: 0
; COMPUTE_PGM_RSRC2:TIDIG_COMP_CNT: 0
	.section	.text._ZN7rocprim17ROCPRIM_400000_NS6detail17trampoline_kernelINS0_14default_configENS1_27scan_by_key_config_selectorIiiEEZZNS1_16scan_by_key_implILNS1_25lookback_scan_determinismE0ELb0ES3_N6thrust23THRUST_200600_302600_NS18transform_iteratorI9which_rowNS9_17counting_iteratorIiNS9_11use_defaultESD_SD_EESD_SD_EENS9_6detail15normal_iteratorINS9_10device_ptrIiEEEESK_iNS9_4plusIvEENS9_8equal_toIvEEiEE10hipError_tPvRmT2_T3_T4_T5_mT6_T7_P12ihipStream_tbENKUlT_T0_E_clISt17integral_constantIbLb0EES14_IbLb1EEEEDaS10_S11_EUlS10_E_NS1_11comp_targetILNS1_3genE8ELNS1_11target_archE1030ELNS1_3gpuE2ELNS1_3repE0EEENS1_30default_config_static_selectorELNS0_4arch9wavefront6targetE0EEEvT1_,"axG",@progbits,_ZN7rocprim17ROCPRIM_400000_NS6detail17trampoline_kernelINS0_14default_configENS1_27scan_by_key_config_selectorIiiEEZZNS1_16scan_by_key_implILNS1_25lookback_scan_determinismE0ELb0ES3_N6thrust23THRUST_200600_302600_NS18transform_iteratorI9which_rowNS9_17counting_iteratorIiNS9_11use_defaultESD_SD_EESD_SD_EENS9_6detail15normal_iteratorINS9_10device_ptrIiEEEESK_iNS9_4plusIvEENS9_8equal_toIvEEiEE10hipError_tPvRmT2_T3_T4_T5_mT6_T7_P12ihipStream_tbENKUlT_T0_E_clISt17integral_constantIbLb0EES14_IbLb1EEEEDaS10_S11_EUlS10_E_NS1_11comp_targetILNS1_3genE8ELNS1_11target_archE1030ELNS1_3gpuE2ELNS1_3repE0EEENS1_30default_config_static_selectorELNS0_4arch9wavefront6targetE0EEEvT1_,comdat
	.protected	_ZN7rocprim17ROCPRIM_400000_NS6detail17trampoline_kernelINS0_14default_configENS1_27scan_by_key_config_selectorIiiEEZZNS1_16scan_by_key_implILNS1_25lookback_scan_determinismE0ELb0ES3_N6thrust23THRUST_200600_302600_NS18transform_iteratorI9which_rowNS9_17counting_iteratorIiNS9_11use_defaultESD_SD_EESD_SD_EENS9_6detail15normal_iteratorINS9_10device_ptrIiEEEESK_iNS9_4plusIvEENS9_8equal_toIvEEiEE10hipError_tPvRmT2_T3_T4_T5_mT6_T7_P12ihipStream_tbENKUlT_T0_E_clISt17integral_constantIbLb0EES14_IbLb1EEEEDaS10_S11_EUlS10_E_NS1_11comp_targetILNS1_3genE8ELNS1_11target_archE1030ELNS1_3gpuE2ELNS1_3repE0EEENS1_30default_config_static_selectorELNS0_4arch9wavefront6targetE0EEEvT1_ ; -- Begin function _ZN7rocprim17ROCPRIM_400000_NS6detail17trampoline_kernelINS0_14default_configENS1_27scan_by_key_config_selectorIiiEEZZNS1_16scan_by_key_implILNS1_25lookback_scan_determinismE0ELb0ES3_N6thrust23THRUST_200600_302600_NS18transform_iteratorI9which_rowNS9_17counting_iteratorIiNS9_11use_defaultESD_SD_EESD_SD_EENS9_6detail15normal_iteratorINS9_10device_ptrIiEEEESK_iNS9_4plusIvEENS9_8equal_toIvEEiEE10hipError_tPvRmT2_T3_T4_T5_mT6_T7_P12ihipStream_tbENKUlT_T0_E_clISt17integral_constantIbLb0EES14_IbLb1EEEEDaS10_S11_EUlS10_E_NS1_11comp_targetILNS1_3genE8ELNS1_11target_archE1030ELNS1_3gpuE2ELNS1_3repE0EEENS1_30default_config_static_selectorELNS0_4arch9wavefront6targetE0EEEvT1_
	.globl	_ZN7rocprim17ROCPRIM_400000_NS6detail17trampoline_kernelINS0_14default_configENS1_27scan_by_key_config_selectorIiiEEZZNS1_16scan_by_key_implILNS1_25lookback_scan_determinismE0ELb0ES3_N6thrust23THRUST_200600_302600_NS18transform_iteratorI9which_rowNS9_17counting_iteratorIiNS9_11use_defaultESD_SD_EESD_SD_EENS9_6detail15normal_iteratorINS9_10device_ptrIiEEEESK_iNS9_4plusIvEENS9_8equal_toIvEEiEE10hipError_tPvRmT2_T3_T4_T5_mT6_T7_P12ihipStream_tbENKUlT_T0_E_clISt17integral_constantIbLb0EES14_IbLb1EEEEDaS10_S11_EUlS10_E_NS1_11comp_targetILNS1_3genE8ELNS1_11target_archE1030ELNS1_3gpuE2ELNS1_3repE0EEENS1_30default_config_static_selectorELNS0_4arch9wavefront6targetE0EEEvT1_
	.p2align	8
	.type	_ZN7rocprim17ROCPRIM_400000_NS6detail17trampoline_kernelINS0_14default_configENS1_27scan_by_key_config_selectorIiiEEZZNS1_16scan_by_key_implILNS1_25lookback_scan_determinismE0ELb0ES3_N6thrust23THRUST_200600_302600_NS18transform_iteratorI9which_rowNS9_17counting_iteratorIiNS9_11use_defaultESD_SD_EESD_SD_EENS9_6detail15normal_iteratorINS9_10device_ptrIiEEEESK_iNS9_4plusIvEENS9_8equal_toIvEEiEE10hipError_tPvRmT2_T3_T4_T5_mT6_T7_P12ihipStream_tbENKUlT_T0_E_clISt17integral_constantIbLb0EES14_IbLb1EEEEDaS10_S11_EUlS10_E_NS1_11comp_targetILNS1_3genE8ELNS1_11target_archE1030ELNS1_3gpuE2ELNS1_3repE0EEENS1_30default_config_static_selectorELNS0_4arch9wavefront6targetE0EEEvT1_,@function
_ZN7rocprim17ROCPRIM_400000_NS6detail17trampoline_kernelINS0_14default_configENS1_27scan_by_key_config_selectorIiiEEZZNS1_16scan_by_key_implILNS1_25lookback_scan_determinismE0ELb0ES3_N6thrust23THRUST_200600_302600_NS18transform_iteratorI9which_rowNS9_17counting_iteratorIiNS9_11use_defaultESD_SD_EESD_SD_EENS9_6detail15normal_iteratorINS9_10device_ptrIiEEEESK_iNS9_4plusIvEENS9_8equal_toIvEEiEE10hipError_tPvRmT2_T3_T4_T5_mT6_T7_P12ihipStream_tbENKUlT_T0_E_clISt17integral_constantIbLb0EES14_IbLb1EEEEDaS10_S11_EUlS10_E_NS1_11comp_targetILNS1_3genE8ELNS1_11target_archE1030ELNS1_3gpuE2ELNS1_3repE0EEENS1_30default_config_static_selectorELNS0_4arch9wavefront6targetE0EEEvT1_: ; @_ZN7rocprim17ROCPRIM_400000_NS6detail17trampoline_kernelINS0_14default_configENS1_27scan_by_key_config_selectorIiiEEZZNS1_16scan_by_key_implILNS1_25lookback_scan_determinismE0ELb0ES3_N6thrust23THRUST_200600_302600_NS18transform_iteratorI9which_rowNS9_17counting_iteratorIiNS9_11use_defaultESD_SD_EESD_SD_EENS9_6detail15normal_iteratorINS9_10device_ptrIiEEEESK_iNS9_4plusIvEENS9_8equal_toIvEEiEE10hipError_tPvRmT2_T3_T4_T5_mT6_T7_P12ihipStream_tbENKUlT_T0_E_clISt17integral_constantIbLb0EES14_IbLb1EEEEDaS10_S11_EUlS10_E_NS1_11comp_targetILNS1_3genE8ELNS1_11target_archE1030ELNS1_3gpuE2ELNS1_3repE0EEENS1_30default_config_static_selectorELNS0_4arch9wavefront6targetE0EEEvT1_
; %bb.0:
	.section	.rodata,"a",@progbits
	.p2align	6, 0x0
	.amdhsa_kernel _ZN7rocprim17ROCPRIM_400000_NS6detail17trampoline_kernelINS0_14default_configENS1_27scan_by_key_config_selectorIiiEEZZNS1_16scan_by_key_implILNS1_25lookback_scan_determinismE0ELb0ES3_N6thrust23THRUST_200600_302600_NS18transform_iteratorI9which_rowNS9_17counting_iteratorIiNS9_11use_defaultESD_SD_EESD_SD_EENS9_6detail15normal_iteratorINS9_10device_ptrIiEEEESK_iNS9_4plusIvEENS9_8equal_toIvEEiEE10hipError_tPvRmT2_T3_T4_T5_mT6_T7_P12ihipStream_tbENKUlT_T0_E_clISt17integral_constantIbLb0EES14_IbLb1EEEEDaS10_S11_EUlS10_E_NS1_11comp_targetILNS1_3genE8ELNS1_11target_archE1030ELNS1_3gpuE2ELNS1_3repE0EEENS1_30default_config_static_selectorELNS0_4arch9wavefront6targetE0EEEvT1_
		.amdhsa_group_segment_fixed_size 0
		.amdhsa_private_segment_fixed_size 0
		.amdhsa_kernarg_size 112
		.amdhsa_user_sgpr_count 2
		.amdhsa_user_sgpr_dispatch_ptr 0
		.amdhsa_user_sgpr_queue_ptr 0
		.amdhsa_user_sgpr_kernarg_segment_ptr 1
		.amdhsa_user_sgpr_dispatch_id 0
		.amdhsa_user_sgpr_kernarg_preload_length 0
		.amdhsa_user_sgpr_kernarg_preload_offset 0
		.amdhsa_user_sgpr_private_segment_size 0
		.amdhsa_wavefront_size32 1
		.amdhsa_uses_dynamic_stack 0
		.amdhsa_enable_private_segment 0
		.amdhsa_system_sgpr_workgroup_id_x 1
		.amdhsa_system_sgpr_workgroup_id_y 0
		.amdhsa_system_sgpr_workgroup_id_z 0
		.amdhsa_system_sgpr_workgroup_info 0
		.amdhsa_system_vgpr_workitem_id 0
		.amdhsa_next_free_vgpr 1
		.amdhsa_next_free_sgpr 1
		.amdhsa_named_barrier_count 0
		.amdhsa_reserve_vcc 0
		.amdhsa_float_round_mode_32 0
		.amdhsa_float_round_mode_16_64 0
		.amdhsa_float_denorm_mode_32 3
		.amdhsa_float_denorm_mode_16_64 3
		.amdhsa_fp16_overflow 0
		.amdhsa_memory_ordered 1
		.amdhsa_forward_progress 1
		.amdhsa_inst_pref_size 0
		.amdhsa_round_robin_scheduling 0
		.amdhsa_exception_fp_ieee_invalid_op 0
		.amdhsa_exception_fp_denorm_src 0
		.amdhsa_exception_fp_ieee_div_zero 0
		.amdhsa_exception_fp_ieee_overflow 0
		.amdhsa_exception_fp_ieee_underflow 0
		.amdhsa_exception_fp_ieee_inexact 0
		.amdhsa_exception_int_div_zero 0
	.end_amdhsa_kernel
	.section	.text._ZN7rocprim17ROCPRIM_400000_NS6detail17trampoline_kernelINS0_14default_configENS1_27scan_by_key_config_selectorIiiEEZZNS1_16scan_by_key_implILNS1_25lookback_scan_determinismE0ELb0ES3_N6thrust23THRUST_200600_302600_NS18transform_iteratorI9which_rowNS9_17counting_iteratorIiNS9_11use_defaultESD_SD_EESD_SD_EENS9_6detail15normal_iteratorINS9_10device_ptrIiEEEESK_iNS9_4plusIvEENS9_8equal_toIvEEiEE10hipError_tPvRmT2_T3_T4_T5_mT6_T7_P12ihipStream_tbENKUlT_T0_E_clISt17integral_constantIbLb0EES14_IbLb1EEEEDaS10_S11_EUlS10_E_NS1_11comp_targetILNS1_3genE8ELNS1_11target_archE1030ELNS1_3gpuE2ELNS1_3repE0EEENS1_30default_config_static_selectorELNS0_4arch9wavefront6targetE0EEEvT1_,"axG",@progbits,_ZN7rocprim17ROCPRIM_400000_NS6detail17trampoline_kernelINS0_14default_configENS1_27scan_by_key_config_selectorIiiEEZZNS1_16scan_by_key_implILNS1_25lookback_scan_determinismE0ELb0ES3_N6thrust23THRUST_200600_302600_NS18transform_iteratorI9which_rowNS9_17counting_iteratorIiNS9_11use_defaultESD_SD_EESD_SD_EENS9_6detail15normal_iteratorINS9_10device_ptrIiEEEESK_iNS9_4plusIvEENS9_8equal_toIvEEiEE10hipError_tPvRmT2_T3_T4_T5_mT6_T7_P12ihipStream_tbENKUlT_T0_E_clISt17integral_constantIbLb0EES14_IbLb1EEEEDaS10_S11_EUlS10_E_NS1_11comp_targetILNS1_3genE8ELNS1_11target_archE1030ELNS1_3gpuE2ELNS1_3repE0EEENS1_30default_config_static_selectorELNS0_4arch9wavefront6targetE0EEEvT1_,comdat
.Lfunc_end127:
	.size	_ZN7rocprim17ROCPRIM_400000_NS6detail17trampoline_kernelINS0_14default_configENS1_27scan_by_key_config_selectorIiiEEZZNS1_16scan_by_key_implILNS1_25lookback_scan_determinismE0ELb0ES3_N6thrust23THRUST_200600_302600_NS18transform_iteratorI9which_rowNS9_17counting_iteratorIiNS9_11use_defaultESD_SD_EESD_SD_EENS9_6detail15normal_iteratorINS9_10device_ptrIiEEEESK_iNS9_4plusIvEENS9_8equal_toIvEEiEE10hipError_tPvRmT2_T3_T4_T5_mT6_T7_P12ihipStream_tbENKUlT_T0_E_clISt17integral_constantIbLb0EES14_IbLb1EEEEDaS10_S11_EUlS10_E_NS1_11comp_targetILNS1_3genE8ELNS1_11target_archE1030ELNS1_3gpuE2ELNS1_3repE0EEENS1_30default_config_static_selectorELNS0_4arch9wavefront6targetE0EEEvT1_, .Lfunc_end127-_ZN7rocprim17ROCPRIM_400000_NS6detail17trampoline_kernelINS0_14default_configENS1_27scan_by_key_config_selectorIiiEEZZNS1_16scan_by_key_implILNS1_25lookback_scan_determinismE0ELb0ES3_N6thrust23THRUST_200600_302600_NS18transform_iteratorI9which_rowNS9_17counting_iteratorIiNS9_11use_defaultESD_SD_EESD_SD_EENS9_6detail15normal_iteratorINS9_10device_ptrIiEEEESK_iNS9_4plusIvEENS9_8equal_toIvEEiEE10hipError_tPvRmT2_T3_T4_T5_mT6_T7_P12ihipStream_tbENKUlT_T0_E_clISt17integral_constantIbLb0EES14_IbLb1EEEEDaS10_S11_EUlS10_E_NS1_11comp_targetILNS1_3genE8ELNS1_11target_archE1030ELNS1_3gpuE2ELNS1_3repE0EEENS1_30default_config_static_selectorELNS0_4arch9wavefront6targetE0EEEvT1_
                                        ; -- End function
	.set _ZN7rocprim17ROCPRIM_400000_NS6detail17trampoline_kernelINS0_14default_configENS1_27scan_by_key_config_selectorIiiEEZZNS1_16scan_by_key_implILNS1_25lookback_scan_determinismE0ELb0ES3_N6thrust23THRUST_200600_302600_NS18transform_iteratorI9which_rowNS9_17counting_iteratorIiNS9_11use_defaultESD_SD_EESD_SD_EENS9_6detail15normal_iteratorINS9_10device_ptrIiEEEESK_iNS9_4plusIvEENS9_8equal_toIvEEiEE10hipError_tPvRmT2_T3_T4_T5_mT6_T7_P12ihipStream_tbENKUlT_T0_E_clISt17integral_constantIbLb0EES14_IbLb1EEEEDaS10_S11_EUlS10_E_NS1_11comp_targetILNS1_3genE8ELNS1_11target_archE1030ELNS1_3gpuE2ELNS1_3repE0EEENS1_30default_config_static_selectorELNS0_4arch9wavefront6targetE0EEEvT1_.num_vgpr, 0
	.set _ZN7rocprim17ROCPRIM_400000_NS6detail17trampoline_kernelINS0_14default_configENS1_27scan_by_key_config_selectorIiiEEZZNS1_16scan_by_key_implILNS1_25lookback_scan_determinismE0ELb0ES3_N6thrust23THRUST_200600_302600_NS18transform_iteratorI9which_rowNS9_17counting_iteratorIiNS9_11use_defaultESD_SD_EESD_SD_EENS9_6detail15normal_iteratorINS9_10device_ptrIiEEEESK_iNS9_4plusIvEENS9_8equal_toIvEEiEE10hipError_tPvRmT2_T3_T4_T5_mT6_T7_P12ihipStream_tbENKUlT_T0_E_clISt17integral_constantIbLb0EES14_IbLb1EEEEDaS10_S11_EUlS10_E_NS1_11comp_targetILNS1_3genE8ELNS1_11target_archE1030ELNS1_3gpuE2ELNS1_3repE0EEENS1_30default_config_static_selectorELNS0_4arch9wavefront6targetE0EEEvT1_.num_agpr, 0
	.set _ZN7rocprim17ROCPRIM_400000_NS6detail17trampoline_kernelINS0_14default_configENS1_27scan_by_key_config_selectorIiiEEZZNS1_16scan_by_key_implILNS1_25lookback_scan_determinismE0ELb0ES3_N6thrust23THRUST_200600_302600_NS18transform_iteratorI9which_rowNS9_17counting_iteratorIiNS9_11use_defaultESD_SD_EESD_SD_EENS9_6detail15normal_iteratorINS9_10device_ptrIiEEEESK_iNS9_4plusIvEENS9_8equal_toIvEEiEE10hipError_tPvRmT2_T3_T4_T5_mT6_T7_P12ihipStream_tbENKUlT_T0_E_clISt17integral_constantIbLb0EES14_IbLb1EEEEDaS10_S11_EUlS10_E_NS1_11comp_targetILNS1_3genE8ELNS1_11target_archE1030ELNS1_3gpuE2ELNS1_3repE0EEENS1_30default_config_static_selectorELNS0_4arch9wavefront6targetE0EEEvT1_.numbered_sgpr, 0
	.set _ZN7rocprim17ROCPRIM_400000_NS6detail17trampoline_kernelINS0_14default_configENS1_27scan_by_key_config_selectorIiiEEZZNS1_16scan_by_key_implILNS1_25lookback_scan_determinismE0ELb0ES3_N6thrust23THRUST_200600_302600_NS18transform_iteratorI9which_rowNS9_17counting_iteratorIiNS9_11use_defaultESD_SD_EESD_SD_EENS9_6detail15normal_iteratorINS9_10device_ptrIiEEEESK_iNS9_4plusIvEENS9_8equal_toIvEEiEE10hipError_tPvRmT2_T3_T4_T5_mT6_T7_P12ihipStream_tbENKUlT_T0_E_clISt17integral_constantIbLb0EES14_IbLb1EEEEDaS10_S11_EUlS10_E_NS1_11comp_targetILNS1_3genE8ELNS1_11target_archE1030ELNS1_3gpuE2ELNS1_3repE0EEENS1_30default_config_static_selectorELNS0_4arch9wavefront6targetE0EEEvT1_.num_named_barrier, 0
	.set _ZN7rocprim17ROCPRIM_400000_NS6detail17trampoline_kernelINS0_14default_configENS1_27scan_by_key_config_selectorIiiEEZZNS1_16scan_by_key_implILNS1_25lookback_scan_determinismE0ELb0ES3_N6thrust23THRUST_200600_302600_NS18transform_iteratorI9which_rowNS9_17counting_iteratorIiNS9_11use_defaultESD_SD_EESD_SD_EENS9_6detail15normal_iteratorINS9_10device_ptrIiEEEESK_iNS9_4plusIvEENS9_8equal_toIvEEiEE10hipError_tPvRmT2_T3_T4_T5_mT6_T7_P12ihipStream_tbENKUlT_T0_E_clISt17integral_constantIbLb0EES14_IbLb1EEEEDaS10_S11_EUlS10_E_NS1_11comp_targetILNS1_3genE8ELNS1_11target_archE1030ELNS1_3gpuE2ELNS1_3repE0EEENS1_30default_config_static_selectorELNS0_4arch9wavefront6targetE0EEEvT1_.private_seg_size, 0
	.set _ZN7rocprim17ROCPRIM_400000_NS6detail17trampoline_kernelINS0_14default_configENS1_27scan_by_key_config_selectorIiiEEZZNS1_16scan_by_key_implILNS1_25lookback_scan_determinismE0ELb0ES3_N6thrust23THRUST_200600_302600_NS18transform_iteratorI9which_rowNS9_17counting_iteratorIiNS9_11use_defaultESD_SD_EESD_SD_EENS9_6detail15normal_iteratorINS9_10device_ptrIiEEEESK_iNS9_4plusIvEENS9_8equal_toIvEEiEE10hipError_tPvRmT2_T3_T4_T5_mT6_T7_P12ihipStream_tbENKUlT_T0_E_clISt17integral_constantIbLb0EES14_IbLb1EEEEDaS10_S11_EUlS10_E_NS1_11comp_targetILNS1_3genE8ELNS1_11target_archE1030ELNS1_3gpuE2ELNS1_3repE0EEENS1_30default_config_static_selectorELNS0_4arch9wavefront6targetE0EEEvT1_.uses_vcc, 0
	.set _ZN7rocprim17ROCPRIM_400000_NS6detail17trampoline_kernelINS0_14default_configENS1_27scan_by_key_config_selectorIiiEEZZNS1_16scan_by_key_implILNS1_25lookback_scan_determinismE0ELb0ES3_N6thrust23THRUST_200600_302600_NS18transform_iteratorI9which_rowNS9_17counting_iteratorIiNS9_11use_defaultESD_SD_EESD_SD_EENS9_6detail15normal_iteratorINS9_10device_ptrIiEEEESK_iNS9_4plusIvEENS9_8equal_toIvEEiEE10hipError_tPvRmT2_T3_T4_T5_mT6_T7_P12ihipStream_tbENKUlT_T0_E_clISt17integral_constantIbLb0EES14_IbLb1EEEEDaS10_S11_EUlS10_E_NS1_11comp_targetILNS1_3genE8ELNS1_11target_archE1030ELNS1_3gpuE2ELNS1_3repE0EEENS1_30default_config_static_selectorELNS0_4arch9wavefront6targetE0EEEvT1_.uses_flat_scratch, 0
	.set _ZN7rocprim17ROCPRIM_400000_NS6detail17trampoline_kernelINS0_14default_configENS1_27scan_by_key_config_selectorIiiEEZZNS1_16scan_by_key_implILNS1_25lookback_scan_determinismE0ELb0ES3_N6thrust23THRUST_200600_302600_NS18transform_iteratorI9which_rowNS9_17counting_iteratorIiNS9_11use_defaultESD_SD_EESD_SD_EENS9_6detail15normal_iteratorINS9_10device_ptrIiEEEESK_iNS9_4plusIvEENS9_8equal_toIvEEiEE10hipError_tPvRmT2_T3_T4_T5_mT6_T7_P12ihipStream_tbENKUlT_T0_E_clISt17integral_constantIbLb0EES14_IbLb1EEEEDaS10_S11_EUlS10_E_NS1_11comp_targetILNS1_3genE8ELNS1_11target_archE1030ELNS1_3gpuE2ELNS1_3repE0EEENS1_30default_config_static_selectorELNS0_4arch9wavefront6targetE0EEEvT1_.has_dyn_sized_stack, 0
	.set _ZN7rocprim17ROCPRIM_400000_NS6detail17trampoline_kernelINS0_14default_configENS1_27scan_by_key_config_selectorIiiEEZZNS1_16scan_by_key_implILNS1_25lookback_scan_determinismE0ELb0ES3_N6thrust23THRUST_200600_302600_NS18transform_iteratorI9which_rowNS9_17counting_iteratorIiNS9_11use_defaultESD_SD_EESD_SD_EENS9_6detail15normal_iteratorINS9_10device_ptrIiEEEESK_iNS9_4plusIvEENS9_8equal_toIvEEiEE10hipError_tPvRmT2_T3_T4_T5_mT6_T7_P12ihipStream_tbENKUlT_T0_E_clISt17integral_constantIbLb0EES14_IbLb1EEEEDaS10_S11_EUlS10_E_NS1_11comp_targetILNS1_3genE8ELNS1_11target_archE1030ELNS1_3gpuE2ELNS1_3repE0EEENS1_30default_config_static_selectorELNS0_4arch9wavefront6targetE0EEEvT1_.has_recursion, 0
	.set _ZN7rocprim17ROCPRIM_400000_NS6detail17trampoline_kernelINS0_14default_configENS1_27scan_by_key_config_selectorIiiEEZZNS1_16scan_by_key_implILNS1_25lookback_scan_determinismE0ELb0ES3_N6thrust23THRUST_200600_302600_NS18transform_iteratorI9which_rowNS9_17counting_iteratorIiNS9_11use_defaultESD_SD_EESD_SD_EENS9_6detail15normal_iteratorINS9_10device_ptrIiEEEESK_iNS9_4plusIvEENS9_8equal_toIvEEiEE10hipError_tPvRmT2_T3_T4_T5_mT6_T7_P12ihipStream_tbENKUlT_T0_E_clISt17integral_constantIbLb0EES14_IbLb1EEEEDaS10_S11_EUlS10_E_NS1_11comp_targetILNS1_3genE8ELNS1_11target_archE1030ELNS1_3gpuE2ELNS1_3repE0EEENS1_30default_config_static_selectorELNS0_4arch9wavefront6targetE0EEEvT1_.has_indirect_call, 0
	.section	.AMDGPU.csdata,"",@progbits
; Kernel info:
; codeLenInByte = 0
; TotalNumSgprs: 0
; NumVgprs: 0
; ScratchSize: 0
; MemoryBound: 0
; FloatMode: 240
; IeeeMode: 1
; LDSByteSize: 0 bytes/workgroup (compile time only)
; SGPRBlocks: 0
; VGPRBlocks: 0
; NumSGPRsForWavesPerEU: 1
; NumVGPRsForWavesPerEU: 1
; NamedBarCnt: 0
; Occupancy: 16
; WaveLimiterHint : 0
; COMPUTE_PGM_RSRC2:SCRATCH_EN: 0
; COMPUTE_PGM_RSRC2:USER_SGPR: 2
; COMPUTE_PGM_RSRC2:TRAP_HANDLER: 0
; COMPUTE_PGM_RSRC2:TGID_X_EN: 1
; COMPUTE_PGM_RSRC2:TGID_Y_EN: 0
; COMPUTE_PGM_RSRC2:TGID_Z_EN: 0
; COMPUTE_PGM_RSRC2:TIDIG_COMP_CNT: 0
	.section	.text._ZN6thrust23THRUST_200600_302600_NS11hip_rocprim14__parallel_for6kernelILj256ENS1_20__uninitialized_fill7functorINS0_10device_ptrIiEEiEEmLj1EEEvT0_T1_SA_,"axG",@progbits,_ZN6thrust23THRUST_200600_302600_NS11hip_rocprim14__parallel_for6kernelILj256ENS1_20__uninitialized_fill7functorINS0_10device_ptrIiEEiEEmLj1EEEvT0_T1_SA_,comdat
	.protected	_ZN6thrust23THRUST_200600_302600_NS11hip_rocprim14__parallel_for6kernelILj256ENS1_20__uninitialized_fill7functorINS0_10device_ptrIiEEiEEmLj1EEEvT0_T1_SA_ ; -- Begin function _ZN6thrust23THRUST_200600_302600_NS11hip_rocprim14__parallel_for6kernelILj256ENS1_20__uninitialized_fill7functorINS0_10device_ptrIiEEiEEmLj1EEEvT0_T1_SA_
	.globl	_ZN6thrust23THRUST_200600_302600_NS11hip_rocprim14__parallel_for6kernelILj256ENS1_20__uninitialized_fill7functorINS0_10device_ptrIiEEiEEmLj1EEEvT0_T1_SA_
	.p2align	8
	.type	_ZN6thrust23THRUST_200600_302600_NS11hip_rocprim14__parallel_for6kernelILj256ENS1_20__uninitialized_fill7functorINS0_10device_ptrIiEEiEEmLj1EEEvT0_T1_SA_,@function
_ZN6thrust23THRUST_200600_302600_NS11hip_rocprim14__parallel_for6kernelILj256ENS1_20__uninitialized_fill7functorINS0_10device_ptrIiEEiEEmLj1EEEvT0_T1_SA_: ; @_ZN6thrust23THRUST_200600_302600_NS11hip_rocprim14__parallel_for6kernelILj256ENS1_20__uninitialized_fill7functorINS0_10device_ptrIiEEiEEmLj1EEEvT0_T1_SA_
; %bb.0:
	s_load_b128 s[8:11], s[0:1], 0x10
	s_bfe_u32 s2, ttmp6, 0x4000c
	s_and_b32 s3, ttmp6, 15
	s_add_co_i32 s2, s2, 1
	s_getreg_b32 s4, hwreg(HW_REG_IB_STS2, 6, 4)
	s_mul_i32 s2, ttmp9, s2
	s_delay_alu instid0(SALU_CYCLE_1)
	s_add_co_i32 s3, s3, s2
	s_cmp_eq_u32 s4, 0
	s_load_b96 s[4:6], s[0:1], 0x0
	s_wait_xcnt 0x0
	s_cselect_b32 s0, ttmp9, s3
	s_mov_b32 s1, 0
	s_lshl_b32 s0, s0, 8
	s_wait_kmcnt 0x0
	s_add_nc_u64 s[0:1], s[10:11], s[0:1]
	s_delay_alu instid0(SALU_CYCLE_1) | instskip(NEXT) | instid1(SALU_CYCLE_1)
	s_sub_nc_u64 s[2:3], s[8:9], s[0:1]
	v_cmp_lt_u64_e64 s3, 0xff, s[2:3]
	s_and_b32 vcc_lo, exec_lo, s3
	s_mov_b32 s3, -1
	s_cbranch_vccz .LBB128_3
; %bb.1:
	s_and_not1_b32 vcc_lo, exec_lo, s3
	s_cbranch_vccz .LBB128_6
.LBB128_2:
	s_endpgm
.LBB128_3:
	v_cmp_gt_u32_e32 vcc_lo, s2, v0
	s_and_saveexec_b32 s2, vcc_lo
	s_cbranch_execz .LBB128_5
; %bb.4:
	v_mov_b32_e32 v1, s6
	s_lshl_b64 s[8:9], s[0:1], 2
	s_delay_alu instid0(SALU_CYCLE_1)
	s_add_nc_u64 s[8:9], s[4:5], s[8:9]
	flat_store_b32 v0, v1, s[8:9] scale_offset
.LBB128_5:
	s_wait_xcnt 0x0
	s_or_b32 exec_lo, exec_lo, s2
	s_cbranch_execnz .LBB128_2
.LBB128_6:
	v_mov_b32_e32 v1, s6
	s_lshl_b64 s[0:1], s[0:1], 2
	s_delay_alu instid0(SALU_CYCLE_1)
	s_add_nc_u64 s[0:1], s[4:5], s[0:1]
	flat_store_b32 v0, v1, s[0:1] scale_offset
	s_endpgm
	.section	.rodata,"a",@progbits
	.p2align	6, 0x0
	.amdhsa_kernel _ZN6thrust23THRUST_200600_302600_NS11hip_rocprim14__parallel_for6kernelILj256ENS1_20__uninitialized_fill7functorINS0_10device_ptrIiEEiEEmLj1EEEvT0_T1_SA_
		.amdhsa_group_segment_fixed_size 0
		.amdhsa_private_segment_fixed_size 0
		.amdhsa_kernarg_size 32
		.amdhsa_user_sgpr_count 2
		.amdhsa_user_sgpr_dispatch_ptr 0
		.amdhsa_user_sgpr_queue_ptr 0
		.amdhsa_user_sgpr_kernarg_segment_ptr 1
		.amdhsa_user_sgpr_dispatch_id 0
		.amdhsa_user_sgpr_kernarg_preload_length 0
		.amdhsa_user_sgpr_kernarg_preload_offset 0
		.amdhsa_user_sgpr_private_segment_size 0
		.amdhsa_wavefront_size32 1
		.amdhsa_uses_dynamic_stack 0
		.amdhsa_enable_private_segment 0
		.amdhsa_system_sgpr_workgroup_id_x 1
		.amdhsa_system_sgpr_workgroup_id_y 0
		.amdhsa_system_sgpr_workgroup_id_z 0
		.amdhsa_system_sgpr_workgroup_info 0
		.amdhsa_system_vgpr_workitem_id 0
		.amdhsa_next_free_vgpr 2
		.amdhsa_next_free_sgpr 12
		.amdhsa_named_barrier_count 0
		.amdhsa_reserve_vcc 1
		.amdhsa_float_round_mode_32 0
		.amdhsa_float_round_mode_16_64 0
		.amdhsa_float_denorm_mode_32 3
		.amdhsa_float_denorm_mode_16_64 3
		.amdhsa_fp16_overflow 0
		.amdhsa_memory_ordered 1
		.amdhsa_forward_progress 1
		.amdhsa_inst_pref_size 2
		.amdhsa_round_robin_scheduling 0
		.amdhsa_exception_fp_ieee_invalid_op 0
		.amdhsa_exception_fp_denorm_src 0
		.amdhsa_exception_fp_ieee_div_zero 0
		.amdhsa_exception_fp_ieee_overflow 0
		.amdhsa_exception_fp_ieee_underflow 0
		.amdhsa_exception_fp_ieee_inexact 0
		.amdhsa_exception_int_div_zero 0
	.end_amdhsa_kernel
	.section	.text._ZN6thrust23THRUST_200600_302600_NS11hip_rocprim14__parallel_for6kernelILj256ENS1_20__uninitialized_fill7functorINS0_10device_ptrIiEEiEEmLj1EEEvT0_T1_SA_,"axG",@progbits,_ZN6thrust23THRUST_200600_302600_NS11hip_rocprim14__parallel_for6kernelILj256ENS1_20__uninitialized_fill7functorINS0_10device_ptrIiEEiEEmLj1EEEvT0_T1_SA_,comdat
.Lfunc_end128:
	.size	_ZN6thrust23THRUST_200600_302600_NS11hip_rocprim14__parallel_for6kernelILj256ENS1_20__uninitialized_fill7functorINS0_10device_ptrIiEEiEEmLj1EEEvT0_T1_SA_, .Lfunc_end128-_ZN6thrust23THRUST_200600_302600_NS11hip_rocprim14__parallel_for6kernelILj256ENS1_20__uninitialized_fill7functorINS0_10device_ptrIiEEiEEmLj1EEEvT0_T1_SA_
                                        ; -- End function
	.set _ZN6thrust23THRUST_200600_302600_NS11hip_rocprim14__parallel_for6kernelILj256ENS1_20__uninitialized_fill7functorINS0_10device_ptrIiEEiEEmLj1EEEvT0_T1_SA_.num_vgpr, 2
	.set _ZN6thrust23THRUST_200600_302600_NS11hip_rocprim14__parallel_for6kernelILj256ENS1_20__uninitialized_fill7functorINS0_10device_ptrIiEEiEEmLj1EEEvT0_T1_SA_.num_agpr, 0
	.set _ZN6thrust23THRUST_200600_302600_NS11hip_rocprim14__parallel_for6kernelILj256ENS1_20__uninitialized_fill7functorINS0_10device_ptrIiEEiEEmLj1EEEvT0_T1_SA_.numbered_sgpr, 12
	.set _ZN6thrust23THRUST_200600_302600_NS11hip_rocprim14__parallel_for6kernelILj256ENS1_20__uninitialized_fill7functorINS0_10device_ptrIiEEiEEmLj1EEEvT0_T1_SA_.num_named_barrier, 0
	.set _ZN6thrust23THRUST_200600_302600_NS11hip_rocprim14__parallel_for6kernelILj256ENS1_20__uninitialized_fill7functorINS0_10device_ptrIiEEiEEmLj1EEEvT0_T1_SA_.private_seg_size, 0
	.set _ZN6thrust23THRUST_200600_302600_NS11hip_rocprim14__parallel_for6kernelILj256ENS1_20__uninitialized_fill7functorINS0_10device_ptrIiEEiEEmLj1EEEvT0_T1_SA_.uses_vcc, 1
	.set _ZN6thrust23THRUST_200600_302600_NS11hip_rocprim14__parallel_for6kernelILj256ENS1_20__uninitialized_fill7functorINS0_10device_ptrIiEEiEEmLj1EEEvT0_T1_SA_.uses_flat_scratch, 0
	.set _ZN6thrust23THRUST_200600_302600_NS11hip_rocprim14__parallel_for6kernelILj256ENS1_20__uninitialized_fill7functorINS0_10device_ptrIiEEiEEmLj1EEEvT0_T1_SA_.has_dyn_sized_stack, 0
	.set _ZN6thrust23THRUST_200600_302600_NS11hip_rocprim14__parallel_for6kernelILj256ENS1_20__uninitialized_fill7functorINS0_10device_ptrIiEEiEEmLj1EEEvT0_T1_SA_.has_recursion, 0
	.set _ZN6thrust23THRUST_200600_302600_NS11hip_rocprim14__parallel_for6kernelILj256ENS1_20__uninitialized_fill7functorINS0_10device_ptrIiEEiEEmLj1EEEvT0_T1_SA_.has_indirect_call, 0
	.section	.AMDGPU.csdata,"",@progbits
; Kernel info:
; codeLenInByte = 204
; TotalNumSgprs: 14
; NumVgprs: 2
; ScratchSize: 0
; MemoryBound: 0
; FloatMode: 240
; IeeeMode: 1
; LDSByteSize: 0 bytes/workgroup (compile time only)
; SGPRBlocks: 0
; VGPRBlocks: 0
; NumSGPRsForWavesPerEU: 14
; NumVGPRsForWavesPerEU: 2
; NamedBarCnt: 0
; Occupancy: 16
; WaveLimiterHint : 0
; COMPUTE_PGM_RSRC2:SCRATCH_EN: 0
; COMPUTE_PGM_RSRC2:USER_SGPR: 2
; COMPUTE_PGM_RSRC2:TRAP_HANDLER: 0
; COMPUTE_PGM_RSRC2:TGID_X_EN: 1
; COMPUTE_PGM_RSRC2:TGID_Y_EN: 0
; COMPUTE_PGM_RSRC2:TGID_Z_EN: 0
; COMPUTE_PGM_RSRC2:TIDIG_COMP_CNT: 0
	.section	.text._ZN6thrust23THRUST_200600_302600_NS11hip_rocprim14__parallel_for6kernelILj256ENS1_10__tabulate7functorINS0_6detail15normal_iteratorINS0_10device_ptrIiEEEENS0_6system6detail7generic6detail22compute_sequence_valueIivEElEElLj1EEEvT0_T1_SJ_,"axG",@progbits,_ZN6thrust23THRUST_200600_302600_NS11hip_rocprim14__parallel_for6kernelILj256ENS1_10__tabulate7functorINS0_6detail15normal_iteratorINS0_10device_ptrIiEEEENS0_6system6detail7generic6detail22compute_sequence_valueIivEElEElLj1EEEvT0_T1_SJ_,comdat
	.protected	_ZN6thrust23THRUST_200600_302600_NS11hip_rocprim14__parallel_for6kernelILj256ENS1_10__tabulate7functorINS0_6detail15normal_iteratorINS0_10device_ptrIiEEEENS0_6system6detail7generic6detail22compute_sequence_valueIivEElEElLj1EEEvT0_T1_SJ_ ; -- Begin function _ZN6thrust23THRUST_200600_302600_NS11hip_rocprim14__parallel_for6kernelILj256ENS1_10__tabulate7functorINS0_6detail15normal_iteratorINS0_10device_ptrIiEEEENS0_6system6detail7generic6detail22compute_sequence_valueIivEElEElLj1EEEvT0_T1_SJ_
	.globl	_ZN6thrust23THRUST_200600_302600_NS11hip_rocprim14__parallel_for6kernelILj256ENS1_10__tabulate7functorINS0_6detail15normal_iteratorINS0_10device_ptrIiEEEENS0_6system6detail7generic6detail22compute_sequence_valueIivEElEElLj1EEEvT0_T1_SJ_
	.p2align	8
	.type	_ZN6thrust23THRUST_200600_302600_NS11hip_rocprim14__parallel_for6kernelILj256ENS1_10__tabulate7functorINS0_6detail15normal_iteratorINS0_10device_ptrIiEEEENS0_6system6detail7generic6detail22compute_sequence_valueIivEElEElLj1EEEvT0_T1_SJ_,@function
_ZN6thrust23THRUST_200600_302600_NS11hip_rocprim14__parallel_for6kernelILj256ENS1_10__tabulate7functorINS0_6detail15normal_iteratorINS0_10device_ptrIiEEEENS0_6system6detail7generic6detail22compute_sequence_valueIivEElEElLj1EEEvT0_T1_SJ_: ; @_ZN6thrust23THRUST_200600_302600_NS11hip_rocprim14__parallel_for6kernelILj256ENS1_10__tabulate7functorINS0_6detail15normal_iteratorINS0_10device_ptrIiEEEENS0_6system6detail7generic6detail22compute_sequence_valueIivEElEElLj1EEEvT0_T1_SJ_
; %bb.0:
	s_load_b256 s[4:11], s[0:1], 0x0
	s_wait_xcnt 0x0
	s_bfe_u32 s0, ttmp6, 0x4000c
	s_and_b32 s1, ttmp6, 15
	s_add_co_i32 s0, s0, 1
	s_getreg_b32 s2, hwreg(HW_REG_IB_STS2, 6, 4)
	s_mul_i32 s0, ttmp9, s0
	s_delay_alu instid0(SALU_CYCLE_1)
	s_add_co_i32 s1, s1, s0
	s_cmp_eq_u32 s2, 0
	s_cselect_b32 s0, ttmp9, s1
	s_mov_b32 s1, 0
	s_lshl_b32 s0, s0, 8
	s_wait_kmcnt 0x0
	s_add_nc_u64 s[0:1], s[10:11], s[0:1]
	s_delay_alu instid0(SALU_CYCLE_1) | instskip(NEXT) | instid1(SALU_CYCLE_1)
	s_sub_nc_u64 s[2:3], s[8:9], s[0:1]
	v_min_i64 v[2:3], 0x100, s[2:3]
	s_mov_b32 s2, -1
	s_delay_alu instid0(VALU_DEP_1)
	v_cmp_eq_u32_e32 vcc_lo, 0x100, v2
	s_cbranch_vccz .LBB129_3
; %bb.1:
	s_and_not1_b32 vcc_lo, exec_lo, s2
	s_cbranch_vccz .LBB129_6
.LBB129_2:
	s_endpgm
.LBB129_3:
	s_mov_b32 s2, exec_lo
	v_cmpx_lt_u32_e64 v0, v2
	s_cbranch_execz .LBB129_5
; %bb.4:
	v_mov_b32_e32 v1, 0
	s_delay_alu instid0(VALU_DEP_1) | instskip(NEXT) | instid1(VALU_DEP_1)
	v_add_nc_u64_e32 v[2:3], s[0:1], v[0:1]
	v_mad_u32 v1, s7, v2, s6
	s_delay_alu instid0(VALU_DEP_2)
	v_lshl_add_u64 v[2:3], v[2:3], 2, s[4:5]
	flat_store_b32 v[2:3], v1
.LBB129_5:
	s_wait_xcnt 0x0
	s_or_b32 exec_lo, exec_lo, s2
	s_cbranch_execnz .LBB129_2
.LBB129_6:
	v_mov_b32_e32 v1, 0
	s_delay_alu instid0(VALU_DEP_1) | instskip(NEXT) | instid1(VALU_DEP_1)
	v_add_nc_u64_e32 v[0:1], s[0:1], v[0:1]
	v_mad_u32 v2, s7, v0, s6
	s_delay_alu instid0(VALU_DEP_2)
	v_lshl_add_u64 v[0:1], v[0:1], 2, s[4:5]
	flat_store_b32 v[0:1], v2
	s_endpgm
	.section	.rodata,"a",@progbits
	.p2align	6, 0x0
	.amdhsa_kernel _ZN6thrust23THRUST_200600_302600_NS11hip_rocprim14__parallel_for6kernelILj256ENS1_10__tabulate7functorINS0_6detail15normal_iteratorINS0_10device_ptrIiEEEENS0_6system6detail7generic6detail22compute_sequence_valueIivEElEElLj1EEEvT0_T1_SJ_
		.amdhsa_group_segment_fixed_size 0
		.amdhsa_private_segment_fixed_size 0
		.amdhsa_kernarg_size 32
		.amdhsa_user_sgpr_count 2
		.amdhsa_user_sgpr_dispatch_ptr 0
		.amdhsa_user_sgpr_queue_ptr 0
		.amdhsa_user_sgpr_kernarg_segment_ptr 1
		.amdhsa_user_sgpr_dispatch_id 0
		.amdhsa_user_sgpr_kernarg_preload_length 0
		.amdhsa_user_sgpr_kernarg_preload_offset 0
		.amdhsa_user_sgpr_private_segment_size 0
		.amdhsa_wavefront_size32 1
		.amdhsa_uses_dynamic_stack 0
		.amdhsa_enable_private_segment 0
		.amdhsa_system_sgpr_workgroup_id_x 1
		.amdhsa_system_sgpr_workgroup_id_y 0
		.amdhsa_system_sgpr_workgroup_id_z 0
		.amdhsa_system_sgpr_workgroup_info 0
		.amdhsa_system_vgpr_workitem_id 0
		.amdhsa_next_free_vgpr 4
		.amdhsa_next_free_sgpr 12
		.amdhsa_named_barrier_count 0
		.amdhsa_reserve_vcc 1
		.amdhsa_float_round_mode_32 0
		.amdhsa_float_round_mode_16_64 0
		.amdhsa_float_denorm_mode_32 3
		.amdhsa_float_denorm_mode_16_64 3
		.amdhsa_fp16_overflow 0
		.amdhsa_memory_ordered 1
		.amdhsa_forward_progress 1
		.amdhsa_inst_pref_size 2
		.amdhsa_round_robin_scheduling 0
		.amdhsa_exception_fp_ieee_invalid_op 0
		.amdhsa_exception_fp_denorm_src 0
		.amdhsa_exception_fp_ieee_div_zero 0
		.amdhsa_exception_fp_ieee_overflow 0
		.amdhsa_exception_fp_ieee_underflow 0
		.amdhsa_exception_fp_ieee_inexact 0
		.amdhsa_exception_int_div_zero 0
	.end_amdhsa_kernel
	.section	.text._ZN6thrust23THRUST_200600_302600_NS11hip_rocprim14__parallel_for6kernelILj256ENS1_10__tabulate7functorINS0_6detail15normal_iteratorINS0_10device_ptrIiEEEENS0_6system6detail7generic6detail22compute_sequence_valueIivEElEElLj1EEEvT0_T1_SJ_,"axG",@progbits,_ZN6thrust23THRUST_200600_302600_NS11hip_rocprim14__parallel_for6kernelILj256ENS1_10__tabulate7functorINS0_6detail15normal_iteratorINS0_10device_ptrIiEEEENS0_6system6detail7generic6detail22compute_sequence_valueIivEElEElLj1EEEvT0_T1_SJ_,comdat
.Lfunc_end129:
	.size	_ZN6thrust23THRUST_200600_302600_NS11hip_rocprim14__parallel_for6kernelILj256ENS1_10__tabulate7functorINS0_6detail15normal_iteratorINS0_10device_ptrIiEEEENS0_6system6detail7generic6detail22compute_sequence_valueIivEElEElLj1EEEvT0_T1_SJ_, .Lfunc_end129-_ZN6thrust23THRUST_200600_302600_NS11hip_rocprim14__parallel_for6kernelILj256ENS1_10__tabulate7functorINS0_6detail15normal_iteratorINS0_10device_ptrIiEEEENS0_6system6detail7generic6detail22compute_sequence_valueIivEElEElLj1EEEvT0_T1_SJ_
                                        ; -- End function
	.set _ZN6thrust23THRUST_200600_302600_NS11hip_rocprim14__parallel_for6kernelILj256ENS1_10__tabulate7functorINS0_6detail15normal_iteratorINS0_10device_ptrIiEEEENS0_6system6detail7generic6detail22compute_sequence_valueIivEElEElLj1EEEvT0_T1_SJ_.num_vgpr, 4
	.set _ZN6thrust23THRUST_200600_302600_NS11hip_rocprim14__parallel_for6kernelILj256ENS1_10__tabulate7functorINS0_6detail15normal_iteratorINS0_10device_ptrIiEEEENS0_6system6detail7generic6detail22compute_sequence_valueIivEElEElLj1EEEvT0_T1_SJ_.num_agpr, 0
	.set _ZN6thrust23THRUST_200600_302600_NS11hip_rocprim14__parallel_for6kernelILj256ENS1_10__tabulate7functorINS0_6detail15normal_iteratorINS0_10device_ptrIiEEEENS0_6system6detail7generic6detail22compute_sequence_valueIivEElEElLj1EEEvT0_T1_SJ_.numbered_sgpr, 12
	.set _ZN6thrust23THRUST_200600_302600_NS11hip_rocprim14__parallel_for6kernelILj256ENS1_10__tabulate7functorINS0_6detail15normal_iteratorINS0_10device_ptrIiEEEENS0_6system6detail7generic6detail22compute_sequence_valueIivEElEElLj1EEEvT0_T1_SJ_.num_named_barrier, 0
	.set _ZN6thrust23THRUST_200600_302600_NS11hip_rocprim14__parallel_for6kernelILj256ENS1_10__tabulate7functorINS0_6detail15normal_iteratorINS0_10device_ptrIiEEEENS0_6system6detail7generic6detail22compute_sequence_valueIivEElEElLj1EEEvT0_T1_SJ_.private_seg_size, 0
	.set _ZN6thrust23THRUST_200600_302600_NS11hip_rocprim14__parallel_for6kernelILj256ENS1_10__tabulate7functorINS0_6detail15normal_iteratorINS0_10device_ptrIiEEEENS0_6system6detail7generic6detail22compute_sequence_valueIivEElEElLj1EEEvT0_T1_SJ_.uses_vcc, 1
	.set _ZN6thrust23THRUST_200600_302600_NS11hip_rocprim14__parallel_for6kernelILj256ENS1_10__tabulate7functorINS0_6detail15normal_iteratorINS0_10device_ptrIiEEEENS0_6system6detail7generic6detail22compute_sequence_valueIivEElEElLj1EEEvT0_T1_SJ_.uses_flat_scratch, 0
	.set _ZN6thrust23THRUST_200600_302600_NS11hip_rocprim14__parallel_for6kernelILj256ENS1_10__tabulate7functorINS0_6detail15normal_iteratorINS0_10device_ptrIiEEEENS0_6system6detail7generic6detail22compute_sequence_valueIivEElEElLj1EEEvT0_T1_SJ_.has_dyn_sized_stack, 0
	.set _ZN6thrust23THRUST_200600_302600_NS11hip_rocprim14__parallel_for6kernelILj256ENS1_10__tabulate7functorINS0_6detail15normal_iteratorINS0_10device_ptrIiEEEENS0_6system6detail7generic6detail22compute_sequence_valueIivEElEElLj1EEEvT0_T1_SJ_.has_recursion, 0
	.set _ZN6thrust23THRUST_200600_302600_NS11hip_rocprim14__parallel_for6kernelILj256ENS1_10__tabulate7functorINS0_6detail15normal_iteratorINS0_10device_ptrIiEEEENS0_6system6detail7generic6detail22compute_sequence_valueIivEElEElLj1EEEvT0_T1_SJ_.has_indirect_call, 0
	.section	.AMDGPU.csdata,"",@progbits
; Kernel info:
; codeLenInByte = 240
; TotalNumSgprs: 14
; NumVgprs: 4
; ScratchSize: 0
; MemoryBound: 0
; FloatMode: 240
; IeeeMode: 1
; LDSByteSize: 0 bytes/workgroup (compile time only)
; SGPRBlocks: 0
; VGPRBlocks: 0
; NumSGPRsForWavesPerEU: 14
; NumVGPRsForWavesPerEU: 4
; NamedBarCnt: 0
; Occupancy: 16
; WaveLimiterHint : 0
; COMPUTE_PGM_RSRC2:SCRATCH_EN: 0
; COMPUTE_PGM_RSRC2:USER_SGPR: 2
; COMPUTE_PGM_RSRC2:TRAP_HANDLER: 0
; COMPUTE_PGM_RSRC2:TGID_X_EN: 1
; COMPUTE_PGM_RSRC2:TGID_Y_EN: 0
; COMPUTE_PGM_RSRC2:TGID_Z_EN: 0
; COMPUTE_PGM_RSRC2:TIDIG_COMP_CNT: 0
	.section	.AMDGPU.gpr_maximums,"",@progbits
	.set amdgpu.max_num_vgpr, 0
	.set amdgpu.max_num_agpr, 0
	.set amdgpu.max_num_sgpr, 0
	.section	.AMDGPU.csdata,"",@progbits
	.type	__hip_cuid_d6788438a6432fe9,@object ; @__hip_cuid_d6788438a6432fe9
	.section	.bss,"aw",@nobits
	.globl	__hip_cuid_d6788438a6432fe9
__hip_cuid_d6788438a6432fe9:
	.byte	0                               ; 0x0
	.size	__hip_cuid_d6788438a6432fe9, 1

	.ident	"AMD clang version 22.0.0git (https://github.com/RadeonOpenCompute/llvm-project roc-7.2.4 26084 f58b06dce1f9c15707c5f808fd002e18c2accf7e)"
	.section	".note.GNU-stack","",@progbits
	.addrsig
	.addrsig_sym __hip_cuid_d6788438a6432fe9
	.amdgpu_metadata
---
amdhsa.kernels:
  - .args:
      - .address_space:  global
        .offset:         0
        .size:           8
        .value_kind:     global_buffer
      - .offset:         8
        .size:           4
        .value_kind:     by_value
      - .offset:         12
        .size:           1
        .value_kind:     by_value
      - .offset:         16
        .size:           4
        .value_kind:     by_value
      - .address_space:  global
        .offset:         24
        .size:           8
        .value_kind:     global_buffer
      - .offset:         32
        .size:           4
        .value_kind:     hidden_block_count_x
      - .offset:         36
        .size:           4
        .value_kind:     hidden_block_count_y
      - .offset:         40
        .size:           4
        .value_kind:     hidden_block_count_z
      - .offset:         44
        .size:           2
        .value_kind:     hidden_group_size_x
      - .offset:         46
        .size:           2
        .value_kind:     hidden_group_size_y
      - .offset:         48
        .size:           2
        .value_kind:     hidden_group_size_z
      - .offset:         50
        .size:           2
        .value_kind:     hidden_remainder_x
      - .offset:         52
        .size:           2
        .value_kind:     hidden_remainder_y
      - .offset:         54
        .size:           2
        .value_kind:     hidden_remainder_z
      - .offset:         72
        .size:           8
        .value_kind:     hidden_global_offset_x
      - .offset:         80
        .size:           8
        .value_kind:     hidden_global_offset_y
      - .offset:         88
        .size:           8
        .value_kind:     hidden_global_offset_z
      - .offset:         96
        .size:           2
        .value_kind:     hidden_grid_dims
    .group_segment_fixed_size: 0
    .kernarg_segment_align: 8
    .kernarg_segment_size: 288
    .language:       OpenCL C
    .language_version:
      - 2
      - 0
    .max_flat_workgroup_size: 256
    .name:           _ZN7rocprim17ROCPRIM_400000_NS6detail31init_lookback_scan_state_kernelINS1_19lookback_scan_stateIiLb0ELb1EEENS1_16block_id_wrapperIjLb0EEEEEvT_jT0_jPNS7_10value_typeE
    .private_segment_fixed_size: 0
    .sgpr_count:     13
    .sgpr_spill_count: 0
    .symbol:         _ZN7rocprim17ROCPRIM_400000_NS6detail31init_lookback_scan_state_kernelINS1_19lookback_scan_stateIiLb0ELb1EEENS1_16block_id_wrapperIjLb0EEEEEvT_jT0_jPNS7_10value_typeE.kd
    .uniform_work_group_size: 1
    .uses_dynamic_stack: false
    .vgpr_count:     5
    .vgpr_spill_count: 0
    .wavefront_size: 32
  - .args:
      - .offset:         0
        .size:           96
        .value_kind:     by_value
    .group_segment_fixed_size: 14336
    .kernarg_segment_align: 8
    .kernarg_segment_size: 96
    .language:       OpenCL C
    .language_version:
      - 2
      - 0
    .max_flat_workgroup_size: 256
    .name:           _ZN7rocprim17ROCPRIM_400000_NS6detail17trampoline_kernelINS0_14default_configENS1_20scan_config_selectorIiEEZZNS1_9scan_implILNS1_25lookback_scan_determinismE0ELb0ELb0ES3_N6thrust23THRUST_200600_302600_NS6detail15normal_iteratorINS9_10device_ptrIiEEEESE_iNS9_4plusIvEEiEEDaPvRmT3_T4_T5_mT6_P12ihipStream_tbENKUlT_T0_E_clISt17integral_constantIbLb0EESU_EEDaSP_SQ_EUlSP_E_NS1_11comp_targetILNS1_3genE0ELNS1_11target_archE4294967295ELNS1_3gpuE0ELNS1_3repE0EEENS1_30default_config_static_selectorELNS0_4arch9wavefront6targetE0EEEvT1_
    .private_segment_fixed_size: 0
    .sgpr_count:     27
    .sgpr_spill_count: 0
    .symbol:         _ZN7rocprim17ROCPRIM_400000_NS6detail17trampoline_kernelINS0_14default_configENS1_20scan_config_selectorIiEEZZNS1_9scan_implILNS1_25lookback_scan_determinismE0ELb0ELb0ES3_N6thrust23THRUST_200600_302600_NS6detail15normal_iteratorINS9_10device_ptrIiEEEESE_iNS9_4plusIvEEiEEDaPvRmT3_T4_T5_mT6_P12ihipStream_tbENKUlT_T0_E_clISt17integral_constantIbLb0EESU_EEDaSP_SQ_EUlSP_E_NS1_11comp_targetILNS1_3genE0ELNS1_11target_archE4294967295ELNS1_3gpuE0ELNS1_3repE0EEENS1_30default_config_static_selectorELNS0_4arch9wavefront6targetE0EEEvT1_.kd
    .uniform_work_group_size: 1
    .uses_dynamic_stack: false
    .vgpr_count:     41
    .vgpr_spill_count: 0
    .wavefront_size: 32
  - .args:
      - .offset:         0
        .size:           96
        .value_kind:     by_value
    .group_segment_fixed_size: 0
    .kernarg_segment_align: 8
    .kernarg_segment_size: 96
    .language:       OpenCL C
    .language_version:
      - 2
      - 0
    .max_flat_workgroup_size: 256
    .name:           _ZN7rocprim17ROCPRIM_400000_NS6detail17trampoline_kernelINS0_14default_configENS1_20scan_config_selectorIiEEZZNS1_9scan_implILNS1_25lookback_scan_determinismE0ELb0ELb0ES3_N6thrust23THRUST_200600_302600_NS6detail15normal_iteratorINS9_10device_ptrIiEEEESE_iNS9_4plusIvEEiEEDaPvRmT3_T4_T5_mT6_P12ihipStream_tbENKUlT_T0_E_clISt17integral_constantIbLb0EESU_EEDaSP_SQ_EUlSP_E_NS1_11comp_targetILNS1_3genE5ELNS1_11target_archE942ELNS1_3gpuE9ELNS1_3repE0EEENS1_30default_config_static_selectorELNS0_4arch9wavefront6targetE0EEEvT1_
    .private_segment_fixed_size: 0
    .sgpr_count:     0
    .sgpr_spill_count: 0
    .symbol:         _ZN7rocprim17ROCPRIM_400000_NS6detail17trampoline_kernelINS0_14default_configENS1_20scan_config_selectorIiEEZZNS1_9scan_implILNS1_25lookback_scan_determinismE0ELb0ELb0ES3_N6thrust23THRUST_200600_302600_NS6detail15normal_iteratorINS9_10device_ptrIiEEEESE_iNS9_4plusIvEEiEEDaPvRmT3_T4_T5_mT6_P12ihipStream_tbENKUlT_T0_E_clISt17integral_constantIbLb0EESU_EEDaSP_SQ_EUlSP_E_NS1_11comp_targetILNS1_3genE5ELNS1_11target_archE942ELNS1_3gpuE9ELNS1_3repE0EEENS1_30default_config_static_selectorELNS0_4arch9wavefront6targetE0EEEvT1_.kd
    .uniform_work_group_size: 1
    .uses_dynamic_stack: false
    .vgpr_count:     0
    .vgpr_spill_count: 0
    .wavefront_size: 32
  - .args:
      - .offset:         0
        .size:           96
        .value_kind:     by_value
    .group_segment_fixed_size: 0
    .kernarg_segment_align: 8
    .kernarg_segment_size: 96
    .language:       OpenCL C
    .language_version:
      - 2
      - 0
    .max_flat_workgroup_size: 128
    .name:           _ZN7rocprim17ROCPRIM_400000_NS6detail17trampoline_kernelINS0_14default_configENS1_20scan_config_selectorIiEEZZNS1_9scan_implILNS1_25lookback_scan_determinismE0ELb0ELb0ES3_N6thrust23THRUST_200600_302600_NS6detail15normal_iteratorINS9_10device_ptrIiEEEESE_iNS9_4plusIvEEiEEDaPvRmT3_T4_T5_mT6_P12ihipStream_tbENKUlT_T0_E_clISt17integral_constantIbLb0EESU_EEDaSP_SQ_EUlSP_E_NS1_11comp_targetILNS1_3genE4ELNS1_11target_archE910ELNS1_3gpuE8ELNS1_3repE0EEENS1_30default_config_static_selectorELNS0_4arch9wavefront6targetE0EEEvT1_
    .private_segment_fixed_size: 0
    .sgpr_count:     0
    .sgpr_spill_count: 0
    .symbol:         _ZN7rocprim17ROCPRIM_400000_NS6detail17trampoline_kernelINS0_14default_configENS1_20scan_config_selectorIiEEZZNS1_9scan_implILNS1_25lookback_scan_determinismE0ELb0ELb0ES3_N6thrust23THRUST_200600_302600_NS6detail15normal_iteratorINS9_10device_ptrIiEEEESE_iNS9_4plusIvEEiEEDaPvRmT3_T4_T5_mT6_P12ihipStream_tbENKUlT_T0_E_clISt17integral_constantIbLb0EESU_EEDaSP_SQ_EUlSP_E_NS1_11comp_targetILNS1_3genE4ELNS1_11target_archE910ELNS1_3gpuE8ELNS1_3repE0EEENS1_30default_config_static_selectorELNS0_4arch9wavefront6targetE0EEEvT1_.kd
    .uniform_work_group_size: 1
    .uses_dynamic_stack: false
    .vgpr_count:     0
    .vgpr_spill_count: 0
    .wavefront_size: 32
  - .args:
      - .offset:         0
        .size:           96
        .value_kind:     by_value
    .group_segment_fixed_size: 0
    .kernarg_segment_align: 8
    .kernarg_segment_size: 96
    .language:       OpenCL C
    .language_version:
      - 2
      - 0
    .max_flat_workgroup_size: 256
    .name:           _ZN7rocprim17ROCPRIM_400000_NS6detail17trampoline_kernelINS0_14default_configENS1_20scan_config_selectorIiEEZZNS1_9scan_implILNS1_25lookback_scan_determinismE0ELb0ELb0ES3_N6thrust23THRUST_200600_302600_NS6detail15normal_iteratorINS9_10device_ptrIiEEEESE_iNS9_4plusIvEEiEEDaPvRmT3_T4_T5_mT6_P12ihipStream_tbENKUlT_T0_E_clISt17integral_constantIbLb0EESU_EEDaSP_SQ_EUlSP_E_NS1_11comp_targetILNS1_3genE3ELNS1_11target_archE908ELNS1_3gpuE7ELNS1_3repE0EEENS1_30default_config_static_selectorELNS0_4arch9wavefront6targetE0EEEvT1_
    .private_segment_fixed_size: 0
    .sgpr_count:     0
    .sgpr_spill_count: 0
    .symbol:         _ZN7rocprim17ROCPRIM_400000_NS6detail17trampoline_kernelINS0_14default_configENS1_20scan_config_selectorIiEEZZNS1_9scan_implILNS1_25lookback_scan_determinismE0ELb0ELb0ES3_N6thrust23THRUST_200600_302600_NS6detail15normal_iteratorINS9_10device_ptrIiEEEESE_iNS9_4plusIvEEiEEDaPvRmT3_T4_T5_mT6_P12ihipStream_tbENKUlT_T0_E_clISt17integral_constantIbLb0EESU_EEDaSP_SQ_EUlSP_E_NS1_11comp_targetILNS1_3genE3ELNS1_11target_archE908ELNS1_3gpuE7ELNS1_3repE0EEENS1_30default_config_static_selectorELNS0_4arch9wavefront6targetE0EEEvT1_.kd
    .uniform_work_group_size: 1
    .uses_dynamic_stack: false
    .vgpr_count:     0
    .vgpr_spill_count: 0
    .wavefront_size: 32
  - .args:
      - .offset:         0
        .size:           96
        .value_kind:     by_value
    .group_segment_fixed_size: 0
    .kernarg_segment_align: 8
    .kernarg_segment_size: 96
    .language:       OpenCL C
    .language_version:
      - 2
      - 0
    .max_flat_workgroup_size: 256
    .name:           _ZN7rocprim17ROCPRIM_400000_NS6detail17trampoline_kernelINS0_14default_configENS1_20scan_config_selectorIiEEZZNS1_9scan_implILNS1_25lookback_scan_determinismE0ELb0ELb0ES3_N6thrust23THRUST_200600_302600_NS6detail15normal_iteratorINS9_10device_ptrIiEEEESE_iNS9_4plusIvEEiEEDaPvRmT3_T4_T5_mT6_P12ihipStream_tbENKUlT_T0_E_clISt17integral_constantIbLb0EESU_EEDaSP_SQ_EUlSP_E_NS1_11comp_targetILNS1_3genE2ELNS1_11target_archE906ELNS1_3gpuE6ELNS1_3repE0EEENS1_30default_config_static_selectorELNS0_4arch9wavefront6targetE0EEEvT1_
    .private_segment_fixed_size: 0
    .sgpr_count:     0
    .sgpr_spill_count: 0
    .symbol:         _ZN7rocprim17ROCPRIM_400000_NS6detail17trampoline_kernelINS0_14default_configENS1_20scan_config_selectorIiEEZZNS1_9scan_implILNS1_25lookback_scan_determinismE0ELb0ELb0ES3_N6thrust23THRUST_200600_302600_NS6detail15normal_iteratorINS9_10device_ptrIiEEEESE_iNS9_4plusIvEEiEEDaPvRmT3_T4_T5_mT6_P12ihipStream_tbENKUlT_T0_E_clISt17integral_constantIbLb0EESU_EEDaSP_SQ_EUlSP_E_NS1_11comp_targetILNS1_3genE2ELNS1_11target_archE906ELNS1_3gpuE6ELNS1_3repE0EEENS1_30default_config_static_selectorELNS0_4arch9wavefront6targetE0EEEvT1_.kd
    .uniform_work_group_size: 1
    .uses_dynamic_stack: false
    .vgpr_count:     0
    .vgpr_spill_count: 0
    .wavefront_size: 32
  - .args:
      - .offset:         0
        .size:           96
        .value_kind:     by_value
    .group_segment_fixed_size: 0
    .kernarg_segment_align: 8
    .kernarg_segment_size: 96
    .language:       OpenCL C
    .language_version:
      - 2
      - 0
    .max_flat_workgroup_size: 256
    .name:           _ZN7rocprim17ROCPRIM_400000_NS6detail17trampoline_kernelINS0_14default_configENS1_20scan_config_selectorIiEEZZNS1_9scan_implILNS1_25lookback_scan_determinismE0ELb0ELb0ES3_N6thrust23THRUST_200600_302600_NS6detail15normal_iteratorINS9_10device_ptrIiEEEESE_iNS9_4plusIvEEiEEDaPvRmT3_T4_T5_mT6_P12ihipStream_tbENKUlT_T0_E_clISt17integral_constantIbLb0EESU_EEDaSP_SQ_EUlSP_E_NS1_11comp_targetILNS1_3genE10ELNS1_11target_archE1201ELNS1_3gpuE5ELNS1_3repE0EEENS1_30default_config_static_selectorELNS0_4arch9wavefront6targetE0EEEvT1_
    .private_segment_fixed_size: 0
    .sgpr_count:     0
    .sgpr_spill_count: 0
    .symbol:         _ZN7rocprim17ROCPRIM_400000_NS6detail17trampoline_kernelINS0_14default_configENS1_20scan_config_selectorIiEEZZNS1_9scan_implILNS1_25lookback_scan_determinismE0ELb0ELb0ES3_N6thrust23THRUST_200600_302600_NS6detail15normal_iteratorINS9_10device_ptrIiEEEESE_iNS9_4plusIvEEiEEDaPvRmT3_T4_T5_mT6_P12ihipStream_tbENKUlT_T0_E_clISt17integral_constantIbLb0EESU_EEDaSP_SQ_EUlSP_E_NS1_11comp_targetILNS1_3genE10ELNS1_11target_archE1201ELNS1_3gpuE5ELNS1_3repE0EEENS1_30default_config_static_selectorELNS0_4arch9wavefront6targetE0EEEvT1_.kd
    .uniform_work_group_size: 1
    .uses_dynamic_stack: false
    .vgpr_count:     0
    .vgpr_spill_count: 0
    .wavefront_size: 32
  - .args:
      - .offset:         0
        .size:           96
        .value_kind:     by_value
    .group_segment_fixed_size: 0
    .kernarg_segment_align: 8
    .kernarg_segment_size: 96
    .language:       OpenCL C
    .language_version:
      - 2
      - 0
    .max_flat_workgroup_size: 256
    .name:           _ZN7rocprim17ROCPRIM_400000_NS6detail17trampoline_kernelINS0_14default_configENS1_20scan_config_selectorIiEEZZNS1_9scan_implILNS1_25lookback_scan_determinismE0ELb0ELb0ES3_N6thrust23THRUST_200600_302600_NS6detail15normal_iteratorINS9_10device_ptrIiEEEESE_iNS9_4plusIvEEiEEDaPvRmT3_T4_T5_mT6_P12ihipStream_tbENKUlT_T0_E_clISt17integral_constantIbLb0EESU_EEDaSP_SQ_EUlSP_E_NS1_11comp_targetILNS1_3genE10ELNS1_11target_archE1200ELNS1_3gpuE4ELNS1_3repE0EEENS1_30default_config_static_selectorELNS0_4arch9wavefront6targetE0EEEvT1_
    .private_segment_fixed_size: 0
    .sgpr_count:     0
    .sgpr_spill_count: 0
    .symbol:         _ZN7rocprim17ROCPRIM_400000_NS6detail17trampoline_kernelINS0_14default_configENS1_20scan_config_selectorIiEEZZNS1_9scan_implILNS1_25lookback_scan_determinismE0ELb0ELb0ES3_N6thrust23THRUST_200600_302600_NS6detail15normal_iteratorINS9_10device_ptrIiEEEESE_iNS9_4plusIvEEiEEDaPvRmT3_T4_T5_mT6_P12ihipStream_tbENKUlT_T0_E_clISt17integral_constantIbLb0EESU_EEDaSP_SQ_EUlSP_E_NS1_11comp_targetILNS1_3genE10ELNS1_11target_archE1200ELNS1_3gpuE4ELNS1_3repE0EEENS1_30default_config_static_selectorELNS0_4arch9wavefront6targetE0EEEvT1_.kd
    .uniform_work_group_size: 1
    .uses_dynamic_stack: false
    .vgpr_count:     0
    .vgpr_spill_count: 0
    .wavefront_size: 32
  - .args:
      - .offset:         0
        .size:           96
        .value_kind:     by_value
    .group_segment_fixed_size: 0
    .kernarg_segment_align: 8
    .kernarg_segment_size: 96
    .language:       OpenCL C
    .language_version:
      - 2
      - 0
    .max_flat_workgroup_size: 256
    .name:           _ZN7rocprim17ROCPRIM_400000_NS6detail17trampoline_kernelINS0_14default_configENS1_20scan_config_selectorIiEEZZNS1_9scan_implILNS1_25lookback_scan_determinismE0ELb0ELb0ES3_N6thrust23THRUST_200600_302600_NS6detail15normal_iteratorINS9_10device_ptrIiEEEESE_iNS9_4plusIvEEiEEDaPvRmT3_T4_T5_mT6_P12ihipStream_tbENKUlT_T0_E_clISt17integral_constantIbLb0EESU_EEDaSP_SQ_EUlSP_E_NS1_11comp_targetILNS1_3genE9ELNS1_11target_archE1100ELNS1_3gpuE3ELNS1_3repE0EEENS1_30default_config_static_selectorELNS0_4arch9wavefront6targetE0EEEvT1_
    .private_segment_fixed_size: 0
    .sgpr_count:     0
    .sgpr_spill_count: 0
    .symbol:         _ZN7rocprim17ROCPRIM_400000_NS6detail17trampoline_kernelINS0_14default_configENS1_20scan_config_selectorIiEEZZNS1_9scan_implILNS1_25lookback_scan_determinismE0ELb0ELb0ES3_N6thrust23THRUST_200600_302600_NS6detail15normal_iteratorINS9_10device_ptrIiEEEESE_iNS9_4plusIvEEiEEDaPvRmT3_T4_T5_mT6_P12ihipStream_tbENKUlT_T0_E_clISt17integral_constantIbLb0EESU_EEDaSP_SQ_EUlSP_E_NS1_11comp_targetILNS1_3genE9ELNS1_11target_archE1100ELNS1_3gpuE3ELNS1_3repE0EEENS1_30default_config_static_selectorELNS0_4arch9wavefront6targetE0EEEvT1_.kd
    .uniform_work_group_size: 1
    .uses_dynamic_stack: false
    .vgpr_count:     0
    .vgpr_spill_count: 0
    .wavefront_size: 32
  - .args:
      - .offset:         0
        .size:           96
        .value_kind:     by_value
    .group_segment_fixed_size: 0
    .kernarg_segment_align: 8
    .kernarg_segment_size: 96
    .language:       OpenCL C
    .language_version:
      - 2
      - 0
    .max_flat_workgroup_size: 64
    .name:           _ZN7rocprim17ROCPRIM_400000_NS6detail17trampoline_kernelINS0_14default_configENS1_20scan_config_selectorIiEEZZNS1_9scan_implILNS1_25lookback_scan_determinismE0ELb0ELb0ES3_N6thrust23THRUST_200600_302600_NS6detail15normal_iteratorINS9_10device_ptrIiEEEESE_iNS9_4plusIvEEiEEDaPvRmT3_T4_T5_mT6_P12ihipStream_tbENKUlT_T0_E_clISt17integral_constantIbLb0EESU_EEDaSP_SQ_EUlSP_E_NS1_11comp_targetILNS1_3genE8ELNS1_11target_archE1030ELNS1_3gpuE2ELNS1_3repE0EEENS1_30default_config_static_selectorELNS0_4arch9wavefront6targetE0EEEvT1_
    .private_segment_fixed_size: 0
    .sgpr_count:     0
    .sgpr_spill_count: 0
    .symbol:         _ZN7rocprim17ROCPRIM_400000_NS6detail17trampoline_kernelINS0_14default_configENS1_20scan_config_selectorIiEEZZNS1_9scan_implILNS1_25lookback_scan_determinismE0ELb0ELb0ES3_N6thrust23THRUST_200600_302600_NS6detail15normal_iteratorINS9_10device_ptrIiEEEESE_iNS9_4plusIvEEiEEDaPvRmT3_T4_T5_mT6_P12ihipStream_tbENKUlT_T0_E_clISt17integral_constantIbLb0EESU_EEDaSP_SQ_EUlSP_E_NS1_11comp_targetILNS1_3genE8ELNS1_11target_archE1030ELNS1_3gpuE2ELNS1_3repE0EEENS1_30default_config_static_selectorELNS0_4arch9wavefront6targetE0EEEvT1_.kd
    .uniform_work_group_size: 1
    .uses_dynamic_stack: false
    .vgpr_count:     0
    .vgpr_spill_count: 0
    .wavefront_size: 32
  - .args:
      - .offset:         0
        .size:           40
        .value_kind:     by_value
      - .offset:         40
        .size:           4
        .value_kind:     hidden_block_count_x
      - .offset:         44
        .size:           4
        .value_kind:     hidden_block_count_y
      - .offset:         48
        .size:           4
        .value_kind:     hidden_block_count_z
      - .offset:         52
        .size:           2
        .value_kind:     hidden_group_size_x
      - .offset:         54
        .size:           2
        .value_kind:     hidden_group_size_y
      - .offset:         56
        .size:           2
        .value_kind:     hidden_group_size_z
      - .offset:         58
        .size:           2
        .value_kind:     hidden_remainder_x
      - .offset:         60
        .size:           2
        .value_kind:     hidden_remainder_y
      - .offset:         62
        .size:           2
        .value_kind:     hidden_remainder_z
      - .offset:         80
        .size:           8
        .value_kind:     hidden_global_offset_x
      - .offset:         88
        .size:           8
        .value_kind:     hidden_global_offset_y
      - .offset:         96
        .size:           8
        .value_kind:     hidden_global_offset_z
      - .offset:         104
        .size:           2
        .value_kind:     hidden_grid_dims
    .group_segment_fixed_size: 0
    .kernarg_segment_align: 8
    .kernarg_segment_size: 296
    .language:       OpenCL C
    .language_version:
      - 2
      - 0
    .max_flat_workgroup_size: 128
    .name:           _ZN7rocprim17ROCPRIM_400000_NS6detail17trampoline_kernelINS0_14default_configENS1_25transform_config_selectorIiLb1EEEZNS1_14transform_implILb1ES3_S5_PiS7_NS0_8identityIiEEEE10hipError_tT2_T3_mT4_P12ihipStream_tbEUlT_E_NS1_11comp_targetILNS1_3genE0ELNS1_11target_archE4294967295ELNS1_3gpuE0ELNS1_3repE0EEENS1_30default_config_static_selectorELNS0_4arch9wavefront6targetE0EEEvT1_
    .private_segment_fixed_size: 0
    .sgpr_count:     16
    .sgpr_spill_count: 0
    .symbol:         _ZN7rocprim17ROCPRIM_400000_NS6detail17trampoline_kernelINS0_14default_configENS1_25transform_config_selectorIiLb1EEEZNS1_14transform_implILb1ES3_S5_PiS7_NS0_8identityIiEEEE10hipError_tT2_T3_mT4_P12ihipStream_tbEUlT_E_NS1_11comp_targetILNS1_3genE0ELNS1_11target_archE4294967295ELNS1_3gpuE0ELNS1_3repE0EEENS1_30default_config_static_selectorELNS0_4arch9wavefront6targetE0EEEvT1_.kd
    .uniform_work_group_size: 1
    .uses_dynamic_stack: false
    .vgpr_count:     4
    .vgpr_spill_count: 0
    .wavefront_size: 32
  - .args:
      - .offset:         0
        .size:           40
        .value_kind:     by_value
    .group_segment_fixed_size: 0
    .kernarg_segment_align: 8
    .kernarg_segment_size: 40
    .language:       OpenCL C
    .language_version:
      - 2
      - 0
    .max_flat_workgroup_size: 1024
    .name:           _ZN7rocprim17ROCPRIM_400000_NS6detail17trampoline_kernelINS0_14default_configENS1_25transform_config_selectorIiLb1EEEZNS1_14transform_implILb1ES3_S5_PiS7_NS0_8identityIiEEEE10hipError_tT2_T3_mT4_P12ihipStream_tbEUlT_E_NS1_11comp_targetILNS1_3genE10ELNS1_11target_archE1201ELNS1_3gpuE5ELNS1_3repE0EEENS1_30default_config_static_selectorELNS0_4arch9wavefront6targetE0EEEvT1_
    .private_segment_fixed_size: 0
    .sgpr_count:     0
    .sgpr_spill_count: 0
    .symbol:         _ZN7rocprim17ROCPRIM_400000_NS6detail17trampoline_kernelINS0_14default_configENS1_25transform_config_selectorIiLb1EEEZNS1_14transform_implILb1ES3_S5_PiS7_NS0_8identityIiEEEE10hipError_tT2_T3_mT4_P12ihipStream_tbEUlT_E_NS1_11comp_targetILNS1_3genE10ELNS1_11target_archE1201ELNS1_3gpuE5ELNS1_3repE0EEENS1_30default_config_static_selectorELNS0_4arch9wavefront6targetE0EEEvT1_.kd
    .uniform_work_group_size: 1
    .uses_dynamic_stack: false
    .vgpr_count:     0
    .vgpr_spill_count: 0
    .wavefront_size: 32
  - .args:
      - .offset:         0
        .size:           40
        .value_kind:     by_value
    .group_segment_fixed_size: 0
    .kernarg_segment_align: 8
    .kernarg_segment_size: 40
    .language:       OpenCL C
    .language_version:
      - 2
      - 0
    .max_flat_workgroup_size: 256
    .name:           _ZN7rocprim17ROCPRIM_400000_NS6detail17trampoline_kernelINS0_14default_configENS1_25transform_config_selectorIiLb1EEEZNS1_14transform_implILb1ES3_S5_PiS7_NS0_8identityIiEEEE10hipError_tT2_T3_mT4_P12ihipStream_tbEUlT_E_NS1_11comp_targetILNS1_3genE5ELNS1_11target_archE942ELNS1_3gpuE9ELNS1_3repE0EEENS1_30default_config_static_selectorELNS0_4arch9wavefront6targetE0EEEvT1_
    .private_segment_fixed_size: 0
    .sgpr_count:     0
    .sgpr_spill_count: 0
    .symbol:         _ZN7rocprim17ROCPRIM_400000_NS6detail17trampoline_kernelINS0_14default_configENS1_25transform_config_selectorIiLb1EEEZNS1_14transform_implILb1ES3_S5_PiS7_NS0_8identityIiEEEE10hipError_tT2_T3_mT4_P12ihipStream_tbEUlT_E_NS1_11comp_targetILNS1_3genE5ELNS1_11target_archE942ELNS1_3gpuE9ELNS1_3repE0EEENS1_30default_config_static_selectorELNS0_4arch9wavefront6targetE0EEEvT1_.kd
    .uniform_work_group_size: 1
    .uses_dynamic_stack: false
    .vgpr_count:     0
    .vgpr_spill_count: 0
    .wavefront_size: 32
  - .args:
      - .offset:         0
        .size:           40
        .value_kind:     by_value
    .group_segment_fixed_size: 0
    .kernarg_segment_align: 8
    .kernarg_segment_size: 40
    .language:       OpenCL C
    .language_version:
      - 2
      - 0
    .max_flat_workgroup_size: 1024
    .name:           _ZN7rocprim17ROCPRIM_400000_NS6detail17trampoline_kernelINS0_14default_configENS1_25transform_config_selectorIiLb1EEEZNS1_14transform_implILb1ES3_S5_PiS7_NS0_8identityIiEEEE10hipError_tT2_T3_mT4_P12ihipStream_tbEUlT_E_NS1_11comp_targetILNS1_3genE4ELNS1_11target_archE910ELNS1_3gpuE8ELNS1_3repE0EEENS1_30default_config_static_selectorELNS0_4arch9wavefront6targetE0EEEvT1_
    .private_segment_fixed_size: 0
    .sgpr_count:     0
    .sgpr_spill_count: 0
    .symbol:         _ZN7rocprim17ROCPRIM_400000_NS6detail17trampoline_kernelINS0_14default_configENS1_25transform_config_selectorIiLb1EEEZNS1_14transform_implILb1ES3_S5_PiS7_NS0_8identityIiEEEE10hipError_tT2_T3_mT4_P12ihipStream_tbEUlT_E_NS1_11comp_targetILNS1_3genE4ELNS1_11target_archE910ELNS1_3gpuE8ELNS1_3repE0EEENS1_30default_config_static_selectorELNS0_4arch9wavefront6targetE0EEEvT1_.kd
    .uniform_work_group_size: 1
    .uses_dynamic_stack: false
    .vgpr_count:     0
    .vgpr_spill_count: 0
    .wavefront_size: 32
  - .args:
      - .offset:         0
        .size:           40
        .value_kind:     by_value
    .group_segment_fixed_size: 0
    .kernarg_segment_align: 8
    .kernarg_segment_size: 40
    .language:       OpenCL C
    .language_version:
      - 2
      - 0
    .max_flat_workgroup_size: 128
    .name:           _ZN7rocprim17ROCPRIM_400000_NS6detail17trampoline_kernelINS0_14default_configENS1_25transform_config_selectorIiLb1EEEZNS1_14transform_implILb1ES3_S5_PiS7_NS0_8identityIiEEEE10hipError_tT2_T3_mT4_P12ihipStream_tbEUlT_E_NS1_11comp_targetILNS1_3genE3ELNS1_11target_archE908ELNS1_3gpuE7ELNS1_3repE0EEENS1_30default_config_static_selectorELNS0_4arch9wavefront6targetE0EEEvT1_
    .private_segment_fixed_size: 0
    .sgpr_count:     0
    .sgpr_spill_count: 0
    .symbol:         _ZN7rocprim17ROCPRIM_400000_NS6detail17trampoline_kernelINS0_14default_configENS1_25transform_config_selectorIiLb1EEEZNS1_14transform_implILb1ES3_S5_PiS7_NS0_8identityIiEEEE10hipError_tT2_T3_mT4_P12ihipStream_tbEUlT_E_NS1_11comp_targetILNS1_3genE3ELNS1_11target_archE908ELNS1_3gpuE7ELNS1_3repE0EEENS1_30default_config_static_selectorELNS0_4arch9wavefront6targetE0EEEvT1_.kd
    .uniform_work_group_size: 1
    .uses_dynamic_stack: false
    .vgpr_count:     0
    .vgpr_spill_count: 0
    .wavefront_size: 32
  - .args:
      - .offset:         0
        .size:           40
        .value_kind:     by_value
    .group_segment_fixed_size: 0
    .kernarg_segment_align: 8
    .kernarg_segment_size: 40
    .language:       OpenCL C
    .language_version:
      - 2
      - 0
    .max_flat_workgroup_size: 1024
    .name:           _ZN7rocprim17ROCPRIM_400000_NS6detail17trampoline_kernelINS0_14default_configENS1_25transform_config_selectorIiLb1EEEZNS1_14transform_implILb1ES3_S5_PiS7_NS0_8identityIiEEEE10hipError_tT2_T3_mT4_P12ihipStream_tbEUlT_E_NS1_11comp_targetILNS1_3genE2ELNS1_11target_archE906ELNS1_3gpuE6ELNS1_3repE0EEENS1_30default_config_static_selectorELNS0_4arch9wavefront6targetE0EEEvT1_
    .private_segment_fixed_size: 0
    .sgpr_count:     0
    .sgpr_spill_count: 0
    .symbol:         _ZN7rocprim17ROCPRIM_400000_NS6detail17trampoline_kernelINS0_14default_configENS1_25transform_config_selectorIiLb1EEEZNS1_14transform_implILb1ES3_S5_PiS7_NS0_8identityIiEEEE10hipError_tT2_T3_mT4_P12ihipStream_tbEUlT_E_NS1_11comp_targetILNS1_3genE2ELNS1_11target_archE906ELNS1_3gpuE6ELNS1_3repE0EEENS1_30default_config_static_selectorELNS0_4arch9wavefront6targetE0EEEvT1_.kd
    .uniform_work_group_size: 1
    .uses_dynamic_stack: false
    .vgpr_count:     0
    .vgpr_spill_count: 0
    .wavefront_size: 32
  - .args:
      - .offset:         0
        .size:           40
        .value_kind:     by_value
    .group_segment_fixed_size: 0
    .kernarg_segment_align: 8
    .kernarg_segment_size: 40
    .language:       OpenCL C
    .language_version:
      - 2
      - 0
    .max_flat_workgroup_size: 1024
    .name:           _ZN7rocprim17ROCPRIM_400000_NS6detail17trampoline_kernelINS0_14default_configENS1_25transform_config_selectorIiLb1EEEZNS1_14transform_implILb1ES3_S5_PiS7_NS0_8identityIiEEEE10hipError_tT2_T3_mT4_P12ihipStream_tbEUlT_E_NS1_11comp_targetILNS1_3genE9ELNS1_11target_archE1100ELNS1_3gpuE3ELNS1_3repE0EEENS1_30default_config_static_selectorELNS0_4arch9wavefront6targetE0EEEvT1_
    .private_segment_fixed_size: 0
    .sgpr_count:     0
    .sgpr_spill_count: 0
    .symbol:         _ZN7rocprim17ROCPRIM_400000_NS6detail17trampoline_kernelINS0_14default_configENS1_25transform_config_selectorIiLb1EEEZNS1_14transform_implILb1ES3_S5_PiS7_NS0_8identityIiEEEE10hipError_tT2_T3_mT4_P12ihipStream_tbEUlT_E_NS1_11comp_targetILNS1_3genE9ELNS1_11target_archE1100ELNS1_3gpuE3ELNS1_3repE0EEENS1_30default_config_static_selectorELNS0_4arch9wavefront6targetE0EEEvT1_.kd
    .uniform_work_group_size: 1
    .uses_dynamic_stack: false
    .vgpr_count:     0
    .vgpr_spill_count: 0
    .wavefront_size: 32
  - .args:
      - .offset:         0
        .size:           40
        .value_kind:     by_value
    .group_segment_fixed_size: 0
    .kernarg_segment_align: 8
    .kernarg_segment_size: 40
    .language:       OpenCL C
    .language_version:
      - 2
      - 0
    .max_flat_workgroup_size: 1024
    .name:           _ZN7rocprim17ROCPRIM_400000_NS6detail17trampoline_kernelINS0_14default_configENS1_25transform_config_selectorIiLb1EEEZNS1_14transform_implILb1ES3_S5_PiS7_NS0_8identityIiEEEE10hipError_tT2_T3_mT4_P12ihipStream_tbEUlT_E_NS1_11comp_targetILNS1_3genE8ELNS1_11target_archE1030ELNS1_3gpuE2ELNS1_3repE0EEENS1_30default_config_static_selectorELNS0_4arch9wavefront6targetE0EEEvT1_
    .private_segment_fixed_size: 0
    .sgpr_count:     0
    .sgpr_spill_count: 0
    .symbol:         _ZN7rocprim17ROCPRIM_400000_NS6detail17trampoline_kernelINS0_14default_configENS1_25transform_config_selectorIiLb1EEEZNS1_14transform_implILb1ES3_S5_PiS7_NS0_8identityIiEEEE10hipError_tT2_T3_mT4_P12ihipStream_tbEUlT_E_NS1_11comp_targetILNS1_3genE8ELNS1_11target_archE1030ELNS1_3gpuE2ELNS1_3repE0EEENS1_30default_config_static_selectorELNS0_4arch9wavefront6targetE0EEEvT1_.kd
    .uniform_work_group_size: 1
    .uses_dynamic_stack: false
    .vgpr_count:     0
    .vgpr_spill_count: 0
    .wavefront_size: 32
  - .args:
      - .offset:         0
        .size:           32
        .value_kind:     by_value
    .group_segment_fixed_size: 14336
    .kernarg_segment_align: 8
    .kernarg_segment_size: 32
    .language:       OpenCL C
    .language_version:
      - 2
      - 0
    .max_flat_workgroup_size: 256
    .name:           _ZN7rocprim17ROCPRIM_400000_NS6detail17trampoline_kernelINS0_14default_configENS1_20scan_config_selectorIiEEZZNS1_9scan_implILNS1_25lookback_scan_determinismE0ELb0ELb0ES3_N6thrust23THRUST_200600_302600_NS6detail15normal_iteratorINS9_10device_ptrIiEEEESE_iNS9_4plusIvEEiEEDaPvRmT3_T4_T5_mT6_P12ihipStream_tbENKUlT_T0_E_clISt17integral_constantIbLb0EESU_EEDaSP_SQ_EUlSP_E0_NS1_11comp_targetILNS1_3genE0ELNS1_11target_archE4294967295ELNS1_3gpuE0ELNS1_3repE0EEENS1_30default_config_static_selectorELNS0_4arch9wavefront6targetE0EEEvT1_
    .private_segment_fixed_size: 0
    .sgpr_count:     22
    .sgpr_spill_count: 0
    .symbol:         _ZN7rocprim17ROCPRIM_400000_NS6detail17trampoline_kernelINS0_14default_configENS1_20scan_config_selectorIiEEZZNS1_9scan_implILNS1_25lookback_scan_determinismE0ELb0ELb0ES3_N6thrust23THRUST_200600_302600_NS6detail15normal_iteratorINS9_10device_ptrIiEEEESE_iNS9_4plusIvEEiEEDaPvRmT3_T4_T5_mT6_P12ihipStream_tbENKUlT_T0_E_clISt17integral_constantIbLb0EESU_EEDaSP_SQ_EUlSP_E0_NS1_11comp_targetILNS1_3genE0ELNS1_11target_archE4294967295ELNS1_3gpuE0ELNS1_3repE0EEENS1_30default_config_static_selectorELNS0_4arch9wavefront6targetE0EEEvT1_.kd
    .uniform_work_group_size: 1
    .uses_dynamic_stack: false
    .vgpr_count:     35
    .vgpr_spill_count: 0
    .wavefront_size: 32
  - .args:
      - .offset:         0
        .size:           32
        .value_kind:     by_value
    .group_segment_fixed_size: 0
    .kernarg_segment_align: 8
    .kernarg_segment_size: 32
    .language:       OpenCL C
    .language_version:
      - 2
      - 0
    .max_flat_workgroup_size: 256
    .name:           _ZN7rocprim17ROCPRIM_400000_NS6detail17trampoline_kernelINS0_14default_configENS1_20scan_config_selectorIiEEZZNS1_9scan_implILNS1_25lookback_scan_determinismE0ELb0ELb0ES3_N6thrust23THRUST_200600_302600_NS6detail15normal_iteratorINS9_10device_ptrIiEEEESE_iNS9_4plusIvEEiEEDaPvRmT3_T4_T5_mT6_P12ihipStream_tbENKUlT_T0_E_clISt17integral_constantIbLb0EESU_EEDaSP_SQ_EUlSP_E0_NS1_11comp_targetILNS1_3genE5ELNS1_11target_archE942ELNS1_3gpuE9ELNS1_3repE0EEENS1_30default_config_static_selectorELNS0_4arch9wavefront6targetE0EEEvT1_
    .private_segment_fixed_size: 0
    .sgpr_count:     0
    .sgpr_spill_count: 0
    .symbol:         _ZN7rocprim17ROCPRIM_400000_NS6detail17trampoline_kernelINS0_14default_configENS1_20scan_config_selectorIiEEZZNS1_9scan_implILNS1_25lookback_scan_determinismE0ELb0ELb0ES3_N6thrust23THRUST_200600_302600_NS6detail15normal_iteratorINS9_10device_ptrIiEEEESE_iNS9_4plusIvEEiEEDaPvRmT3_T4_T5_mT6_P12ihipStream_tbENKUlT_T0_E_clISt17integral_constantIbLb0EESU_EEDaSP_SQ_EUlSP_E0_NS1_11comp_targetILNS1_3genE5ELNS1_11target_archE942ELNS1_3gpuE9ELNS1_3repE0EEENS1_30default_config_static_selectorELNS0_4arch9wavefront6targetE0EEEvT1_.kd
    .uniform_work_group_size: 1
    .uses_dynamic_stack: false
    .vgpr_count:     0
    .vgpr_spill_count: 0
    .wavefront_size: 32
  - .args:
      - .offset:         0
        .size:           32
        .value_kind:     by_value
    .group_segment_fixed_size: 0
    .kernarg_segment_align: 8
    .kernarg_segment_size: 32
    .language:       OpenCL C
    .language_version:
      - 2
      - 0
    .max_flat_workgroup_size: 128
    .name:           _ZN7rocprim17ROCPRIM_400000_NS6detail17trampoline_kernelINS0_14default_configENS1_20scan_config_selectorIiEEZZNS1_9scan_implILNS1_25lookback_scan_determinismE0ELb0ELb0ES3_N6thrust23THRUST_200600_302600_NS6detail15normal_iteratorINS9_10device_ptrIiEEEESE_iNS9_4plusIvEEiEEDaPvRmT3_T4_T5_mT6_P12ihipStream_tbENKUlT_T0_E_clISt17integral_constantIbLb0EESU_EEDaSP_SQ_EUlSP_E0_NS1_11comp_targetILNS1_3genE4ELNS1_11target_archE910ELNS1_3gpuE8ELNS1_3repE0EEENS1_30default_config_static_selectorELNS0_4arch9wavefront6targetE0EEEvT1_
    .private_segment_fixed_size: 0
    .sgpr_count:     0
    .sgpr_spill_count: 0
    .symbol:         _ZN7rocprim17ROCPRIM_400000_NS6detail17trampoline_kernelINS0_14default_configENS1_20scan_config_selectorIiEEZZNS1_9scan_implILNS1_25lookback_scan_determinismE0ELb0ELb0ES3_N6thrust23THRUST_200600_302600_NS6detail15normal_iteratorINS9_10device_ptrIiEEEESE_iNS9_4plusIvEEiEEDaPvRmT3_T4_T5_mT6_P12ihipStream_tbENKUlT_T0_E_clISt17integral_constantIbLb0EESU_EEDaSP_SQ_EUlSP_E0_NS1_11comp_targetILNS1_3genE4ELNS1_11target_archE910ELNS1_3gpuE8ELNS1_3repE0EEENS1_30default_config_static_selectorELNS0_4arch9wavefront6targetE0EEEvT1_.kd
    .uniform_work_group_size: 1
    .uses_dynamic_stack: false
    .vgpr_count:     0
    .vgpr_spill_count: 0
    .wavefront_size: 32
  - .args:
      - .offset:         0
        .size:           32
        .value_kind:     by_value
    .group_segment_fixed_size: 0
    .kernarg_segment_align: 8
    .kernarg_segment_size: 32
    .language:       OpenCL C
    .language_version:
      - 2
      - 0
    .max_flat_workgroup_size: 256
    .name:           _ZN7rocprim17ROCPRIM_400000_NS6detail17trampoline_kernelINS0_14default_configENS1_20scan_config_selectorIiEEZZNS1_9scan_implILNS1_25lookback_scan_determinismE0ELb0ELb0ES3_N6thrust23THRUST_200600_302600_NS6detail15normal_iteratorINS9_10device_ptrIiEEEESE_iNS9_4plusIvEEiEEDaPvRmT3_T4_T5_mT6_P12ihipStream_tbENKUlT_T0_E_clISt17integral_constantIbLb0EESU_EEDaSP_SQ_EUlSP_E0_NS1_11comp_targetILNS1_3genE3ELNS1_11target_archE908ELNS1_3gpuE7ELNS1_3repE0EEENS1_30default_config_static_selectorELNS0_4arch9wavefront6targetE0EEEvT1_
    .private_segment_fixed_size: 0
    .sgpr_count:     0
    .sgpr_spill_count: 0
    .symbol:         _ZN7rocprim17ROCPRIM_400000_NS6detail17trampoline_kernelINS0_14default_configENS1_20scan_config_selectorIiEEZZNS1_9scan_implILNS1_25lookback_scan_determinismE0ELb0ELb0ES3_N6thrust23THRUST_200600_302600_NS6detail15normal_iteratorINS9_10device_ptrIiEEEESE_iNS9_4plusIvEEiEEDaPvRmT3_T4_T5_mT6_P12ihipStream_tbENKUlT_T0_E_clISt17integral_constantIbLb0EESU_EEDaSP_SQ_EUlSP_E0_NS1_11comp_targetILNS1_3genE3ELNS1_11target_archE908ELNS1_3gpuE7ELNS1_3repE0EEENS1_30default_config_static_selectorELNS0_4arch9wavefront6targetE0EEEvT1_.kd
    .uniform_work_group_size: 1
    .uses_dynamic_stack: false
    .vgpr_count:     0
    .vgpr_spill_count: 0
    .wavefront_size: 32
  - .args:
      - .offset:         0
        .size:           32
        .value_kind:     by_value
    .group_segment_fixed_size: 0
    .kernarg_segment_align: 8
    .kernarg_segment_size: 32
    .language:       OpenCL C
    .language_version:
      - 2
      - 0
    .max_flat_workgroup_size: 256
    .name:           _ZN7rocprim17ROCPRIM_400000_NS6detail17trampoline_kernelINS0_14default_configENS1_20scan_config_selectorIiEEZZNS1_9scan_implILNS1_25lookback_scan_determinismE0ELb0ELb0ES3_N6thrust23THRUST_200600_302600_NS6detail15normal_iteratorINS9_10device_ptrIiEEEESE_iNS9_4plusIvEEiEEDaPvRmT3_T4_T5_mT6_P12ihipStream_tbENKUlT_T0_E_clISt17integral_constantIbLb0EESU_EEDaSP_SQ_EUlSP_E0_NS1_11comp_targetILNS1_3genE2ELNS1_11target_archE906ELNS1_3gpuE6ELNS1_3repE0EEENS1_30default_config_static_selectorELNS0_4arch9wavefront6targetE0EEEvT1_
    .private_segment_fixed_size: 0
    .sgpr_count:     0
    .sgpr_spill_count: 0
    .symbol:         _ZN7rocprim17ROCPRIM_400000_NS6detail17trampoline_kernelINS0_14default_configENS1_20scan_config_selectorIiEEZZNS1_9scan_implILNS1_25lookback_scan_determinismE0ELb0ELb0ES3_N6thrust23THRUST_200600_302600_NS6detail15normal_iteratorINS9_10device_ptrIiEEEESE_iNS9_4plusIvEEiEEDaPvRmT3_T4_T5_mT6_P12ihipStream_tbENKUlT_T0_E_clISt17integral_constantIbLb0EESU_EEDaSP_SQ_EUlSP_E0_NS1_11comp_targetILNS1_3genE2ELNS1_11target_archE906ELNS1_3gpuE6ELNS1_3repE0EEENS1_30default_config_static_selectorELNS0_4arch9wavefront6targetE0EEEvT1_.kd
    .uniform_work_group_size: 1
    .uses_dynamic_stack: false
    .vgpr_count:     0
    .vgpr_spill_count: 0
    .wavefront_size: 32
  - .args:
      - .offset:         0
        .size:           32
        .value_kind:     by_value
    .group_segment_fixed_size: 0
    .kernarg_segment_align: 8
    .kernarg_segment_size: 32
    .language:       OpenCL C
    .language_version:
      - 2
      - 0
    .max_flat_workgroup_size: 256
    .name:           _ZN7rocprim17ROCPRIM_400000_NS6detail17trampoline_kernelINS0_14default_configENS1_20scan_config_selectorIiEEZZNS1_9scan_implILNS1_25lookback_scan_determinismE0ELb0ELb0ES3_N6thrust23THRUST_200600_302600_NS6detail15normal_iteratorINS9_10device_ptrIiEEEESE_iNS9_4plusIvEEiEEDaPvRmT3_T4_T5_mT6_P12ihipStream_tbENKUlT_T0_E_clISt17integral_constantIbLb0EESU_EEDaSP_SQ_EUlSP_E0_NS1_11comp_targetILNS1_3genE10ELNS1_11target_archE1201ELNS1_3gpuE5ELNS1_3repE0EEENS1_30default_config_static_selectorELNS0_4arch9wavefront6targetE0EEEvT1_
    .private_segment_fixed_size: 0
    .sgpr_count:     0
    .sgpr_spill_count: 0
    .symbol:         _ZN7rocprim17ROCPRIM_400000_NS6detail17trampoline_kernelINS0_14default_configENS1_20scan_config_selectorIiEEZZNS1_9scan_implILNS1_25lookback_scan_determinismE0ELb0ELb0ES3_N6thrust23THRUST_200600_302600_NS6detail15normal_iteratorINS9_10device_ptrIiEEEESE_iNS9_4plusIvEEiEEDaPvRmT3_T4_T5_mT6_P12ihipStream_tbENKUlT_T0_E_clISt17integral_constantIbLb0EESU_EEDaSP_SQ_EUlSP_E0_NS1_11comp_targetILNS1_3genE10ELNS1_11target_archE1201ELNS1_3gpuE5ELNS1_3repE0EEENS1_30default_config_static_selectorELNS0_4arch9wavefront6targetE0EEEvT1_.kd
    .uniform_work_group_size: 1
    .uses_dynamic_stack: false
    .vgpr_count:     0
    .vgpr_spill_count: 0
    .wavefront_size: 32
  - .args:
      - .offset:         0
        .size:           32
        .value_kind:     by_value
    .group_segment_fixed_size: 0
    .kernarg_segment_align: 8
    .kernarg_segment_size: 32
    .language:       OpenCL C
    .language_version:
      - 2
      - 0
    .max_flat_workgroup_size: 256
    .name:           _ZN7rocprim17ROCPRIM_400000_NS6detail17trampoline_kernelINS0_14default_configENS1_20scan_config_selectorIiEEZZNS1_9scan_implILNS1_25lookback_scan_determinismE0ELb0ELb0ES3_N6thrust23THRUST_200600_302600_NS6detail15normal_iteratorINS9_10device_ptrIiEEEESE_iNS9_4plusIvEEiEEDaPvRmT3_T4_T5_mT6_P12ihipStream_tbENKUlT_T0_E_clISt17integral_constantIbLb0EESU_EEDaSP_SQ_EUlSP_E0_NS1_11comp_targetILNS1_3genE10ELNS1_11target_archE1200ELNS1_3gpuE4ELNS1_3repE0EEENS1_30default_config_static_selectorELNS0_4arch9wavefront6targetE0EEEvT1_
    .private_segment_fixed_size: 0
    .sgpr_count:     0
    .sgpr_spill_count: 0
    .symbol:         _ZN7rocprim17ROCPRIM_400000_NS6detail17trampoline_kernelINS0_14default_configENS1_20scan_config_selectorIiEEZZNS1_9scan_implILNS1_25lookback_scan_determinismE0ELb0ELb0ES3_N6thrust23THRUST_200600_302600_NS6detail15normal_iteratorINS9_10device_ptrIiEEEESE_iNS9_4plusIvEEiEEDaPvRmT3_T4_T5_mT6_P12ihipStream_tbENKUlT_T0_E_clISt17integral_constantIbLb0EESU_EEDaSP_SQ_EUlSP_E0_NS1_11comp_targetILNS1_3genE10ELNS1_11target_archE1200ELNS1_3gpuE4ELNS1_3repE0EEENS1_30default_config_static_selectorELNS0_4arch9wavefront6targetE0EEEvT1_.kd
    .uniform_work_group_size: 1
    .uses_dynamic_stack: false
    .vgpr_count:     0
    .vgpr_spill_count: 0
    .wavefront_size: 32
  - .args:
      - .offset:         0
        .size:           32
        .value_kind:     by_value
    .group_segment_fixed_size: 0
    .kernarg_segment_align: 8
    .kernarg_segment_size: 32
    .language:       OpenCL C
    .language_version:
      - 2
      - 0
    .max_flat_workgroup_size: 256
    .name:           _ZN7rocprim17ROCPRIM_400000_NS6detail17trampoline_kernelINS0_14default_configENS1_20scan_config_selectorIiEEZZNS1_9scan_implILNS1_25lookback_scan_determinismE0ELb0ELb0ES3_N6thrust23THRUST_200600_302600_NS6detail15normal_iteratorINS9_10device_ptrIiEEEESE_iNS9_4plusIvEEiEEDaPvRmT3_T4_T5_mT6_P12ihipStream_tbENKUlT_T0_E_clISt17integral_constantIbLb0EESU_EEDaSP_SQ_EUlSP_E0_NS1_11comp_targetILNS1_3genE9ELNS1_11target_archE1100ELNS1_3gpuE3ELNS1_3repE0EEENS1_30default_config_static_selectorELNS0_4arch9wavefront6targetE0EEEvT1_
    .private_segment_fixed_size: 0
    .sgpr_count:     0
    .sgpr_spill_count: 0
    .symbol:         _ZN7rocprim17ROCPRIM_400000_NS6detail17trampoline_kernelINS0_14default_configENS1_20scan_config_selectorIiEEZZNS1_9scan_implILNS1_25lookback_scan_determinismE0ELb0ELb0ES3_N6thrust23THRUST_200600_302600_NS6detail15normal_iteratorINS9_10device_ptrIiEEEESE_iNS9_4plusIvEEiEEDaPvRmT3_T4_T5_mT6_P12ihipStream_tbENKUlT_T0_E_clISt17integral_constantIbLb0EESU_EEDaSP_SQ_EUlSP_E0_NS1_11comp_targetILNS1_3genE9ELNS1_11target_archE1100ELNS1_3gpuE3ELNS1_3repE0EEENS1_30default_config_static_selectorELNS0_4arch9wavefront6targetE0EEEvT1_.kd
    .uniform_work_group_size: 1
    .uses_dynamic_stack: false
    .vgpr_count:     0
    .vgpr_spill_count: 0
    .wavefront_size: 32
  - .args:
      - .offset:         0
        .size:           32
        .value_kind:     by_value
    .group_segment_fixed_size: 0
    .kernarg_segment_align: 8
    .kernarg_segment_size: 32
    .language:       OpenCL C
    .language_version:
      - 2
      - 0
    .max_flat_workgroup_size: 64
    .name:           _ZN7rocprim17ROCPRIM_400000_NS6detail17trampoline_kernelINS0_14default_configENS1_20scan_config_selectorIiEEZZNS1_9scan_implILNS1_25lookback_scan_determinismE0ELb0ELb0ES3_N6thrust23THRUST_200600_302600_NS6detail15normal_iteratorINS9_10device_ptrIiEEEESE_iNS9_4plusIvEEiEEDaPvRmT3_T4_T5_mT6_P12ihipStream_tbENKUlT_T0_E_clISt17integral_constantIbLb0EESU_EEDaSP_SQ_EUlSP_E0_NS1_11comp_targetILNS1_3genE8ELNS1_11target_archE1030ELNS1_3gpuE2ELNS1_3repE0EEENS1_30default_config_static_selectorELNS0_4arch9wavefront6targetE0EEEvT1_
    .private_segment_fixed_size: 0
    .sgpr_count:     0
    .sgpr_spill_count: 0
    .symbol:         _ZN7rocprim17ROCPRIM_400000_NS6detail17trampoline_kernelINS0_14default_configENS1_20scan_config_selectorIiEEZZNS1_9scan_implILNS1_25lookback_scan_determinismE0ELb0ELb0ES3_N6thrust23THRUST_200600_302600_NS6detail15normal_iteratorINS9_10device_ptrIiEEEESE_iNS9_4plusIvEEiEEDaPvRmT3_T4_T5_mT6_P12ihipStream_tbENKUlT_T0_E_clISt17integral_constantIbLb0EESU_EEDaSP_SQ_EUlSP_E0_NS1_11comp_targetILNS1_3genE8ELNS1_11target_archE1030ELNS1_3gpuE2ELNS1_3repE0EEENS1_30default_config_static_selectorELNS0_4arch9wavefront6targetE0EEEvT1_.kd
    .uniform_work_group_size: 1
    .uses_dynamic_stack: false
    .vgpr_count:     0
    .vgpr_spill_count: 0
    .wavefront_size: 32
  - .args:
      - .address_space:  global
        .offset:         0
        .size:           8
        .value_kind:     global_buffer
      - .offset:         8
        .size:           4
        .value_kind:     by_value
      - .address_space:  global
        .offset:         16
        .size:           8
        .value_kind:     global_buffer
      - .offset:         24
        .size:           4
        .value_kind:     by_value
      - .address_space:  global
        .offset:         32
        .size:           8
        .value_kind:     global_buffer
      - .offset:         40
        .size:           4
        .value_kind:     hidden_block_count_x
      - .offset:         44
        .size:           4
        .value_kind:     hidden_block_count_y
      - .offset:         48
        .size:           4
        .value_kind:     hidden_block_count_z
      - .offset:         52
        .size:           2
        .value_kind:     hidden_group_size_x
      - .offset:         54
        .size:           2
        .value_kind:     hidden_group_size_y
      - .offset:         56
        .size:           2
        .value_kind:     hidden_group_size_z
      - .offset:         58
        .size:           2
        .value_kind:     hidden_remainder_x
      - .offset:         60
        .size:           2
        .value_kind:     hidden_remainder_y
      - .offset:         62
        .size:           2
        .value_kind:     hidden_remainder_z
      - .offset:         80
        .size:           8
        .value_kind:     hidden_global_offset_x
      - .offset:         88
        .size:           8
        .value_kind:     hidden_global_offset_y
      - .offset:         96
        .size:           8
        .value_kind:     hidden_global_offset_z
      - .offset:         104
        .size:           2
        .value_kind:     hidden_grid_dims
    .group_segment_fixed_size: 0
    .kernarg_segment_align: 8
    .kernarg_segment_size: 296
    .language:       OpenCL C
    .language_version:
      - 2
      - 0
    .max_flat_workgroup_size: 256
    .name:           _ZN7rocprim17ROCPRIM_400000_NS6detail31init_lookback_scan_state_kernelINS1_19lookback_scan_stateIiLb1ELb1EEENS1_16block_id_wrapperIjLb1EEEEEvT_jT0_jPNS7_10value_typeE
    .private_segment_fixed_size: 0
    .sgpr_count:     14
    .sgpr_spill_count: 0
    .symbol:         _ZN7rocprim17ROCPRIM_400000_NS6detail31init_lookback_scan_state_kernelINS1_19lookback_scan_stateIiLb1ELb1EEENS1_16block_id_wrapperIjLb1EEEEEvT_jT0_jPNS7_10value_typeE.kd
    .uniform_work_group_size: 1
    .uses_dynamic_stack: false
    .vgpr_count:     5
    .vgpr_spill_count: 0
    .wavefront_size: 32
  - .args:
      - .offset:         0
        .size:           96
        .value_kind:     by_value
    .group_segment_fixed_size: 0
    .kernarg_segment_align: 8
    .kernarg_segment_size: 96
    .language:       OpenCL C
    .language_version:
      - 2
      - 0
    .max_flat_workgroup_size: 256
    .name:           _ZN7rocprim17ROCPRIM_400000_NS6detail17trampoline_kernelINS0_14default_configENS1_20scan_config_selectorIiEEZZNS1_9scan_implILNS1_25lookback_scan_determinismE0ELb0ELb0ES3_N6thrust23THRUST_200600_302600_NS6detail15normal_iteratorINS9_10device_ptrIiEEEESE_iNS9_4plusIvEEiEEDaPvRmT3_T4_T5_mT6_P12ihipStream_tbENKUlT_T0_E_clISt17integral_constantIbLb1EESU_EEDaSP_SQ_EUlSP_E_NS1_11comp_targetILNS1_3genE0ELNS1_11target_archE4294967295ELNS1_3gpuE0ELNS1_3repE0EEENS1_30default_config_static_selectorELNS0_4arch9wavefront6targetE0EEEvT1_
    .private_segment_fixed_size: 0
    .sgpr_count:     0
    .sgpr_spill_count: 0
    .symbol:         _ZN7rocprim17ROCPRIM_400000_NS6detail17trampoline_kernelINS0_14default_configENS1_20scan_config_selectorIiEEZZNS1_9scan_implILNS1_25lookback_scan_determinismE0ELb0ELb0ES3_N6thrust23THRUST_200600_302600_NS6detail15normal_iteratorINS9_10device_ptrIiEEEESE_iNS9_4plusIvEEiEEDaPvRmT3_T4_T5_mT6_P12ihipStream_tbENKUlT_T0_E_clISt17integral_constantIbLb1EESU_EEDaSP_SQ_EUlSP_E_NS1_11comp_targetILNS1_3genE0ELNS1_11target_archE4294967295ELNS1_3gpuE0ELNS1_3repE0EEENS1_30default_config_static_selectorELNS0_4arch9wavefront6targetE0EEEvT1_.kd
    .uniform_work_group_size: 1
    .uses_dynamic_stack: false
    .vgpr_count:     0
    .vgpr_spill_count: 0
    .wavefront_size: 32
  - .args:
      - .offset:         0
        .size:           96
        .value_kind:     by_value
    .group_segment_fixed_size: 0
    .kernarg_segment_align: 8
    .kernarg_segment_size: 96
    .language:       OpenCL C
    .language_version:
      - 2
      - 0
    .max_flat_workgroup_size: 256
    .name:           _ZN7rocprim17ROCPRIM_400000_NS6detail17trampoline_kernelINS0_14default_configENS1_20scan_config_selectorIiEEZZNS1_9scan_implILNS1_25lookback_scan_determinismE0ELb0ELb0ES3_N6thrust23THRUST_200600_302600_NS6detail15normal_iteratorINS9_10device_ptrIiEEEESE_iNS9_4plusIvEEiEEDaPvRmT3_T4_T5_mT6_P12ihipStream_tbENKUlT_T0_E_clISt17integral_constantIbLb1EESU_EEDaSP_SQ_EUlSP_E_NS1_11comp_targetILNS1_3genE5ELNS1_11target_archE942ELNS1_3gpuE9ELNS1_3repE0EEENS1_30default_config_static_selectorELNS0_4arch9wavefront6targetE0EEEvT1_
    .private_segment_fixed_size: 0
    .sgpr_count:     0
    .sgpr_spill_count: 0
    .symbol:         _ZN7rocprim17ROCPRIM_400000_NS6detail17trampoline_kernelINS0_14default_configENS1_20scan_config_selectorIiEEZZNS1_9scan_implILNS1_25lookback_scan_determinismE0ELb0ELb0ES3_N6thrust23THRUST_200600_302600_NS6detail15normal_iteratorINS9_10device_ptrIiEEEESE_iNS9_4plusIvEEiEEDaPvRmT3_T4_T5_mT6_P12ihipStream_tbENKUlT_T0_E_clISt17integral_constantIbLb1EESU_EEDaSP_SQ_EUlSP_E_NS1_11comp_targetILNS1_3genE5ELNS1_11target_archE942ELNS1_3gpuE9ELNS1_3repE0EEENS1_30default_config_static_selectorELNS0_4arch9wavefront6targetE0EEEvT1_.kd
    .uniform_work_group_size: 1
    .uses_dynamic_stack: false
    .vgpr_count:     0
    .vgpr_spill_count: 0
    .wavefront_size: 32
  - .args:
      - .offset:         0
        .size:           96
        .value_kind:     by_value
    .group_segment_fixed_size: 0
    .kernarg_segment_align: 8
    .kernarg_segment_size: 96
    .language:       OpenCL C
    .language_version:
      - 2
      - 0
    .max_flat_workgroup_size: 128
    .name:           _ZN7rocprim17ROCPRIM_400000_NS6detail17trampoline_kernelINS0_14default_configENS1_20scan_config_selectorIiEEZZNS1_9scan_implILNS1_25lookback_scan_determinismE0ELb0ELb0ES3_N6thrust23THRUST_200600_302600_NS6detail15normal_iteratorINS9_10device_ptrIiEEEESE_iNS9_4plusIvEEiEEDaPvRmT3_T4_T5_mT6_P12ihipStream_tbENKUlT_T0_E_clISt17integral_constantIbLb1EESU_EEDaSP_SQ_EUlSP_E_NS1_11comp_targetILNS1_3genE4ELNS1_11target_archE910ELNS1_3gpuE8ELNS1_3repE0EEENS1_30default_config_static_selectorELNS0_4arch9wavefront6targetE0EEEvT1_
    .private_segment_fixed_size: 0
    .sgpr_count:     0
    .sgpr_spill_count: 0
    .symbol:         _ZN7rocprim17ROCPRIM_400000_NS6detail17trampoline_kernelINS0_14default_configENS1_20scan_config_selectorIiEEZZNS1_9scan_implILNS1_25lookback_scan_determinismE0ELb0ELb0ES3_N6thrust23THRUST_200600_302600_NS6detail15normal_iteratorINS9_10device_ptrIiEEEESE_iNS9_4plusIvEEiEEDaPvRmT3_T4_T5_mT6_P12ihipStream_tbENKUlT_T0_E_clISt17integral_constantIbLb1EESU_EEDaSP_SQ_EUlSP_E_NS1_11comp_targetILNS1_3genE4ELNS1_11target_archE910ELNS1_3gpuE8ELNS1_3repE0EEENS1_30default_config_static_selectorELNS0_4arch9wavefront6targetE0EEEvT1_.kd
    .uniform_work_group_size: 1
    .uses_dynamic_stack: false
    .vgpr_count:     0
    .vgpr_spill_count: 0
    .wavefront_size: 32
  - .args:
      - .offset:         0
        .size:           96
        .value_kind:     by_value
    .group_segment_fixed_size: 0
    .kernarg_segment_align: 8
    .kernarg_segment_size: 96
    .language:       OpenCL C
    .language_version:
      - 2
      - 0
    .max_flat_workgroup_size: 256
    .name:           _ZN7rocprim17ROCPRIM_400000_NS6detail17trampoline_kernelINS0_14default_configENS1_20scan_config_selectorIiEEZZNS1_9scan_implILNS1_25lookback_scan_determinismE0ELb0ELb0ES3_N6thrust23THRUST_200600_302600_NS6detail15normal_iteratorINS9_10device_ptrIiEEEESE_iNS9_4plusIvEEiEEDaPvRmT3_T4_T5_mT6_P12ihipStream_tbENKUlT_T0_E_clISt17integral_constantIbLb1EESU_EEDaSP_SQ_EUlSP_E_NS1_11comp_targetILNS1_3genE3ELNS1_11target_archE908ELNS1_3gpuE7ELNS1_3repE0EEENS1_30default_config_static_selectorELNS0_4arch9wavefront6targetE0EEEvT1_
    .private_segment_fixed_size: 0
    .sgpr_count:     0
    .sgpr_spill_count: 0
    .symbol:         _ZN7rocprim17ROCPRIM_400000_NS6detail17trampoline_kernelINS0_14default_configENS1_20scan_config_selectorIiEEZZNS1_9scan_implILNS1_25lookback_scan_determinismE0ELb0ELb0ES3_N6thrust23THRUST_200600_302600_NS6detail15normal_iteratorINS9_10device_ptrIiEEEESE_iNS9_4plusIvEEiEEDaPvRmT3_T4_T5_mT6_P12ihipStream_tbENKUlT_T0_E_clISt17integral_constantIbLb1EESU_EEDaSP_SQ_EUlSP_E_NS1_11comp_targetILNS1_3genE3ELNS1_11target_archE908ELNS1_3gpuE7ELNS1_3repE0EEENS1_30default_config_static_selectorELNS0_4arch9wavefront6targetE0EEEvT1_.kd
    .uniform_work_group_size: 1
    .uses_dynamic_stack: false
    .vgpr_count:     0
    .vgpr_spill_count: 0
    .wavefront_size: 32
  - .args:
      - .offset:         0
        .size:           96
        .value_kind:     by_value
    .group_segment_fixed_size: 0
    .kernarg_segment_align: 8
    .kernarg_segment_size: 96
    .language:       OpenCL C
    .language_version:
      - 2
      - 0
    .max_flat_workgroup_size: 256
    .name:           _ZN7rocprim17ROCPRIM_400000_NS6detail17trampoline_kernelINS0_14default_configENS1_20scan_config_selectorIiEEZZNS1_9scan_implILNS1_25lookback_scan_determinismE0ELb0ELb0ES3_N6thrust23THRUST_200600_302600_NS6detail15normal_iteratorINS9_10device_ptrIiEEEESE_iNS9_4plusIvEEiEEDaPvRmT3_T4_T5_mT6_P12ihipStream_tbENKUlT_T0_E_clISt17integral_constantIbLb1EESU_EEDaSP_SQ_EUlSP_E_NS1_11comp_targetILNS1_3genE2ELNS1_11target_archE906ELNS1_3gpuE6ELNS1_3repE0EEENS1_30default_config_static_selectorELNS0_4arch9wavefront6targetE0EEEvT1_
    .private_segment_fixed_size: 0
    .sgpr_count:     0
    .sgpr_spill_count: 0
    .symbol:         _ZN7rocprim17ROCPRIM_400000_NS6detail17trampoline_kernelINS0_14default_configENS1_20scan_config_selectorIiEEZZNS1_9scan_implILNS1_25lookback_scan_determinismE0ELb0ELb0ES3_N6thrust23THRUST_200600_302600_NS6detail15normal_iteratorINS9_10device_ptrIiEEEESE_iNS9_4plusIvEEiEEDaPvRmT3_T4_T5_mT6_P12ihipStream_tbENKUlT_T0_E_clISt17integral_constantIbLb1EESU_EEDaSP_SQ_EUlSP_E_NS1_11comp_targetILNS1_3genE2ELNS1_11target_archE906ELNS1_3gpuE6ELNS1_3repE0EEENS1_30default_config_static_selectorELNS0_4arch9wavefront6targetE0EEEvT1_.kd
    .uniform_work_group_size: 1
    .uses_dynamic_stack: false
    .vgpr_count:     0
    .vgpr_spill_count: 0
    .wavefront_size: 32
  - .args:
      - .offset:         0
        .size:           96
        .value_kind:     by_value
    .group_segment_fixed_size: 0
    .kernarg_segment_align: 8
    .kernarg_segment_size: 96
    .language:       OpenCL C
    .language_version:
      - 2
      - 0
    .max_flat_workgroup_size: 256
    .name:           _ZN7rocprim17ROCPRIM_400000_NS6detail17trampoline_kernelINS0_14default_configENS1_20scan_config_selectorIiEEZZNS1_9scan_implILNS1_25lookback_scan_determinismE0ELb0ELb0ES3_N6thrust23THRUST_200600_302600_NS6detail15normal_iteratorINS9_10device_ptrIiEEEESE_iNS9_4plusIvEEiEEDaPvRmT3_T4_T5_mT6_P12ihipStream_tbENKUlT_T0_E_clISt17integral_constantIbLb1EESU_EEDaSP_SQ_EUlSP_E_NS1_11comp_targetILNS1_3genE10ELNS1_11target_archE1201ELNS1_3gpuE5ELNS1_3repE0EEENS1_30default_config_static_selectorELNS0_4arch9wavefront6targetE0EEEvT1_
    .private_segment_fixed_size: 0
    .sgpr_count:     0
    .sgpr_spill_count: 0
    .symbol:         _ZN7rocprim17ROCPRIM_400000_NS6detail17trampoline_kernelINS0_14default_configENS1_20scan_config_selectorIiEEZZNS1_9scan_implILNS1_25lookback_scan_determinismE0ELb0ELb0ES3_N6thrust23THRUST_200600_302600_NS6detail15normal_iteratorINS9_10device_ptrIiEEEESE_iNS9_4plusIvEEiEEDaPvRmT3_T4_T5_mT6_P12ihipStream_tbENKUlT_T0_E_clISt17integral_constantIbLb1EESU_EEDaSP_SQ_EUlSP_E_NS1_11comp_targetILNS1_3genE10ELNS1_11target_archE1201ELNS1_3gpuE5ELNS1_3repE0EEENS1_30default_config_static_selectorELNS0_4arch9wavefront6targetE0EEEvT1_.kd
    .uniform_work_group_size: 1
    .uses_dynamic_stack: false
    .vgpr_count:     0
    .vgpr_spill_count: 0
    .wavefront_size: 32
  - .args:
      - .offset:         0
        .size:           96
        .value_kind:     by_value
    .group_segment_fixed_size: 0
    .kernarg_segment_align: 8
    .kernarg_segment_size: 96
    .language:       OpenCL C
    .language_version:
      - 2
      - 0
    .max_flat_workgroup_size: 256
    .name:           _ZN7rocprim17ROCPRIM_400000_NS6detail17trampoline_kernelINS0_14default_configENS1_20scan_config_selectorIiEEZZNS1_9scan_implILNS1_25lookback_scan_determinismE0ELb0ELb0ES3_N6thrust23THRUST_200600_302600_NS6detail15normal_iteratorINS9_10device_ptrIiEEEESE_iNS9_4plusIvEEiEEDaPvRmT3_T4_T5_mT6_P12ihipStream_tbENKUlT_T0_E_clISt17integral_constantIbLb1EESU_EEDaSP_SQ_EUlSP_E_NS1_11comp_targetILNS1_3genE10ELNS1_11target_archE1200ELNS1_3gpuE4ELNS1_3repE0EEENS1_30default_config_static_selectorELNS0_4arch9wavefront6targetE0EEEvT1_
    .private_segment_fixed_size: 0
    .sgpr_count:     0
    .sgpr_spill_count: 0
    .symbol:         _ZN7rocprim17ROCPRIM_400000_NS6detail17trampoline_kernelINS0_14default_configENS1_20scan_config_selectorIiEEZZNS1_9scan_implILNS1_25lookback_scan_determinismE0ELb0ELb0ES3_N6thrust23THRUST_200600_302600_NS6detail15normal_iteratorINS9_10device_ptrIiEEEESE_iNS9_4plusIvEEiEEDaPvRmT3_T4_T5_mT6_P12ihipStream_tbENKUlT_T0_E_clISt17integral_constantIbLb1EESU_EEDaSP_SQ_EUlSP_E_NS1_11comp_targetILNS1_3genE10ELNS1_11target_archE1200ELNS1_3gpuE4ELNS1_3repE0EEENS1_30default_config_static_selectorELNS0_4arch9wavefront6targetE0EEEvT1_.kd
    .uniform_work_group_size: 1
    .uses_dynamic_stack: false
    .vgpr_count:     0
    .vgpr_spill_count: 0
    .wavefront_size: 32
  - .args:
      - .offset:         0
        .size:           96
        .value_kind:     by_value
    .group_segment_fixed_size: 0
    .kernarg_segment_align: 8
    .kernarg_segment_size: 96
    .language:       OpenCL C
    .language_version:
      - 2
      - 0
    .max_flat_workgroup_size: 256
    .name:           _ZN7rocprim17ROCPRIM_400000_NS6detail17trampoline_kernelINS0_14default_configENS1_20scan_config_selectorIiEEZZNS1_9scan_implILNS1_25lookback_scan_determinismE0ELb0ELb0ES3_N6thrust23THRUST_200600_302600_NS6detail15normal_iteratorINS9_10device_ptrIiEEEESE_iNS9_4plusIvEEiEEDaPvRmT3_T4_T5_mT6_P12ihipStream_tbENKUlT_T0_E_clISt17integral_constantIbLb1EESU_EEDaSP_SQ_EUlSP_E_NS1_11comp_targetILNS1_3genE9ELNS1_11target_archE1100ELNS1_3gpuE3ELNS1_3repE0EEENS1_30default_config_static_selectorELNS0_4arch9wavefront6targetE0EEEvT1_
    .private_segment_fixed_size: 0
    .sgpr_count:     0
    .sgpr_spill_count: 0
    .symbol:         _ZN7rocprim17ROCPRIM_400000_NS6detail17trampoline_kernelINS0_14default_configENS1_20scan_config_selectorIiEEZZNS1_9scan_implILNS1_25lookback_scan_determinismE0ELb0ELb0ES3_N6thrust23THRUST_200600_302600_NS6detail15normal_iteratorINS9_10device_ptrIiEEEESE_iNS9_4plusIvEEiEEDaPvRmT3_T4_T5_mT6_P12ihipStream_tbENKUlT_T0_E_clISt17integral_constantIbLb1EESU_EEDaSP_SQ_EUlSP_E_NS1_11comp_targetILNS1_3genE9ELNS1_11target_archE1100ELNS1_3gpuE3ELNS1_3repE0EEENS1_30default_config_static_selectorELNS0_4arch9wavefront6targetE0EEEvT1_.kd
    .uniform_work_group_size: 1
    .uses_dynamic_stack: false
    .vgpr_count:     0
    .vgpr_spill_count: 0
    .wavefront_size: 32
  - .args:
      - .offset:         0
        .size:           96
        .value_kind:     by_value
    .group_segment_fixed_size: 0
    .kernarg_segment_align: 8
    .kernarg_segment_size: 96
    .language:       OpenCL C
    .language_version:
      - 2
      - 0
    .max_flat_workgroup_size: 64
    .name:           _ZN7rocprim17ROCPRIM_400000_NS6detail17trampoline_kernelINS0_14default_configENS1_20scan_config_selectorIiEEZZNS1_9scan_implILNS1_25lookback_scan_determinismE0ELb0ELb0ES3_N6thrust23THRUST_200600_302600_NS6detail15normal_iteratorINS9_10device_ptrIiEEEESE_iNS9_4plusIvEEiEEDaPvRmT3_T4_T5_mT6_P12ihipStream_tbENKUlT_T0_E_clISt17integral_constantIbLb1EESU_EEDaSP_SQ_EUlSP_E_NS1_11comp_targetILNS1_3genE8ELNS1_11target_archE1030ELNS1_3gpuE2ELNS1_3repE0EEENS1_30default_config_static_selectorELNS0_4arch9wavefront6targetE0EEEvT1_
    .private_segment_fixed_size: 0
    .sgpr_count:     0
    .sgpr_spill_count: 0
    .symbol:         _ZN7rocprim17ROCPRIM_400000_NS6detail17trampoline_kernelINS0_14default_configENS1_20scan_config_selectorIiEEZZNS1_9scan_implILNS1_25lookback_scan_determinismE0ELb0ELb0ES3_N6thrust23THRUST_200600_302600_NS6detail15normal_iteratorINS9_10device_ptrIiEEEESE_iNS9_4plusIvEEiEEDaPvRmT3_T4_T5_mT6_P12ihipStream_tbENKUlT_T0_E_clISt17integral_constantIbLb1EESU_EEDaSP_SQ_EUlSP_E_NS1_11comp_targetILNS1_3genE8ELNS1_11target_archE1030ELNS1_3gpuE2ELNS1_3repE0EEENS1_30default_config_static_selectorELNS0_4arch9wavefront6targetE0EEEvT1_.kd
    .uniform_work_group_size: 1
    .uses_dynamic_stack: false
    .vgpr_count:     0
    .vgpr_spill_count: 0
    .wavefront_size: 32
  - .args:
      - .offset:         0
        .size:           32
        .value_kind:     by_value
    .group_segment_fixed_size: 14336
    .kernarg_segment_align: 8
    .kernarg_segment_size: 32
    .language:       OpenCL C
    .language_version:
      - 2
      - 0
    .max_flat_workgroup_size: 256
    .name:           _ZN7rocprim17ROCPRIM_400000_NS6detail17trampoline_kernelINS0_14default_configENS1_20scan_config_selectorIiEEZZNS1_9scan_implILNS1_25lookback_scan_determinismE0ELb0ELb0ES3_N6thrust23THRUST_200600_302600_NS6detail15normal_iteratorINS9_10device_ptrIiEEEESE_iNS9_4plusIvEEiEEDaPvRmT3_T4_T5_mT6_P12ihipStream_tbENKUlT_T0_E_clISt17integral_constantIbLb1EESU_EEDaSP_SQ_EUlSP_E0_NS1_11comp_targetILNS1_3genE0ELNS1_11target_archE4294967295ELNS1_3gpuE0ELNS1_3repE0EEENS1_30default_config_static_selectorELNS0_4arch9wavefront6targetE0EEEvT1_
    .private_segment_fixed_size: 0
    .sgpr_count:     22
    .sgpr_spill_count: 0
    .symbol:         _ZN7rocprim17ROCPRIM_400000_NS6detail17trampoline_kernelINS0_14default_configENS1_20scan_config_selectorIiEEZZNS1_9scan_implILNS1_25lookback_scan_determinismE0ELb0ELb0ES3_N6thrust23THRUST_200600_302600_NS6detail15normal_iteratorINS9_10device_ptrIiEEEESE_iNS9_4plusIvEEiEEDaPvRmT3_T4_T5_mT6_P12ihipStream_tbENKUlT_T0_E_clISt17integral_constantIbLb1EESU_EEDaSP_SQ_EUlSP_E0_NS1_11comp_targetILNS1_3genE0ELNS1_11target_archE4294967295ELNS1_3gpuE0ELNS1_3repE0EEENS1_30default_config_static_selectorELNS0_4arch9wavefront6targetE0EEEvT1_.kd
    .uniform_work_group_size: 1
    .uses_dynamic_stack: false
    .vgpr_count:     35
    .vgpr_spill_count: 0
    .wavefront_size: 32
  - .args:
      - .offset:         0
        .size:           32
        .value_kind:     by_value
    .group_segment_fixed_size: 0
    .kernarg_segment_align: 8
    .kernarg_segment_size: 32
    .language:       OpenCL C
    .language_version:
      - 2
      - 0
    .max_flat_workgroup_size: 256
    .name:           _ZN7rocprim17ROCPRIM_400000_NS6detail17trampoline_kernelINS0_14default_configENS1_20scan_config_selectorIiEEZZNS1_9scan_implILNS1_25lookback_scan_determinismE0ELb0ELb0ES3_N6thrust23THRUST_200600_302600_NS6detail15normal_iteratorINS9_10device_ptrIiEEEESE_iNS9_4plusIvEEiEEDaPvRmT3_T4_T5_mT6_P12ihipStream_tbENKUlT_T0_E_clISt17integral_constantIbLb1EESU_EEDaSP_SQ_EUlSP_E0_NS1_11comp_targetILNS1_3genE5ELNS1_11target_archE942ELNS1_3gpuE9ELNS1_3repE0EEENS1_30default_config_static_selectorELNS0_4arch9wavefront6targetE0EEEvT1_
    .private_segment_fixed_size: 0
    .sgpr_count:     0
    .sgpr_spill_count: 0
    .symbol:         _ZN7rocprim17ROCPRIM_400000_NS6detail17trampoline_kernelINS0_14default_configENS1_20scan_config_selectorIiEEZZNS1_9scan_implILNS1_25lookback_scan_determinismE0ELb0ELb0ES3_N6thrust23THRUST_200600_302600_NS6detail15normal_iteratorINS9_10device_ptrIiEEEESE_iNS9_4plusIvEEiEEDaPvRmT3_T4_T5_mT6_P12ihipStream_tbENKUlT_T0_E_clISt17integral_constantIbLb1EESU_EEDaSP_SQ_EUlSP_E0_NS1_11comp_targetILNS1_3genE5ELNS1_11target_archE942ELNS1_3gpuE9ELNS1_3repE0EEENS1_30default_config_static_selectorELNS0_4arch9wavefront6targetE0EEEvT1_.kd
    .uniform_work_group_size: 1
    .uses_dynamic_stack: false
    .vgpr_count:     0
    .vgpr_spill_count: 0
    .wavefront_size: 32
  - .args:
      - .offset:         0
        .size:           32
        .value_kind:     by_value
    .group_segment_fixed_size: 0
    .kernarg_segment_align: 8
    .kernarg_segment_size: 32
    .language:       OpenCL C
    .language_version:
      - 2
      - 0
    .max_flat_workgroup_size: 128
    .name:           _ZN7rocprim17ROCPRIM_400000_NS6detail17trampoline_kernelINS0_14default_configENS1_20scan_config_selectorIiEEZZNS1_9scan_implILNS1_25lookback_scan_determinismE0ELb0ELb0ES3_N6thrust23THRUST_200600_302600_NS6detail15normal_iteratorINS9_10device_ptrIiEEEESE_iNS9_4plusIvEEiEEDaPvRmT3_T4_T5_mT6_P12ihipStream_tbENKUlT_T0_E_clISt17integral_constantIbLb1EESU_EEDaSP_SQ_EUlSP_E0_NS1_11comp_targetILNS1_3genE4ELNS1_11target_archE910ELNS1_3gpuE8ELNS1_3repE0EEENS1_30default_config_static_selectorELNS0_4arch9wavefront6targetE0EEEvT1_
    .private_segment_fixed_size: 0
    .sgpr_count:     0
    .sgpr_spill_count: 0
    .symbol:         _ZN7rocprim17ROCPRIM_400000_NS6detail17trampoline_kernelINS0_14default_configENS1_20scan_config_selectorIiEEZZNS1_9scan_implILNS1_25lookback_scan_determinismE0ELb0ELb0ES3_N6thrust23THRUST_200600_302600_NS6detail15normal_iteratorINS9_10device_ptrIiEEEESE_iNS9_4plusIvEEiEEDaPvRmT3_T4_T5_mT6_P12ihipStream_tbENKUlT_T0_E_clISt17integral_constantIbLb1EESU_EEDaSP_SQ_EUlSP_E0_NS1_11comp_targetILNS1_3genE4ELNS1_11target_archE910ELNS1_3gpuE8ELNS1_3repE0EEENS1_30default_config_static_selectorELNS0_4arch9wavefront6targetE0EEEvT1_.kd
    .uniform_work_group_size: 1
    .uses_dynamic_stack: false
    .vgpr_count:     0
    .vgpr_spill_count: 0
    .wavefront_size: 32
  - .args:
      - .offset:         0
        .size:           32
        .value_kind:     by_value
    .group_segment_fixed_size: 0
    .kernarg_segment_align: 8
    .kernarg_segment_size: 32
    .language:       OpenCL C
    .language_version:
      - 2
      - 0
    .max_flat_workgroup_size: 256
    .name:           _ZN7rocprim17ROCPRIM_400000_NS6detail17trampoline_kernelINS0_14default_configENS1_20scan_config_selectorIiEEZZNS1_9scan_implILNS1_25lookback_scan_determinismE0ELb0ELb0ES3_N6thrust23THRUST_200600_302600_NS6detail15normal_iteratorINS9_10device_ptrIiEEEESE_iNS9_4plusIvEEiEEDaPvRmT3_T4_T5_mT6_P12ihipStream_tbENKUlT_T0_E_clISt17integral_constantIbLb1EESU_EEDaSP_SQ_EUlSP_E0_NS1_11comp_targetILNS1_3genE3ELNS1_11target_archE908ELNS1_3gpuE7ELNS1_3repE0EEENS1_30default_config_static_selectorELNS0_4arch9wavefront6targetE0EEEvT1_
    .private_segment_fixed_size: 0
    .sgpr_count:     0
    .sgpr_spill_count: 0
    .symbol:         _ZN7rocprim17ROCPRIM_400000_NS6detail17trampoline_kernelINS0_14default_configENS1_20scan_config_selectorIiEEZZNS1_9scan_implILNS1_25lookback_scan_determinismE0ELb0ELb0ES3_N6thrust23THRUST_200600_302600_NS6detail15normal_iteratorINS9_10device_ptrIiEEEESE_iNS9_4plusIvEEiEEDaPvRmT3_T4_T5_mT6_P12ihipStream_tbENKUlT_T0_E_clISt17integral_constantIbLb1EESU_EEDaSP_SQ_EUlSP_E0_NS1_11comp_targetILNS1_3genE3ELNS1_11target_archE908ELNS1_3gpuE7ELNS1_3repE0EEENS1_30default_config_static_selectorELNS0_4arch9wavefront6targetE0EEEvT1_.kd
    .uniform_work_group_size: 1
    .uses_dynamic_stack: false
    .vgpr_count:     0
    .vgpr_spill_count: 0
    .wavefront_size: 32
  - .args:
      - .offset:         0
        .size:           32
        .value_kind:     by_value
    .group_segment_fixed_size: 0
    .kernarg_segment_align: 8
    .kernarg_segment_size: 32
    .language:       OpenCL C
    .language_version:
      - 2
      - 0
    .max_flat_workgroup_size: 256
    .name:           _ZN7rocprim17ROCPRIM_400000_NS6detail17trampoline_kernelINS0_14default_configENS1_20scan_config_selectorIiEEZZNS1_9scan_implILNS1_25lookback_scan_determinismE0ELb0ELb0ES3_N6thrust23THRUST_200600_302600_NS6detail15normal_iteratorINS9_10device_ptrIiEEEESE_iNS9_4plusIvEEiEEDaPvRmT3_T4_T5_mT6_P12ihipStream_tbENKUlT_T0_E_clISt17integral_constantIbLb1EESU_EEDaSP_SQ_EUlSP_E0_NS1_11comp_targetILNS1_3genE2ELNS1_11target_archE906ELNS1_3gpuE6ELNS1_3repE0EEENS1_30default_config_static_selectorELNS0_4arch9wavefront6targetE0EEEvT1_
    .private_segment_fixed_size: 0
    .sgpr_count:     0
    .sgpr_spill_count: 0
    .symbol:         _ZN7rocprim17ROCPRIM_400000_NS6detail17trampoline_kernelINS0_14default_configENS1_20scan_config_selectorIiEEZZNS1_9scan_implILNS1_25lookback_scan_determinismE0ELb0ELb0ES3_N6thrust23THRUST_200600_302600_NS6detail15normal_iteratorINS9_10device_ptrIiEEEESE_iNS9_4plusIvEEiEEDaPvRmT3_T4_T5_mT6_P12ihipStream_tbENKUlT_T0_E_clISt17integral_constantIbLb1EESU_EEDaSP_SQ_EUlSP_E0_NS1_11comp_targetILNS1_3genE2ELNS1_11target_archE906ELNS1_3gpuE6ELNS1_3repE0EEENS1_30default_config_static_selectorELNS0_4arch9wavefront6targetE0EEEvT1_.kd
    .uniform_work_group_size: 1
    .uses_dynamic_stack: false
    .vgpr_count:     0
    .vgpr_spill_count: 0
    .wavefront_size: 32
  - .args:
      - .offset:         0
        .size:           32
        .value_kind:     by_value
    .group_segment_fixed_size: 0
    .kernarg_segment_align: 8
    .kernarg_segment_size: 32
    .language:       OpenCL C
    .language_version:
      - 2
      - 0
    .max_flat_workgroup_size: 256
    .name:           _ZN7rocprim17ROCPRIM_400000_NS6detail17trampoline_kernelINS0_14default_configENS1_20scan_config_selectorIiEEZZNS1_9scan_implILNS1_25lookback_scan_determinismE0ELb0ELb0ES3_N6thrust23THRUST_200600_302600_NS6detail15normal_iteratorINS9_10device_ptrIiEEEESE_iNS9_4plusIvEEiEEDaPvRmT3_T4_T5_mT6_P12ihipStream_tbENKUlT_T0_E_clISt17integral_constantIbLb1EESU_EEDaSP_SQ_EUlSP_E0_NS1_11comp_targetILNS1_3genE10ELNS1_11target_archE1201ELNS1_3gpuE5ELNS1_3repE0EEENS1_30default_config_static_selectorELNS0_4arch9wavefront6targetE0EEEvT1_
    .private_segment_fixed_size: 0
    .sgpr_count:     0
    .sgpr_spill_count: 0
    .symbol:         _ZN7rocprim17ROCPRIM_400000_NS6detail17trampoline_kernelINS0_14default_configENS1_20scan_config_selectorIiEEZZNS1_9scan_implILNS1_25lookback_scan_determinismE0ELb0ELb0ES3_N6thrust23THRUST_200600_302600_NS6detail15normal_iteratorINS9_10device_ptrIiEEEESE_iNS9_4plusIvEEiEEDaPvRmT3_T4_T5_mT6_P12ihipStream_tbENKUlT_T0_E_clISt17integral_constantIbLb1EESU_EEDaSP_SQ_EUlSP_E0_NS1_11comp_targetILNS1_3genE10ELNS1_11target_archE1201ELNS1_3gpuE5ELNS1_3repE0EEENS1_30default_config_static_selectorELNS0_4arch9wavefront6targetE0EEEvT1_.kd
    .uniform_work_group_size: 1
    .uses_dynamic_stack: false
    .vgpr_count:     0
    .vgpr_spill_count: 0
    .wavefront_size: 32
  - .args:
      - .offset:         0
        .size:           32
        .value_kind:     by_value
    .group_segment_fixed_size: 0
    .kernarg_segment_align: 8
    .kernarg_segment_size: 32
    .language:       OpenCL C
    .language_version:
      - 2
      - 0
    .max_flat_workgroup_size: 256
    .name:           _ZN7rocprim17ROCPRIM_400000_NS6detail17trampoline_kernelINS0_14default_configENS1_20scan_config_selectorIiEEZZNS1_9scan_implILNS1_25lookback_scan_determinismE0ELb0ELb0ES3_N6thrust23THRUST_200600_302600_NS6detail15normal_iteratorINS9_10device_ptrIiEEEESE_iNS9_4plusIvEEiEEDaPvRmT3_T4_T5_mT6_P12ihipStream_tbENKUlT_T0_E_clISt17integral_constantIbLb1EESU_EEDaSP_SQ_EUlSP_E0_NS1_11comp_targetILNS1_3genE10ELNS1_11target_archE1200ELNS1_3gpuE4ELNS1_3repE0EEENS1_30default_config_static_selectorELNS0_4arch9wavefront6targetE0EEEvT1_
    .private_segment_fixed_size: 0
    .sgpr_count:     0
    .sgpr_spill_count: 0
    .symbol:         _ZN7rocprim17ROCPRIM_400000_NS6detail17trampoline_kernelINS0_14default_configENS1_20scan_config_selectorIiEEZZNS1_9scan_implILNS1_25lookback_scan_determinismE0ELb0ELb0ES3_N6thrust23THRUST_200600_302600_NS6detail15normal_iteratorINS9_10device_ptrIiEEEESE_iNS9_4plusIvEEiEEDaPvRmT3_T4_T5_mT6_P12ihipStream_tbENKUlT_T0_E_clISt17integral_constantIbLb1EESU_EEDaSP_SQ_EUlSP_E0_NS1_11comp_targetILNS1_3genE10ELNS1_11target_archE1200ELNS1_3gpuE4ELNS1_3repE0EEENS1_30default_config_static_selectorELNS0_4arch9wavefront6targetE0EEEvT1_.kd
    .uniform_work_group_size: 1
    .uses_dynamic_stack: false
    .vgpr_count:     0
    .vgpr_spill_count: 0
    .wavefront_size: 32
  - .args:
      - .offset:         0
        .size:           32
        .value_kind:     by_value
    .group_segment_fixed_size: 0
    .kernarg_segment_align: 8
    .kernarg_segment_size: 32
    .language:       OpenCL C
    .language_version:
      - 2
      - 0
    .max_flat_workgroup_size: 256
    .name:           _ZN7rocprim17ROCPRIM_400000_NS6detail17trampoline_kernelINS0_14default_configENS1_20scan_config_selectorIiEEZZNS1_9scan_implILNS1_25lookback_scan_determinismE0ELb0ELb0ES3_N6thrust23THRUST_200600_302600_NS6detail15normal_iteratorINS9_10device_ptrIiEEEESE_iNS9_4plusIvEEiEEDaPvRmT3_T4_T5_mT6_P12ihipStream_tbENKUlT_T0_E_clISt17integral_constantIbLb1EESU_EEDaSP_SQ_EUlSP_E0_NS1_11comp_targetILNS1_3genE9ELNS1_11target_archE1100ELNS1_3gpuE3ELNS1_3repE0EEENS1_30default_config_static_selectorELNS0_4arch9wavefront6targetE0EEEvT1_
    .private_segment_fixed_size: 0
    .sgpr_count:     0
    .sgpr_spill_count: 0
    .symbol:         _ZN7rocprim17ROCPRIM_400000_NS6detail17trampoline_kernelINS0_14default_configENS1_20scan_config_selectorIiEEZZNS1_9scan_implILNS1_25lookback_scan_determinismE0ELb0ELb0ES3_N6thrust23THRUST_200600_302600_NS6detail15normal_iteratorINS9_10device_ptrIiEEEESE_iNS9_4plusIvEEiEEDaPvRmT3_T4_T5_mT6_P12ihipStream_tbENKUlT_T0_E_clISt17integral_constantIbLb1EESU_EEDaSP_SQ_EUlSP_E0_NS1_11comp_targetILNS1_3genE9ELNS1_11target_archE1100ELNS1_3gpuE3ELNS1_3repE0EEENS1_30default_config_static_selectorELNS0_4arch9wavefront6targetE0EEEvT1_.kd
    .uniform_work_group_size: 1
    .uses_dynamic_stack: false
    .vgpr_count:     0
    .vgpr_spill_count: 0
    .wavefront_size: 32
  - .args:
      - .offset:         0
        .size:           32
        .value_kind:     by_value
    .group_segment_fixed_size: 0
    .kernarg_segment_align: 8
    .kernarg_segment_size: 32
    .language:       OpenCL C
    .language_version:
      - 2
      - 0
    .max_flat_workgroup_size: 64
    .name:           _ZN7rocprim17ROCPRIM_400000_NS6detail17trampoline_kernelINS0_14default_configENS1_20scan_config_selectorIiEEZZNS1_9scan_implILNS1_25lookback_scan_determinismE0ELb0ELb0ES3_N6thrust23THRUST_200600_302600_NS6detail15normal_iteratorINS9_10device_ptrIiEEEESE_iNS9_4plusIvEEiEEDaPvRmT3_T4_T5_mT6_P12ihipStream_tbENKUlT_T0_E_clISt17integral_constantIbLb1EESU_EEDaSP_SQ_EUlSP_E0_NS1_11comp_targetILNS1_3genE8ELNS1_11target_archE1030ELNS1_3gpuE2ELNS1_3repE0EEENS1_30default_config_static_selectorELNS0_4arch9wavefront6targetE0EEEvT1_
    .private_segment_fixed_size: 0
    .sgpr_count:     0
    .sgpr_spill_count: 0
    .symbol:         _ZN7rocprim17ROCPRIM_400000_NS6detail17trampoline_kernelINS0_14default_configENS1_20scan_config_selectorIiEEZZNS1_9scan_implILNS1_25lookback_scan_determinismE0ELb0ELb0ES3_N6thrust23THRUST_200600_302600_NS6detail15normal_iteratorINS9_10device_ptrIiEEEESE_iNS9_4plusIvEEiEEDaPvRmT3_T4_T5_mT6_P12ihipStream_tbENKUlT_T0_E_clISt17integral_constantIbLb1EESU_EEDaSP_SQ_EUlSP_E0_NS1_11comp_targetILNS1_3genE8ELNS1_11target_archE1030ELNS1_3gpuE2ELNS1_3repE0EEENS1_30default_config_static_selectorELNS0_4arch9wavefront6targetE0EEEvT1_.kd
    .uniform_work_group_size: 1
    .uses_dynamic_stack: false
    .vgpr_count:     0
    .vgpr_spill_count: 0
    .wavefront_size: 32
  - .args:
      - .address_space:  global
        .offset:         0
        .size:           8
        .value_kind:     global_buffer
      - .offset:         8
        .size:           4
        .value_kind:     by_value
      - .offset:         12
        .size:           1
        .value_kind:     by_value
      - .offset:         16
        .size:           4
        .value_kind:     by_value
      - .address_space:  global
        .offset:         24
        .size:           8
        .value_kind:     global_buffer
      - .offset:         32
        .size:           4
        .value_kind:     hidden_block_count_x
      - .offset:         36
        .size:           4
        .value_kind:     hidden_block_count_y
      - .offset:         40
        .size:           4
        .value_kind:     hidden_block_count_z
      - .offset:         44
        .size:           2
        .value_kind:     hidden_group_size_x
      - .offset:         46
        .size:           2
        .value_kind:     hidden_group_size_y
      - .offset:         48
        .size:           2
        .value_kind:     hidden_group_size_z
      - .offset:         50
        .size:           2
        .value_kind:     hidden_remainder_x
      - .offset:         52
        .size:           2
        .value_kind:     hidden_remainder_y
      - .offset:         54
        .size:           2
        .value_kind:     hidden_remainder_z
      - .offset:         72
        .size:           8
        .value_kind:     hidden_global_offset_x
      - .offset:         80
        .size:           8
        .value_kind:     hidden_global_offset_y
      - .offset:         88
        .size:           8
        .value_kind:     hidden_global_offset_z
      - .offset:         96
        .size:           2
        .value_kind:     hidden_grid_dims
    .group_segment_fixed_size: 0
    .kernarg_segment_align: 8
    .kernarg_segment_size: 288
    .language:       OpenCL C
    .language_version:
      - 2
      - 0
    .max_flat_workgroup_size: 256
    .name:           _ZN7rocprim17ROCPRIM_400000_NS6detail31init_lookback_scan_state_kernelINS1_19lookback_scan_stateIiLb1ELb1EEENS1_16block_id_wrapperIjLb0EEEEEvT_jT0_jPNS7_10value_typeE
    .private_segment_fixed_size: 0
    .sgpr_count:     13
    .sgpr_spill_count: 0
    .symbol:         _ZN7rocprim17ROCPRIM_400000_NS6detail31init_lookback_scan_state_kernelINS1_19lookback_scan_stateIiLb1ELb1EEENS1_16block_id_wrapperIjLb0EEEEEvT_jT0_jPNS7_10value_typeE.kd
    .uniform_work_group_size: 1
    .uses_dynamic_stack: false
    .vgpr_count:     5
    .vgpr_spill_count: 0
    .wavefront_size: 32
  - .args:
      - .offset:         0
        .size:           96
        .value_kind:     by_value
    .group_segment_fixed_size: 0
    .kernarg_segment_align: 8
    .kernarg_segment_size: 96
    .language:       OpenCL C
    .language_version:
      - 2
      - 0
    .max_flat_workgroup_size: 256
    .name:           _ZN7rocprim17ROCPRIM_400000_NS6detail17trampoline_kernelINS0_14default_configENS1_20scan_config_selectorIiEEZZNS1_9scan_implILNS1_25lookback_scan_determinismE0ELb0ELb0ES3_N6thrust23THRUST_200600_302600_NS6detail15normal_iteratorINS9_10device_ptrIiEEEESE_iNS9_4plusIvEEiEEDaPvRmT3_T4_T5_mT6_P12ihipStream_tbENKUlT_T0_E_clISt17integral_constantIbLb1EEST_IbLb0EEEEDaSP_SQ_EUlSP_E_NS1_11comp_targetILNS1_3genE0ELNS1_11target_archE4294967295ELNS1_3gpuE0ELNS1_3repE0EEENS1_30default_config_static_selectorELNS0_4arch9wavefront6targetE0EEEvT1_
    .private_segment_fixed_size: 0
    .sgpr_count:     0
    .sgpr_spill_count: 0
    .symbol:         _ZN7rocprim17ROCPRIM_400000_NS6detail17trampoline_kernelINS0_14default_configENS1_20scan_config_selectorIiEEZZNS1_9scan_implILNS1_25lookback_scan_determinismE0ELb0ELb0ES3_N6thrust23THRUST_200600_302600_NS6detail15normal_iteratorINS9_10device_ptrIiEEEESE_iNS9_4plusIvEEiEEDaPvRmT3_T4_T5_mT6_P12ihipStream_tbENKUlT_T0_E_clISt17integral_constantIbLb1EEST_IbLb0EEEEDaSP_SQ_EUlSP_E_NS1_11comp_targetILNS1_3genE0ELNS1_11target_archE4294967295ELNS1_3gpuE0ELNS1_3repE0EEENS1_30default_config_static_selectorELNS0_4arch9wavefront6targetE0EEEvT1_.kd
    .uniform_work_group_size: 1
    .uses_dynamic_stack: false
    .vgpr_count:     0
    .vgpr_spill_count: 0
    .wavefront_size: 32
  - .args:
      - .offset:         0
        .size:           96
        .value_kind:     by_value
    .group_segment_fixed_size: 0
    .kernarg_segment_align: 8
    .kernarg_segment_size: 96
    .language:       OpenCL C
    .language_version:
      - 2
      - 0
    .max_flat_workgroup_size: 256
    .name:           _ZN7rocprim17ROCPRIM_400000_NS6detail17trampoline_kernelINS0_14default_configENS1_20scan_config_selectorIiEEZZNS1_9scan_implILNS1_25lookback_scan_determinismE0ELb0ELb0ES3_N6thrust23THRUST_200600_302600_NS6detail15normal_iteratorINS9_10device_ptrIiEEEESE_iNS9_4plusIvEEiEEDaPvRmT3_T4_T5_mT6_P12ihipStream_tbENKUlT_T0_E_clISt17integral_constantIbLb1EEST_IbLb0EEEEDaSP_SQ_EUlSP_E_NS1_11comp_targetILNS1_3genE5ELNS1_11target_archE942ELNS1_3gpuE9ELNS1_3repE0EEENS1_30default_config_static_selectorELNS0_4arch9wavefront6targetE0EEEvT1_
    .private_segment_fixed_size: 0
    .sgpr_count:     0
    .sgpr_spill_count: 0
    .symbol:         _ZN7rocprim17ROCPRIM_400000_NS6detail17trampoline_kernelINS0_14default_configENS1_20scan_config_selectorIiEEZZNS1_9scan_implILNS1_25lookback_scan_determinismE0ELb0ELb0ES3_N6thrust23THRUST_200600_302600_NS6detail15normal_iteratorINS9_10device_ptrIiEEEESE_iNS9_4plusIvEEiEEDaPvRmT3_T4_T5_mT6_P12ihipStream_tbENKUlT_T0_E_clISt17integral_constantIbLb1EEST_IbLb0EEEEDaSP_SQ_EUlSP_E_NS1_11comp_targetILNS1_3genE5ELNS1_11target_archE942ELNS1_3gpuE9ELNS1_3repE0EEENS1_30default_config_static_selectorELNS0_4arch9wavefront6targetE0EEEvT1_.kd
    .uniform_work_group_size: 1
    .uses_dynamic_stack: false
    .vgpr_count:     0
    .vgpr_spill_count: 0
    .wavefront_size: 32
  - .args:
      - .offset:         0
        .size:           96
        .value_kind:     by_value
    .group_segment_fixed_size: 0
    .kernarg_segment_align: 8
    .kernarg_segment_size: 96
    .language:       OpenCL C
    .language_version:
      - 2
      - 0
    .max_flat_workgroup_size: 128
    .name:           _ZN7rocprim17ROCPRIM_400000_NS6detail17trampoline_kernelINS0_14default_configENS1_20scan_config_selectorIiEEZZNS1_9scan_implILNS1_25lookback_scan_determinismE0ELb0ELb0ES3_N6thrust23THRUST_200600_302600_NS6detail15normal_iteratorINS9_10device_ptrIiEEEESE_iNS9_4plusIvEEiEEDaPvRmT3_T4_T5_mT6_P12ihipStream_tbENKUlT_T0_E_clISt17integral_constantIbLb1EEST_IbLb0EEEEDaSP_SQ_EUlSP_E_NS1_11comp_targetILNS1_3genE4ELNS1_11target_archE910ELNS1_3gpuE8ELNS1_3repE0EEENS1_30default_config_static_selectorELNS0_4arch9wavefront6targetE0EEEvT1_
    .private_segment_fixed_size: 0
    .sgpr_count:     0
    .sgpr_spill_count: 0
    .symbol:         _ZN7rocprim17ROCPRIM_400000_NS6detail17trampoline_kernelINS0_14default_configENS1_20scan_config_selectorIiEEZZNS1_9scan_implILNS1_25lookback_scan_determinismE0ELb0ELb0ES3_N6thrust23THRUST_200600_302600_NS6detail15normal_iteratorINS9_10device_ptrIiEEEESE_iNS9_4plusIvEEiEEDaPvRmT3_T4_T5_mT6_P12ihipStream_tbENKUlT_T0_E_clISt17integral_constantIbLb1EEST_IbLb0EEEEDaSP_SQ_EUlSP_E_NS1_11comp_targetILNS1_3genE4ELNS1_11target_archE910ELNS1_3gpuE8ELNS1_3repE0EEENS1_30default_config_static_selectorELNS0_4arch9wavefront6targetE0EEEvT1_.kd
    .uniform_work_group_size: 1
    .uses_dynamic_stack: false
    .vgpr_count:     0
    .vgpr_spill_count: 0
    .wavefront_size: 32
  - .args:
      - .offset:         0
        .size:           96
        .value_kind:     by_value
    .group_segment_fixed_size: 0
    .kernarg_segment_align: 8
    .kernarg_segment_size: 96
    .language:       OpenCL C
    .language_version:
      - 2
      - 0
    .max_flat_workgroup_size: 256
    .name:           _ZN7rocprim17ROCPRIM_400000_NS6detail17trampoline_kernelINS0_14default_configENS1_20scan_config_selectorIiEEZZNS1_9scan_implILNS1_25lookback_scan_determinismE0ELb0ELb0ES3_N6thrust23THRUST_200600_302600_NS6detail15normal_iteratorINS9_10device_ptrIiEEEESE_iNS9_4plusIvEEiEEDaPvRmT3_T4_T5_mT6_P12ihipStream_tbENKUlT_T0_E_clISt17integral_constantIbLb1EEST_IbLb0EEEEDaSP_SQ_EUlSP_E_NS1_11comp_targetILNS1_3genE3ELNS1_11target_archE908ELNS1_3gpuE7ELNS1_3repE0EEENS1_30default_config_static_selectorELNS0_4arch9wavefront6targetE0EEEvT1_
    .private_segment_fixed_size: 0
    .sgpr_count:     0
    .sgpr_spill_count: 0
    .symbol:         _ZN7rocprim17ROCPRIM_400000_NS6detail17trampoline_kernelINS0_14default_configENS1_20scan_config_selectorIiEEZZNS1_9scan_implILNS1_25lookback_scan_determinismE0ELb0ELb0ES3_N6thrust23THRUST_200600_302600_NS6detail15normal_iteratorINS9_10device_ptrIiEEEESE_iNS9_4plusIvEEiEEDaPvRmT3_T4_T5_mT6_P12ihipStream_tbENKUlT_T0_E_clISt17integral_constantIbLb1EEST_IbLb0EEEEDaSP_SQ_EUlSP_E_NS1_11comp_targetILNS1_3genE3ELNS1_11target_archE908ELNS1_3gpuE7ELNS1_3repE0EEENS1_30default_config_static_selectorELNS0_4arch9wavefront6targetE0EEEvT1_.kd
    .uniform_work_group_size: 1
    .uses_dynamic_stack: false
    .vgpr_count:     0
    .vgpr_spill_count: 0
    .wavefront_size: 32
  - .args:
      - .offset:         0
        .size:           96
        .value_kind:     by_value
    .group_segment_fixed_size: 0
    .kernarg_segment_align: 8
    .kernarg_segment_size: 96
    .language:       OpenCL C
    .language_version:
      - 2
      - 0
    .max_flat_workgroup_size: 256
    .name:           _ZN7rocprim17ROCPRIM_400000_NS6detail17trampoline_kernelINS0_14default_configENS1_20scan_config_selectorIiEEZZNS1_9scan_implILNS1_25lookback_scan_determinismE0ELb0ELb0ES3_N6thrust23THRUST_200600_302600_NS6detail15normal_iteratorINS9_10device_ptrIiEEEESE_iNS9_4plusIvEEiEEDaPvRmT3_T4_T5_mT6_P12ihipStream_tbENKUlT_T0_E_clISt17integral_constantIbLb1EEST_IbLb0EEEEDaSP_SQ_EUlSP_E_NS1_11comp_targetILNS1_3genE2ELNS1_11target_archE906ELNS1_3gpuE6ELNS1_3repE0EEENS1_30default_config_static_selectorELNS0_4arch9wavefront6targetE0EEEvT1_
    .private_segment_fixed_size: 0
    .sgpr_count:     0
    .sgpr_spill_count: 0
    .symbol:         _ZN7rocprim17ROCPRIM_400000_NS6detail17trampoline_kernelINS0_14default_configENS1_20scan_config_selectorIiEEZZNS1_9scan_implILNS1_25lookback_scan_determinismE0ELb0ELb0ES3_N6thrust23THRUST_200600_302600_NS6detail15normal_iteratorINS9_10device_ptrIiEEEESE_iNS9_4plusIvEEiEEDaPvRmT3_T4_T5_mT6_P12ihipStream_tbENKUlT_T0_E_clISt17integral_constantIbLb1EEST_IbLb0EEEEDaSP_SQ_EUlSP_E_NS1_11comp_targetILNS1_3genE2ELNS1_11target_archE906ELNS1_3gpuE6ELNS1_3repE0EEENS1_30default_config_static_selectorELNS0_4arch9wavefront6targetE0EEEvT1_.kd
    .uniform_work_group_size: 1
    .uses_dynamic_stack: false
    .vgpr_count:     0
    .vgpr_spill_count: 0
    .wavefront_size: 32
  - .args:
      - .offset:         0
        .size:           96
        .value_kind:     by_value
    .group_segment_fixed_size: 0
    .kernarg_segment_align: 8
    .kernarg_segment_size: 96
    .language:       OpenCL C
    .language_version:
      - 2
      - 0
    .max_flat_workgroup_size: 256
    .name:           _ZN7rocprim17ROCPRIM_400000_NS6detail17trampoline_kernelINS0_14default_configENS1_20scan_config_selectorIiEEZZNS1_9scan_implILNS1_25lookback_scan_determinismE0ELb0ELb0ES3_N6thrust23THRUST_200600_302600_NS6detail15normal_iteratorINS9_10device_ptrIiEEEESE_iNS9_4plusIvEEiEEDaPvRmT3_T4_T5_mT6_P12ihipStream_tbENKUlT_T0_E_clISt17integral_constantIbLb1EEST_IbLb0EEEEDaSP_SQ_EUlSP_E_NS1_11comp_targetILNS1_3genE10ELNS1_11target_archE1201ELNS1_3gpuE5ELNS1_3repE0EEENS1_30default_config_static_selectorELNS0_4arch9wavefront6targetE0EEEvT1_
    .private_segment_fixed_size: 0
    .sgpr_count:     0
    .sgpr_spill_count: 0
    .symbol:         _ZN7rocprim17ROCPRIM_400000_NS6detail17trampoline_kernelINS0_14default_configENS1_20scan_config_selectorIiEEZZNS1_9scan_implILNS1_25lookback_scan_determinismE0ELb0ELb0ES3_N6thrust23THRUST_200600_302600_NS6detail15normal_iteratorINS9_10device_ptrIiEEEESE_iNS9_4plusIvEEiEEDaPvRmT3_T4_T5_mT6_P12ihipStream_tbENKUlT_T0_E_clISt17integral_constantIbLb1EEST_IbLb0EEEEDaSP_SQ_EUlSP_E_NS1_11comp_targetILNS1_3genE10ELNS1_11target_archE1201ELNS1_3gpuE5ELNS1_3repE0EEENS1_30default_config_static_selectorELNS0_4arch9wavefront6targetE0EEEvT1_.kd
    .uniform_work_group_size: 1
    .uses_dynamic_stack: false
    .vgpr_count:     0
    .vgpr_spill_count: 0
    .wavefront_size: 32
  - .args:
      - .offset:         0
        .size:           96
        .value_kind:     by_value
    .group_segment_fixed_size: 0
    .kernarg_segment_align: 8
    .kernarg_segment_size: 96
    .language:       OpenCL C
    .language_version:
      - 2
      - 0
    .max_flat_workgroup_size: 256
    .name:           _ZN7rocprim17ROCPRIM_400000_NS6detail17trampoline_kernelINS0_14default_configENS1_20scan_config_selectorIiEEZZNS1_9scan_implILNS1_25lookback_scan_determinismE0ELb0ELb0ES3_N6thrust23THRUST_200600_302600_NS6detail15normal_iteratorINS9_10device_ptrIiEEEESE_iNS9_4plusIvEEiEEDaPvRmT3_T4_T5_mT6_P12ihipStream_tbENKUlT_T0_E_clISt17integral_constantIbLb1EEST_IbLb0EEEEDaSP_SQ_EUlSP_E_NS1_11comp_targetILNS1_3genE10ELNS1_11target_archE1200ELNS1_3gpuE4ELNS1_3repE0EEENS1_30default_config_static_selectorELNS0_4arch9wavefront6targetE0EEEvT1_
    .private_segment_fixed_size: 0
    .sgpr_count:     0
    .sgpr_spill_count: 0
    .symbol:         _ZN7rocprim17ROCPRIM_400000_NS6detail17trampoline_kernelINS0_14default_configENS1_20scan_config_selectorIiEEZZNS1_9scan_implILNS1_25lookback_scan_determinismE0ELb0ELb0ES3_N6thrust23THRUST_200600_302600_NS6detail15normal_iteratorINS9_10device_ptrIiEEEESE_iNS9_4plusIvEEiEEDaPvRmT3_T4_T5_mT6_P12ihipStream_tbENKUlT_T0_E_clISt17integral_constantIbLb1EEST_IbLb0EEEEDaSP_SQ_EUlSP_E_NS1_11comp_targetILNS1_3genE10ELNS1_11target_archE1200ELNS1_3gpuE4ELNS1_3repE0EEENS1_30default_config_static_selectorELNS0_4arch9wavefront6targetE0EEEvT1_.kd
    .uniform_work_group_size: 1
    .uses_dynamic_stack: false
    .vgpr_count:     0
    .vgpr_spill_count: 0
    .wavefront_size: 32
  - .args:
      - .offset:         0
        .size:           96
        .value_kind:     by_value
    .group_segment_fixed_size: 0
    .kernarg_segment_align: 8
    .kernarg_segment_size: 96
    .language:       OpenCL C
    .language_version:
      - 2
      - 0
    .max_flat_workgroup_size: 256
    .name:           _ZN7rocprim17ROCPRIM_400000_NS6detail17trampoline_kernelINS0_14default_configENS1_20scan_config_selectorIiEEZZNS1_9scan_implILNS1_25lookback_scan_determinismE0ELb0ELb0ES3_N6thrust23THRUST_200600_302600_NS6detail15normal_iteratorINS9_10device_ptrIiEEEESE_iNS9_4plusIvEEiEEDaPvRmT3_T4_T5_mT6_P12ihipStream_tbENKUlT_T0_E_clISt17integral_constantIbLb1EEST_IbLb0EEEEDaSP_SQ_EUlSP_E_NS1_11comp_targetILNS1_3genE9ELNS1_11target_archE1100ELNS1_3gpuE3ELNS1_3repE0EEENS1_30default_config_static_selectorELNS0_4arch9wavefront6targetE0EEEvT1_
    .private_segment_fixed_size: 0
    .sgpr_count:     0
    .sgpr_spill_count: 0
    .symbol:         _ZN7rocprim17ROCPRIM_400000_NS6detail17trampoline_kernelINS0_14default_configENS1_20scan_config_selectorIiEEZZNS1_9scan_implILNS1_25lookback_scan_determinismE0ELb0ELb0ES3_N6thrust23THRUST_200600_302600_NS6detail15normal_iteratorINS9_10device_ptrIiEEEESE_iNS9_4plusIvEEiEEDaPvRmT3_T4_T5_mT6_P12ihipStream_tbENKUlT_T0_E_clISt17integral_constantIbLb1EEST_IbLb0EEEEDaSP_SQ_EUlSP_E_NS1_11comp_targetILNS1_3genE9ELNS1_11target_archE1100ELNS1_3gpuE3ELNS1_3repE0EEENS1_30default_config_static_selectorELNS0_4arch9wavefront6targetE0EEEvT1_.kd
    .uniform_work_group_size: 1
    .uses_dynamic_stack: false
    .vgpr_count:     0
    .vgpr_spill_count: 0
    .wavefront_size: 32
  - .args:
      - .offset:         0
        .size:           96
        .value_kind:     by_value
    .group_segment_fixed_size: 0
    .kernarg_segment_align: 8
    .kernarg_segment_size: 96
    .language:       OpenCL C
    .language_version:
      - 2
      - 0
    .max_flat_workgroup_size: 64
    .name:           _ZN7rocprim17ROCPRIM_400000_NS6detail17trampoline_kernelINS0_14default_configENS1_20scan_config_selectorIiEEZZNS1_9scan_implILNS1_25lookback_scan_determinismE0ELb0ELb0ES3_N6thrust23THRUST_200600_302600_NS6detail15normal_iteratorINS9_10device_ptrIiEEEESE_iNS9_4plusIvEEiEEDaPvRmT3_T4_T5_mT6_P12ihipStream_tbENKUlT_T0_E_clISt17integral_constantIbLb1EEST_IbLb0EEEEDaSP_SQ_EUlSP_E_NS1_11comp_targetILNS1_3genE8ELNS1_11target_archE1030ELNS1_3gpuE2ELNS1_3repE0EEENS1_30default_config_static_selectorELNS0_4arch9wavefront6targetE0EEEvT1_
    .private_segment_fixed_size: 0
    .sgpr_count:     0
    .sgpr_spill_count: 0
    .symbol:         _ZN7rocprim17ROCPRIM_400000_NS6detail17trampoline_kernelINS0_14default_configENS1_20scan_config_selectorIiEEZZNS1_9scan_implILNS1_25lookback_scan_determinismE0ELb0ELb0ES3_N6thrust23THRUST_200600_302600_NS6detail15normal_iteratorINS9_10device_ptrIiEEEESE_iNS9_4plusIvEEiEEDaPvRmT3_T4_T5_mT6_P12ihipStream_tbENKUlT_T0_E_clISt17integral_constantIbLb1EEST_IbLb0EEEEDaSP_SQ_EUlSP_E_NS1_11comp_targetILNS1_3genE8ELNS1_11target_archE1030ELNS1_3gpuE2ELNS1_3repE0EEENS1_30default_config_static_selectorELNS0_4arch9wavefront6targetE0EEEvT1_.kd
    .uniform_work_group_size: 1
    .uses_dynamic_stack: false
    .vgpr_count:     0
    .vgpr_spill_count: 0
    .wavefront_size: 32
  - .args:
      - .offset:         0
        .size:           32
        .value_kind:     by_value
    .group_segment_fixed_size: 14336
    .kernarg_segment_align: 8
    .kernarg_segment_size: 32
    .language:       OpenCL C
    .language_version:
      - 2
      - 0
    .max_flat_workgroup_size: 256
    .name:           _ZN7rocprim17ROCPRIM_400000_NS6detail17trampoline_kernelINS0_14default_configENS1_20scan_config_selectorIiEEZZNS1_9scan_implILNS1_25lookback_scan_determinismE0ELb0ELb0ES3_N6thrust23THRUST_200600_302600_NS6detail15normal_iteratorINS9_10device_ptrIiEEEESE_iNS9_4plusIvEEiEEDaPvRmT3_T4_T5_mT6_P12ihipStream_tbENKUlT_T0_E_clISt17integral_constantIbLb1EEST_IbLb0EEEEDaSP_SQ_EUlSP_E0_NS1_11comp_targetILNS1_3genE0ELNS1_11target_archE4294967295ELNS1_3gpuE0ELNS1_3repE0EEENS1_30default_config_static_selectorELNS0_4arch9wavefront6targetE0EEEvT1_
    .private_segment_fixed_size: 0
    .sgpr_count:     22
    .sgpr_spill_count: 0
    .symbol:         _ZN7rocprim17ROCPRIM_400000_NS6detail17trampoline_kernelINS0_14default_configENS1_20scan_config_selectorIiEEZZNS1_9scan_implILNS1_25lookback_scan_determinismE0ELb0ELb0ES3_N6thrust23THRUST_200600_302600_NS6detail15normal_iteratorINS9_10device_ptrIiEEEESE_iNS9_4plusIvEEiEEDaPvRmT3_T4_T5_mT6_P12ihipStream_tbENKUlT_T0_E_clISt17integral_constantIbLb1EEST_IbLb0EEEEDaSP_SQ_EUlSP_E0_NS1_11comp_targetILNS1_3genE0ELNS1_11target_archE4294967295ELNS1_3gpuE0ELNS1_3repE0EEENS1_30default_config_static_selectorELNS0_4arch9wavefront6targetE0EEEvT1_.kd
    .uniform_work_group_size: 1
    .uses_dynamic_stack: false
    .vgpr_count:     35
    .vgpr_spill_count: 0
    .wavefront_size: 32
  - .args:
      - .offset:         0
        .size:           32
        .value_kind:     by_value
    .group_segment_fixed_size: 0
    .kernarg_segment_align: 8
    .kernarg_segment_size: 32
    .language:       OpenCL C
    .language_version:
      - 2
      - 0
    .max_flat_workgroup_size: 256
    .name:           _ZN7rocprim17ROCPRIM_400000_NS6detail17trampoline_kernelINS0_14default_configENS1_20scan_config_selectorIiEEZZNS1_9scan_implILNS1_25lookback_scan_determinismE0ELb0ELb0ES3_N6thrust23THRUST_200600_302600_NS6detail15normal_iteratorINS9_10device_ptrIiEEEESE_iNS9_4plusIvEEiEEDaPvRmT3_T4_T5_mT6_P12ihipStream_tbENKUlT_T0_E_clISt17integral_constantIbLb1EEST_IbLb0EEEEDaSP_SQ_EUlSP_E0_NS1_11comp_targetILNS1_3genE5ELNS1_11target_archE942ELNS1_3gpuE9ELNS1_3repE0EEENS1_30default_config_static_selectorELNS0_4arch9wavefront6targetE0EEEvT1_
    .private_segment_fixed_size: 0
    .sgpr_count:     0
    .sgpr_spill_count: 0
    .symbol:         _ZN7rocprim17ROCPRIM_400000_NS6detail17trampoline_kernelINS0_14default_configENS1_20scan_config_selectorIiEEZZNS1_9scan_implILNS1_25lookback_scan_determinismE0ELb0ELb0ES3_N6thrust23THRUST_200600_302600_NS6detail15normal_iteratorINS9_10device_ptrIiEEEESE_iNS9_4plusIvEEiEEDaPvRmT3_T4_T5_mT6_P12ihipStream_tbENKUlT_T0_E_clISt17integral_constantIbLb1EEST_IbLb0EEEEDaSP_SQ_EUlSP_E0_NS1_11comp_targetILNS1_3genE5ELNS1_11target_archE942ELNS1_3gpuE9ELNS1_3repE0EEENS1_30default_config_static_selectorELNS0_4arch9wavefront6targetE0EEEvT1_.kd
    .uniform_work_group_size: 1
    .uses_dynamic_stack: false
    .vgpr_count:     0
    .vgpr_spill_count: 0
    .wavefront_size: 32
  - .args:
      - .offset:         0
        .size:           32
        .value_kind:     by_value
    .group_segment_fixed_size: 0
    .kernarg_segment_align: 8
    .kernarg_segment_size: 32
    .language:       OpenCL C
    .language_version:
      - 2
      - 0
    .max_flat_workgroup_size: 128
    .name:           _ZN7rocprim17ROCPRIM_400000_NS6detail17trampoline_kernelINS0_14default_configENS1_20scan_config_selectorIiEEZZNS1_9scan_implILNS1_25lookback_scan_determinismE0ELb0ELb0ES3_N6thrust23THRUST_200600_302600_NS6detail15normal_iteratorINS9_10device_ptrIiEEEESE_iNS9_4plusIvEEiEEDaPvRmT3_T4_T5_mT6_P12ihipStream_tbENKUlT_T0_E_clISt17integral_constantIbLb1EEST_IbLb0EEEEDaSP_SQ_EUlSP_E0_NS1_11comp_targetILNS1_3genE4ELNS1_11target_archE910ELNS1_3gpuE8ELNS1_3repE0EEENS1_30default_config_static_selectorELNS0_4arch9wavefront6targetE0EEEvT1_
    .private_segment_fixed_size: 0
    .sgpr_count:     0
    .sgpr_spill_count: 0
    .symbol:         _ZN7rocprim17ROCPRIM_400000_NS6detail17trampoline_kernelINS0_14default_configENS1_20scan_config_selectorIiEEZZNS1_9scan_implILNS1_25lookback_scan_determinismE0ELb0ELb0ES3_N6thrust23THRUST_200600_302600_NS6detail15normal_iteratorINS9_10device_ptrIiEEEESE_iNS9_4plusIvEEiEEDaPvRmT3_T4_T5_mT6_P12ihipStream_tbENKUlT_T0_E_clISt17integral_constantIbLb1EEST_IbLb0EEEEDaSP_SQ_EUlSP_E0_NS1_11comp_targetILNS1_3genE4ELNS1_11target_archE910ELNS1_3gpuE8ELNS1_3repE0EEENS1_30default_config_static_selectorELNS0_4arch9wavefront6targetE0EEEvT1_.kd
    .uniform_work_group_size: 1
    .uses_dynamic_stack: false
    .vgpr_count:     0
    .vgpr_spill_count: 0
    .wavefront_size: 32
  - .args:
      - .offset:         0
        .size:           32
        .value_kind:     by_value
    .group_segment_fixed_size: 0
    .kernarg_segment_align: 8
    .kernarg_segment_size: 32
    .language:       OpenCL C
    .language_version:
      - 2
      - 0
    .max_flat_workgroup_size: 256
    .name:           _ZN7rocprim17ROCPRIM_400000_NS6detail17trampoline_kernelINS0_14default_configENS1_20scan_config_selectorIiEEZZNS1_9scan_implILNS1_25lookback_scan_determinismE0ELb0ELb0ES3_N6thrust23THRUST_200600_302600_NS6detail15normal_iteratorINS9_10device_ptrIiEEEESE_iNS9_4plusIvEEiEEDaPvRmT3_T4_T5_mT6_P12ihipStream_tbENKUlT_T0_E_clISt17integral_constantIbLb1EEST_IbLb0EEEEDaSP_SQ_EUlSP_E0_NS1_11comp_targetILNS1_3genE3ELNS1_11target_archE908ELNS1_3gpuE7ELNS1_3repE0EEENS1_30default_config_static_selectorELNS0_4arch9wavefront6targetE0EEEvT1_
    .private_segment_fixed_size: 0
    .sgpr_count:     0
    .sgpr_spill_count: 0
    .symbol:         _ZN7rocprim17ROCPRIM_400000_NS6detail17trampoline_kernelINS0_14default_configENS1_20scan_config_selectorIiEEZZNS1_9scan_implILNS1_25lookback_scan_determinismE0ELb0ELb0ES3_N6thrust23THRUST_200600_302600_NS6detail15normal_iteratorINS9_10device_ptrIiEEEESE_iNS9_4plusIvEEiEEDaPvRmT3_T4_T5_mT6_P12ihipStream_tbENKUlT_T0_E_clISt17integral_constantIbLb1EEST_IbLb0EEEEDaSP_SQ_EUlSP_E0_NS1_11comp_targetILNS1_3genE3ELNS1_11target_archE908ELNS1_3gpuE7ELNS1_3repE0EEENS1_30default_config_static_selectorELNS0_4arch9wavefront6targetE0EEEvT1_.kd
    .uniform_work_group_size: 1
    .uses_dynamic_stack: false
    .vgpr_count:     0
    .vgpr_spill_count: 0
    .wavefront_size: 32
  - .args:
      - .offset:         0
        .size:           32
        .value_kind:     by_value
    .group_segment_fixed_size: 0
    .kernarg_segment_align: 8
    .kernarg_segment_size: 32
    .language:       OpenCL C
    .language_version:
      - 2
      - 0
    .max_flat_workgroup_size: 256
    .name:           _ZN7rocprim17ROCPRIM_400000_NS6detail17trampoline_kernelINS0_14default_configENS1_20scan_config_selectorIiEEZZNS1_9scan_implILNS1_25lookback_scan_determinismE0ELb0ELb0ES3_N6thrust23THRUST_200600_302600_NS6detail15normal_iteratorINS9_10device_ptrIiEEEESE_iNS9_4plusIvEEiEEDaPvRmT3_T4_T5_mT6_P12ihipStream_tbENKUlT_T0_E_clISt17integral_constantIbLb1EEST_IbLb0EEEEDaSP_SQ_EUlSP_E0_NS1_11comp_targetILNS1_3genE2ELNS1_11target_archE906ELNS1_3gpuE6ELNS1_3repE0EEENS1_30default_config_static_selectorELNS0_4arch9wavefront6targetE0EEEvT1_
    .private_segment_fixed_size: 0
    .sgpr_count:     0
    .sgpr_spill_count: 0
    .symbol:         _ZN7rocprim17ROCPRIM_400000_NS6detail17trampoline_kernelINS0_14default_configENS1_20scan_config_selectorIiEEZZNS1_9scan_implILNS1_25lookback_scan_determinismE0ELb0ELb0ES3_N6thrust23THRUST_200600_302600_NS6detail15normal_iteratorINS9_10device_ptrIiEEEESE_iNS9_4plusIvEEiEEDaPvRmT3_T4_T5_mT6_P12ihipStream_tbENKUlT_T0_E_clISt17integral_constantIbLb1EEST_IbLb0EEEEDaSP_SQ_EUlSP_E0_NS1_11comp_targetILNS1_3genE2ELNS1_11target_archE906ELNS1_3gpuE6ELNS1_3repE0EEENS1_30default_config_static_selectorELNS0_4arch9wavefront6targetE0EEEvT1_.kd
    .uniform_work_group_size: 1
    .uses_dynamic_stack: false
    .vgpr_count:     0
    .vgpr_spill_count: 0
    .wavefront_size: 32
  - .args:
      - .offset:         0
        .size:           32
        .value_kind:     by_value
    .group_segment_fixed_size: 0
    .kernarg_segment_align: 8
    .kernarg_segment_size: 32
    .language:       OpenCL C
    .language_version:
      - 2
      - 0
    .max_flat_workgroup_size: 256
    .name:           _ZN7rocprim17ROCPRIM_400000_NS6detail17trampoline_kernelINS0_14default_configENS1_20scan_config_selectorIiEEZZNS1_9scan_implILNS1_25lookback_scan_determinismE0ELb0ELb0ES3_N6thrust23THRUST_200600_302600_NS6detail15normal_iteratorINS9_10device_ptrIiEEEESE_iNS9_4plusIvEEiEEDaPvRmT3_T4_T5_mT6_P12ihipStream_tbENKUlT_T0_E_clISt17integral_constantIbLb1EEST_IbLb0EEEEDaSP_SQ_EUlSP_E0_NS1_11comp_targetILNS1_3genE10ELNS1_11target_archE1201ELNS1_3gpuE5ELNS1_3repE0EEENS1_30default_config_static_selectorELNS0_4arch9wavefront6targetE0EEEvT1_
    .private_segment_fixed_size: 0
    .sgpr_count:     0
    .sgpr_spill_count: 0
    .symbol:         _ZN7rocprim17ROCPRIM_400000_NS6detail17trampoline_kernelINS0_14default_configENS1_20scan_config_selectorIiEEZZNS1_9scan_implILNS1_25lookback_scan_determinismE0ELb0ELb0ES3_N6thrust23THRUST_200600_302600_NS6detail15normal_iteratorINS9_10device_ptrIiEEEESE_iNS9_4plusIvEEiEEDaPvRmT3_T4_T5_mT6_P12ihipStream_tbENKUlT_T0_E_clISt17integral_constantIbLb1EEST_IbLb0EEEEDaSP_SQ_EUlSP_E0_NS1_11comp_targetILNS1_3genE10ELNS1_11target_archE1201ELNS1_3gpuE5ELNS1_3repE0EEENS1_30default_config_static_selectorELNS0_4arch9wavefront6targetE0EEEvT1_.kd
    .uniform_work_group_size: 1
    .uses_dynamic_stack: false
    .vgpr_count:     0
    .vgpr_spill_count: 0
    .wavefront_size: 32
  - .args:
      - .offset:         0
        .size:           32
        .value_kind:     by_value
    .group_segment_fixed_size: 0
    .kernarg_segment_align: 8
    .kernarg_segment_size: 32
    .language:       OpenCL C
    .language_version:
      - 2
      - 0
    .max_flat_workgroup_size: 256
    .name:           _ZN7rocprim17ROCPRIM_400000_NS6detail17trampoline_kernelINS0_14default_configENS1_20scan_config_selectorIiEEZZNS1_9scan_implILNS1_25lookback_scan_determinismE0ELb0ELb0ES3_N6thrust23THRUST_200600_302600_NS6detail15normal_iteratorINS9_10device_ptrIiEEEESE_iNS9_4plusIvEEiEEDaPvRmT3_T4_T5_mT6_P12ihipStream_tbENKUlT_T0_E_clISt17integral_constantIbLb1EEST_IbLb0EEEEDaSP_SQ_EUlSP_E0_NS1_11comp_targetILNS1_3genE10ELNS1_11target_archE1200ELNS1_3gpuE4ELNS1_3repE0EEENS1_30default_config_static_selectorELNS0_4arch9wavefront6targetE0EEEvT1_
    .private_segment_fixed_size: 0
    .sgpr_count:     0
    .sgpr_spill_count: 0
    .symbol:         _ZN7rocprim17ROCPRIM_400000_NS6detail17trampoline_kernelINS0_14default_configENS1_20scan_config_selectorIiEEZZNS1_9scan_implILNS1_25lookback_scan_determinismE0ELb0ELb0ES3_N6thrust23THRUST_200600_302600_NS6detail15normal_iteratorINS9_10device_ptrIiEEEESE_iNS9_4plusIvEEiEEDaPvRmT3_T4_T5_mT6_P12ihipStream_tbENKUlT_T0_E_clISt17integral_constantIbLb1EEST_IbLb0EEEEDaSP_SQ_EUlSP_E0_NS1_11comp_targetILNS1_3genE10ELNS1_11target_archE1200ELNS1_3gpuE4ELNS1_3repE0EEENS1_30default_config_static_selectorELNS0_4arch9wavefront6targetE0EEEvT1_.kd
    .uniform_work_group_size: 1
    .uses_dynamic_stack: false
    .vgpr_count:     0
    .vgpr_spill_count: 0
    .wavefront_size: 32
  - .args:
      - .offset:         0
        .size:           32
        .value_kind:     by_value
    .group_segment_fixed_size: 0
    .kernarg_segment_align: 8
    .kernarg_segment_size: 32
    .language:       OpenCL C
    .language_version:
      - 2
      - 0
    .max_flat_workgroup_size: 256
    .name:           _ZN7rocprim17ROCPRIM_400000_NS6detail17trampoline_kernelINS0_14default_configENS1_20scan_config_selectorIiEEZZNS1_9scan_implILNS1_25lookback_scan_determinismE0ELb0ELb0ES3_N6thrust23THRUST_200600_302600_NS6detail15normal_iteratorINS9_10device_ptrIiEEEESE_iNS9_4plusIvEEiEEDaPvRmT3_T4_T5_mT6_P12ihipStream_tbENKUlT_T0_E_clISt17integral_constantIbLb1EEST_IbLb0EEEEDaSP_SQ_EUlSP_E0_NS1_11comp_targetILNS1_3genE9ELNS1_11target_archE1100ELNS1_3gpuE3ELNS1_3repE0EEENS1_30default_config_static_selectorELNS0_4arch9wavefront6targetE0EEEvT1_
    .private_segment_fixed_size: 0
    .sgpr_count:     0
    .sgpr_spill_count: 0
    .symbol:         _ZN7rocprim17ROCPRIM_400000_NS6detail17trampoline_kernelINS0_14default_configENS1_20scan_config_selectorIiEEZZNS1_9scan_implILNS1_25lookback_scan_determinismE0ELb0ELb0ES3_N6thrust23THRUST_200600_302600_NS6detail15normal_iteratorINS9_10device_ptrIiEEEESE_iNS9_4plusIvEEiEEDaPvRmT3_T4_T5_mT6_P12ihipStream_tbENKUlT_T0_E_clISt17integral_constantIbLb1EEST_IbLb0EEEEDaSP_SQ_EUlSP_E0_NS1_11comp_targetILNS1_3genE9ELNS1_11target_archE1100ELNS1_3gpuE3ELNS1_3repE0EEENS1_30default_config_static_selectorELNS0_4arch9wavefront6targetE0EEEvT1_.kd
    .uniform_work_group_size: 1
    .uses_dynamic_stack: false
    .vgpr_count:     0
    .vgpr_spill_count: 0
    .wavefront_size: 32
  - .args:
      - .offset:         0
        .size:           32
        .value_kind:     by_value
    .group_segment_fixed_size: 0
    .kernarg_segment_align: 8
    .kernarg_segment_size: 32
    .language:       OpenCL C
    .language_version:
      - 2
      - 0
    .max_flat_workgroup_size: 64
    .name:           _ZN7rocprim17ROCPRIM_400000_NS6detail17trampoline_kernelINS0_14default_configENS1_20scan_config_selectorIiEEZZNS1_9scan_implILNS1_25lookback_scan_determinismE0ELb0ELb0ES3_N6thrust23THRUST_200600_302600_NS6detail15normal_iteratorINS9_10device_ptrIiEEEESE_iNS9_4plusIvEEiEEDaPvRmT3_T4_T5_mT6_P12ihipStream_tbENKUlT_T0_E_clISt17integral_constantIbLb1EEST_IbLb0EEEEDaSP_SQ_EUlSP_E0_NS1_11comp_targetILNS1_3genE8ELNS1_11target_archE1030ELNS1_3gpuE2ELNS1_3repE0EEENS1_30default_config_static_selectorELNS0_4arch9wavefront6targetE0EEEvT1_
    .private_segment_fixed_size: 0
    .sgpr_count:     0
    .sgpr_spill_count: 0
    .symbol:         _ZN7rocprim17ROCPRIM_400000_NS6detail17trampoline_kernelINS0_14default_configENS1_20scan_config_selectorIiEEZZNS1_9scan_implILNS1_25lookback_scan_determinismE0ELb0ELb0ES3_N6thrust23THRUST_200600_302600_NS6detail15normal_iteratorINS9_10device_ptrIiEEEESE_iNS9_4plusIvEEiEEDaPvRmT3_T4_T5_mT6_P12ihipStream_tbENKUlT_T0_E_clISt17integral_constantIbLb1EEST_IbLb0EEEEDaSP_SQ_EUlSP_E0_NS1_11comp_targetILNS1_3genE8ELNS1_11target_archE1030ELNS1_3gpuE2ELNS1_3repE0EEENS1_30default_config_static_selectorELNS0_4arch9wavefront6targetE0EEEvT1_.kd
    .uniform_work_group_size: 1
    .uses_dynamic_stack: false
    .vgpr_count:     0
    .vgpr_spill_count: 0
    .wavefront_size: 32
  - .args:
      - .address_space:  global
        .offset:         0
        .size:           8
        .value_kind:     global_buffer
      - .offset:         8
        .size:           4
        .value_kind:     by_value
      - .address_space:  global
        .offset:         16
        .size:           8
        .value_kind:     global_buffer
      - .offset:         24
        .size:           4
        .value_kind:     by_value
      - .address_space:  global
        .offset:         32
        .size:           8
        .value_kind:     global_buffer
      - .offset:         40
        .size:           4
        .value_kind:     hidden_block_count_x
      - .offset:         44
        .size:           4
        .value_kind:     hidden_block_count_y
      - .offset:         48
        .size:           4
        .value_kind:     hidden_block_count_z
      - .offset:         52
        .size:           2
        .value_kind:     hidden_group_size_x
      - .offset:         54
        .size:           2
        .value_kind:     hidden_group_size_y
      - .offset:         56
        .size:           2
        .value_kind:     hidden_group_size_z
      - .offset:         58
        .size:           2
        .value_kind:     hidden_remainder_x
      - .offset:         60
        .size:           2
        .value_kind:     hidden_remainder_y
      - .offset:         62
        .size:           2
        .value_kind:     hidden_remainder_z
      - .offset:         80
        .size:           8
        .value_kind:     hidden_global_offset_x
      - .offset:         88
        .size:           8
        .value_kind:     hidden_global_offset_y
      - .offset:         96
        .size:           8
        .value_kind:     hidden_global_offset_z
      - .offset:         104
        .size:           2
        .value_kind:     hidden_grid_dims
    .group_segment_fixed_size: 0
    .kernarg_segment_align: 8
    .kernarg_segment_size: 296
    .language:       OpenCL C
    .language_version:
      - 2
      - 0
    .max_flat_workgroup_size: 256
    .name:           _ZN7rocprim17ROCPRIM_400000_NS6detail31init_lookback_scan_state_kernelINS1_19lookback_scan_stateIiLb0ELb1EEENS1_16block_id_wrapperIjLb1EEEEEvT_jT0_jPNS7_10value_typeE
    .private_segment_fixed_size: 0
    .sgpr_count:     13
    .sgpr_spill_count: 0
    .symbol:         _ZN7rocprim17ROCPRIM_400000_NS6detail31init_lookback_scan_state_kernelINS1_19lookback_scan_stateIiLb0ELb1EEENS1_16block_id_wrapperIjLb1EEEEEvT_jT0_jPNS7_10value_typeE.kd
    .uniform_work_group_size: 1
    .uses_dynamic_stack: false
    .vgpr_count:     5
    .vgpr_spill_count: 0
    .wavefront_size: 32
  - .args:
      - .offset:         0
        .size:           96
        .value_kind:     by_value
    .group_segment_fixed_size: 14336
    .kernarg_segment_align: 8
    .kernarg_segment_size: 96
    .language:       OpenCL C
    .language_version:
      - 2
      - 0
    .max_flat_workgroup_size: 256
    .name:           _ZN7rocprim17ROCPRIM_400000_NS6detail17trampoline_kernelINS0_14default_configENS1_20scan_config_selectorIiEEZZNS1_9scan_implILNS1_25lookback_scan_determinismE0ELb0ELb0ES3_N6thrust23THRUST_200600_302600_NS6detail15normal_iteratorINS9_10device_ptrIiEEEESE_iNS9_4plusIvEEiEEDaPvRmT3_T4_T5_mT6_P12ihipStream_tbENKUlT_T0_E_clISt17integral_constantIbLb0EEST_IbLb1EEEEDaSP_SQ_EUlSP_E_NS1_11comp_targetILNS1_3genE0ELNS1_11target_archE4294967295ELNS1_3gpuE0ELNS1_3repE0EEENS1_30default_config_static_selectorELNS0_4arch9wavefront6targetE0EEEvT1_
    .private_segment_fixed_size: 0
    .sgpr_count:     29
    .sgpr_spill_count: 0
    .symbol:         _ZN7rocprim17ROCPRIM_400000_NS6detail17trampoline_kernelINS0_14default_configENS1_20scan_config_selectorIiEEZZNS1_9scan_implILNS1_25lookback_scan_determinismE0ELb0ELb0ES3_N6thrust23THRUST_200600_302600_NS6detail15normal_iteratorINS9_10device_ptrIiEEEESE_iNS9_4plusIvEEiEEDaPvRmT3_T4_T5_mT6_P12ihipStream_tbENKUlT_T0_E_clISt17integral_constantIbLb0EEST_IbLb1EEEEDaSP_SQ_EUlSP_E_NS1_11comp_targetILNS1_3genE0ELNS1_11target_archE4294967295ELNS1_3gpuE0ELNS1_3repE0EEENS1_30default_config_static_selectorELNS0_4arch9wavefront6targetE0EEEvT1_.kd
    .uniform_work_group_size: 1
    .uses_dynamic_stack: false
    .vgpr_count:     42
    .vgpr_spill_count: 0
    .wavefront_size: 32
  - .args:
      - .offset:         0
        .size:           96
        .value_kind:     by_value
    .group_segment_fixed_size: 0
    .kernarg_segment_align: 8
    .kernarg_segment_size: 96
    .language:       OpenCL C
    .language_version:
      - 2
      - 0
    .max_flat_workgroup_size: 256
    .name:           _ZN7rocprim17ROCPRIM_400000_NS6detail17trampoline_kernelINS0_14default_configENS1_20scan_config_selectorIiEEZZNS1_9scan_implILNS1_25lookback_scan_determinismE0ELb0ELb0ES3_N6thrust23THRUST_200600_302600_NS6detail15normal_iteratorINS9_10device_ptrIiEEEESE_iNS9_4plusIvEEiEEDaPvRmT3_T4_T5_mT6_P12ihipStream_tbENKUlT_T0_E_clISt17integral_constantIbLb0EEST_IbLb1EEEEDaSP_SQ_EUlSP_E_NS1_11comp_targetILNS1_3genE5ELNS1_11target_archE942ELNS1_3gpuE9ELNS1_3repE0EEENS1_30default_config_static_selectorELNS0_4arch9wavefront6targetE0EEEvT1_
    .private_segment_fixed_size: 0
    .sgpr_count:     0
    .sgpr_spill_count: 0
    .symbol:         _ZN7rocprim17ROCPRIM_400000_NS6detail17trampoline_kernelINS0_14default_configENS1_20scan_config_selectorIiEEZZNS1_9scan_implILNS1_25lookback_scan_determinismE0ELb0ELb0ES3_N6thrust23THRUST_200600_302600_NS6detail15normal_iteratorINS9_10device_ptrIiEEEESE_iNS9_4plusIvEEiEEDaPvRmT3_T4_T5_mT6_P12ihipStream_tbENKUlT_T0_E_clISt17integral_constantIbLb0EEST_IbLb1EEEEDaSP_SQ_EUlSP_E_NS1_11comp_targetILNS1_3genE5ELNS1_11target_archE942ELNS1_3gpuE9ELNS1_3repE0EEENS1_30default_config_static_selectorELNS0_4arch9wavefront6targetE0EEEvT1_.kd
    .uniform_work_group_size: 1
    .uses_dynamic_stack: false
    .vgpr_count:     0
    .vgpr_spill_count: 0
    .wavefront_size: 32
  - .args:
      - .offset:         0
        .size:           96
        .value_kind:     by_value
    .group_segment_fixed_size: 0
    .kernarg_segment_align: 8
    .kernarg_segment_size: 96
    .language:       OpenCL C
    .language_version:
      - 2
      - 0
    .max_flat_workgroup_size: 128
    .name:           _ZN7rocprim17ROCPRIM_400000_NS6detail17trampoline_kernelINS0_14default_configENS1_20scan_config_selectorIiEEZZNS1_9scan_implILNS1_25lookback_scan_determinismE0ELb0ELb0ES3_N6thrust23THRUST_200600_302600_NS6detail15normal_iteratorINS9_10device_ptrIiEEEESE_iNS9_4plusIvEEiEEDaPvRmT3_T4_T5_mT6_P12ihipStream_tbENKUlT_T0_E_clISt17integral_constantIbLb0EEST_IbLb1EEEEDaSP_SQ_EUlSP_E_NS1_11comp_targetILNS1_3genE4ELNS1_11target_archE910ELNS1_3gpuE8ELNS1_3repE0EEENS1_30default_config_static_selectorELNS0_4arch9wavefront6targetE0EEEvT1_
    .private_segment_fixed_size: 0
    .sgpr_count:     0
    .sgpr_spill_count: 0
    .symbol:         _ZN7rocprim17ROCPRIM_400000_NS6detail17trampoline_kernelINS0_14default_configENS1_20scan_config_selectorIiEEZZNS1_9scan_implILNS1_25lookback_scan_determinismE0ELb0ELb0ES3_N6thrust23THRUST_200600_302600_NS6detail15normal_iteratorINS9_10device_ptrIiEEEESE_iNS9_4plusIvEEiEEDaPvRmT3_T4_T5_mT6_P12ihipStream_tbENKUlT_T0_E_clISt17integral_constantIbLb0EEST_IbLb1EEEEDaSP_SQ_EUlSP_E_NS1_11comp_targetILNS1_3genE4ELNS1_11target_archE910ELNS1_3gpuE8ELNS1_3repE0EEENS1_30default_config_static_selectorELNS0_4arch9wavefront6targetE0EEEvT1_.kd
    .uniform_work_group_size: 1
    .uses_dynamic_stack: false
    .vgpr_count:     0
    .vgpr_spill_count: 0
    .wavefront_size: 32
  - .args:
      - .offset:         0
        .size:           96
        .value_kind:     by_value
    .group_segment_fixed_size: 0
    .kernarg_segment_align: 8
    .kernarg_segment_size: 96
    .language:       OpenCL C
    .language_version:
      - 2
      - 0
    .max_flat_workgroup_size: 256
    .name:           _ZN7rocprim17ROCPRIM_400000_NS6detail17trampoline_kernelINS0_14default_configENS1_20scan_config_selectorIiEEZZNS1_9scan_implILNS1_25lookback_scan_determinismE0ELb0ELb0ES3_N6thrust23THRUST_200600_302600_NS6detail15normal_iteratorINS9_10device_ptrIiEEEESE_iNS9_4plusIvEEiEEDaPvRmT3_T4_T5_mT6_P12ihipStream_tbENKUlT_T0_E_clISt17integral_constantIbLb0EEST_IbLb1EEEEDaSP_SQ_EUlSP_E_NS1_11comp_targetILNS1_3genE3ELNS1_11target_archE908ELNS1_3gpuE7ELNS1_3repE0EEENS1_30default_config_static_selectorELNS0_4arch9wavefront6targetE0EEEvT1_
    .private_segment_fixed_size: 0
    .sgpr_count:     0
    .sgpr_spill_count: 0
    .symbol:         _ZN7rocprim17ROCPRIM_400000_NS6detail17trampoline_kernelINS0_14default_configENS1_20scan_config_selectorIiEEZZNS1_9scan_implILNS1_25lookback_scan_determinismE0ELb0ELb0ES3_N6thrust23THRUST_200600_302600_NS6detail15normal_iteratorINS9_10device_ptrIiEEEESE_iNS9_4plusIvEEiEEDaPvRmT3_T4_T5_mT6_P12ihipStream_tbENKUlT_T0_E_clISt17integral_constantIbLb0EEST_IbLb1EEEEDaSP_SQ_EUlSP_E_NS1_11comp_targetILNS1_3genE3ELNS1_11target_archE908ELNS1_3gpuE7ELNS1_3repE0EEENS1_30default_config_static_selectorELNS0_4arch9wavefront6targetE0EEEvT1_.kd
    .uniform_work_group_size: 1
    .uses_dynamic_stack: false
    .vgpr_count:     0
    .vgpr_spill_count: 0
    .wavefront_size: 32
  - .args:
      - .offset:         0
        .size:           96
        .value_kind:     by_value
    .group_segment_fixed_size: 0
    .kernarg_segment_align: 8
    .kernarg_segment_size: 96
    .language:       OpenCL C
    .language_version:
      - 2
      - 0
    .max_flat_workgroup_size: 256
    .name:           _ZN7rocprim17ROCPRIM_400000_NS6detail17trampoline_kernelINS0_14default_configENS1_20scan_config_selectorIiEEZZNS1_9scan_implILNS1_25lookback_scan_determinismE0ELb0ELb0ES3_N6thrust23THRUST_200600_302600_NS6detail15normal_iteratorINS9_10device_ptrIiEEEESE_iNS9_4plusIvEEiEEDaPvRmT3_T4_T5_mT6_P12ihipStream_tbENKUlT_T0_E_clISt17integral_constantIbLb0EEST_IbLb1EEEEDaSP_SQ_EUlSP_E_NS1_11comp_targetILNS1_3genE2ELNS1_11target_archE906ELNS1_3gpuE6ELNS1_3repE0EEENS1_30default_config_static_selectorELNS0_4arch9wavefront6targetE0EEEvT1_
    .private_segment_fixed_size: 0
    .sgpr_count:     0
    .sgpr_spill_count: 0
    .symbol:         _ZN7rocprim17ROCPRIM_400000_NS6detail17trampoline_kernelINS0_14default_configENS1_20scan_config_selectorIiEEZZNS1_9scan_implILNS1_25lookback_scan_determinismE0ELb0ELb0ES3_N6thrust23THRUST_200600_302600_NS6detail15normal_iteratorINS9_10device_ptrIiEEEESE_iNS9_4plusIvEEiEEDaPvRmT3_T4_T5_mT6_P12ihipStream_tbENKUlT_T0_E_clISt17integral_constantIbLb0EEST_IbLb1EEEEDaSP_SQ_EUlSP_E_NS1_11comp_targetILNS1_3genE2ELNS1_11target_archE906ELNS1_3gpuE6ELNS1_3repE0EEENS1_30default_config_static_selectorELNS0_4arch9wavefront6targetE0EEEvT1_.kd
    .uniform_work_group_size: 1
    .uses_dynamic_stack: false
    .vgpr_count:     0
    .vgpr_spill_count: 0
    .wavefront_size: 32
  - .args:
      - .offset:         0
        .size:           96
        .value_kind:     by_value
    .group_segment_fixed_size: 0
    .kernarg_segment_align: 8
    .kernarg_segment_size: 96
    .language:       OpenCL C
    .language_version:
      - 2
      - 0
    .max_flat_workgroup_size: 256
    .name:           _ZN7rocprim17ROCPRIM_400000_NS6detail17trampoline_kernelINS0_14default_configENS1_20scan_config_selectorIiEEZZNS1_9scan_implILNS1_25lookback_scan_determinismE0ELb0ELb0ES3_N6thrust23THRUST_200600_302600_NS6detail15normal_iteratorINS9_10device_ptrIiEEEESE_iNS9_4plusIvEEiEEDaPvRmT3_T4_T5_mT6_P12ihipStream_tbENKUlT_T0_E_clISt17integral_constantIbLb0EEST_IbLb1EEEEDaSP_SQ_EUlSP_E_NS1_11comp_targetILNS1_3genE10ELNS1_11target_archE1201ELNS1_3gpuE5ELNS1_3repE0EEENS1_30default_config_static_selectorELNS0_4arch9wavefront6targetE0EEEvT1_
    .private_segment_fixed_size: 0
    .sgpr_count:     0
    .sgpr_spill_count: 0
    .symbol:         _ZN7rocprim17ROCPRIM_400000_NS6detail17trampoline_kernelINS0_14default_configENS1_20scan_config_selectorIiEEZZNS1_9scan_implILNS1_25lookback_scan_determinismE0ELb0ELb0ES3_N6thrust23THRUST_200600_302600_NS6detail15normal_iteratorINS9_10device_ptrIiEEEESE_iNS9_4plusIvEEiEEDaPvRmT3_T4_T5_mT6_P12ihipStream_tbENKUlT_T0_E_clISt17integral_constantIbLb0EEST_IbLb1EEEEDaSP_SQ_EUlSP_E_NS1_11comp_targetILNS1_3genE10ELNS1_11target_archE1201ELNS1_3gpuE5ELNS1_3repE0EEENS1_30default_config_static_selectorELNS0_4arch9wavefront6targetE0EEEvT1_.kd
    .uniform_work_group_size: 1
    .uses_dynamic_stack: false
    .vgpr_count:     0
    .vgpr_spill_count: 0
    .wavefront_size: 32
  - .args:
      - .offset:         0
        .size:           96
        .value_kind:     by_value
    .group_segment_fixed_size: 0
    .kernarg_segment_align: 8
    .kernarg_segment_size: 96
    .language:       OpenCL C
    .language_version:
      - 2
      - 0
    .max_flat_workgroup_size: 256
    .name:           _ZN7rocprim17ROCPRIM_400000_NS6detail17trampoline_kernelINS0_14default_configENS1_20scan_config_selectorIiEEZZNS1_9scan_implILNS1_25lookback_scan_determinismE0ELb0ELb0ES3_N6thrust23THRUST_200600_302600_NS6detail15normal_iteratorINS9_10device_ptrIiEEEESE_iNS9_4plusIvEEiEEDaPvRmT3_T4_T5_mT6_P12ihipStream_tbENKUlT_T0_E_clISt17integral_constantIbLb0EEST_IbLb1EEEEDaSP_SQ_EUlSP_E_NS1_11comp_targetILNS1_3genE10ELNS1_11target_archE1200ELNS1_3gpuE4ELNS1_3repE0EEENS1_30default_config_static_selectorELNS0_4arch9wavefront6targetE0EEEvT1_
    .private_segment_fixed_size: 0
    .sgpr_count:     0
    .sgpr_spill_count: 0
    .symbol:         _ZN7rocprim17ROCPRIM_400000_NS6detail17trampoline_kernelINS0_14default_configENS1_20scan_config_selectorIiEEZZNS1_9scan_implILNS1_25lookback_scan_determinismE0ELb0ELb0ES3_N6thrust23THRUST_200600_302600_NS6detail15normal_iteratorINS9_10device_ptrIiEEEESE_iNS9_4plusIvEEiEEDaPvRmT3_T4_T5_mT6_P12ihipStream_tbENKUlT_T0_E_clISt17integral_constantIbLb0EEST_IbLb1EEEEDaSP_SQ_EUlSP_E_NS1_11comp_targetILNS1_3genE10ELNS1_11target_archE1200ELNS1_3gpuE4ELNS1_3repE0EEENS1_30default_config_static_selectorELNS0_4arch9wavefront6targetE0EEEvT1_.kd
    .uniform_work_group_size: 1
    .uses_dynamic_stack: false
    .vgpr_count:     0
    .vgpr_spill_count: 0
    .wavefront_size: 32
  - .args:
      - .offset:         0
        .size:           96
        .value_kind:     by_value
    .group_segment_fixed_size: 0
    .kernarg_segment_align: 8
    .kernarg_segment_size: 96
    .language:       OpenCL C
    .language_version:
      - 2
      - 0
    .max_flat_workgroup_size: 256
    .name:           _ZN7rocprim17ROCPRIM_400000_NS6detail17trampoline_kernelINS0_14default_configENS1_20scan_config_selectorIiEEZZNS1_9scan_implILNS1_25lookback_scan_determinismE0ELb0ELb0ES3_N6thrust23THRUST_200600_302600_NS6detail15normal_iteratorINS9_10device_ptrIiEEEESE_iNS9_4plusIvEEiEEDaPvRmT3_T4_T5_mT6_P12ihipStream_tbENKUlT_T0_E_clISt17integral_constantIbLb0EEST_IbLb1EEEEDaSP_SQ_EUlSP_E_NS1_11comp_targetILNS1_3genE9ELNS1_11target_archE1100ELNS1_3gpuE3ELNS1_3repE0EEENS1_30default_config_static_selectorELNS0_4arch9wavefront6targetE0EEEvT1_
    .private_segment_fixed_size: 0
    .sgpr_count:     0
    .sgpr_spill_count: 0
    .symbol:         _ZN7rocprim17ROCPRIM_400000_NS6detail17trampoline_kernelINS0_14default_configENS1_20scan_config_selectorIiEEZZNS1_9scan_implILNS1_25lookback_scan_determinismE0ELb0ELb0ES3_N6thrust23THRUST_200600_302600_NS6detail15normal_iteratorINS9_10device_ptrIiEEEESE_iNS9_4plusIvEEiEEDaPvRmT3_T4_T5_mT6_P12ihipStream_tbENKUlT_T0_E_clISt17integral_constantIbLb0EEST_IbLb1EEEEDaSP_SQ_EUlSP_E_NS1_11comp_targetILNS1_3genE9ELNS1_11target_archE1100ELNS1_3gpuE3ELNS1_3repE0EEENS1_30default_config_static_selectorELNS0_4arch9wavefront6targetE0EEEvT1_.kd
    .uniform_work_group_size: 1
    .uses_dynamic_stack: false
    .vgpr_count:     0
    .vgpr_spill_count: 0
    .wavefront_size: 32
  - .args:
      - .offset:         0
        .size:           96
        .value_kind:     by_value
    .group_segment_fixed_size: 0
    .kernarg_segment_align: 8
    .kernarg_segment_size: 96
    .language:       OpenCL C
    .language_version:
      - 2
      - 0
    .max_flat_workgroup_size: 64
    .name:           _ZN7rocprim17ROCPRIM_400000_NS6detail17trampoline_kernelINS0_14default_configENS1_20scan_config_selectorIiEEZZNS1_9scan_implILNS1_25lookback_scan_determinismE0ELb0ELb0ES3_N6thrust23THRUST_200600_302600_NS6detail15normal_iteratorINS9_10device_ptrIiEEEESE_iNS9_4plusIvEEiEEDaPvRmT3_T4_T5_mT6_P12ihipStream_tbENKUlT_T0_E_clISt17integral_constantIbLb0EEST_IbLb1EEEEDaSP_SQ_EUlSP_E_NS1_11comp_targetILNS1_3genE8ELNS1_11target_archE1030ELNS1_3gpuE2ELNS1_3repE0EEENS1_30default_config_static_selectorELNS0_4arch9wavefront6targetE0EEEvT1_
    .private_segment_fixed_size: 0
    .sgpr_count:     0
    .sgpr_spill_count: 0
    .symbol:         _ZN7rocprim17ROCPRIM_400000_NS6detail17trampoline_kernelINS0_14default_configENS1_20scan_config_selectorIiEEZZNS1_9scan_implILNS1_25lookback_scan_determinismE0ELb0ELb0ES3_N6thrust23THRUST_200600_302600_NS6detail15normal_iteratorINS9_10device_ptrIiEEEESE_iNS9_4plusIvEEiEEDaPvRmT3_T4_T5_mT6_P12ihipStream_tbENKUlT_T0_E_clISt17integral_constantIbLb0EEST_IbLb1EEEEDaSP_SQ_EUlSP_E_NS1_11comp_targetILNS1_3genE8ELNS1_11target_archE1030ELNS1_3gpuE2ELNS1_3repE0EEENS1_30default_config_static_selectorELNS0_4arch9wavefront6targetE0EEEvT1_.kd
    .uniform_work_group_size: 1
    .uses_dynamic_stack: false
    .vgpr_count:     0
    .vgpr_spill_count: 0
    .wavefront_size: 32
  - .args:
      - .offset:         0
        .size:           32
        .value_kind:     by_value
    .group_segment_fixed_size: 14336
    .kernarg_segment_align: 8
    .kernarg_segment_size: 32
    .language:       OpenCL C
    .language_version:
      - 2
      - 0
    .max_flat_workgroup_size: 256
    .name:           _ZN7rocprim17ROCPRIM_400000_NS6detail17trampoline_kernelINS0_14default_configENS1_20scan_config_selectorIiEEZZNS1_9scan_implILNS1_25lookback_scan_determinismE0ELb0ELb0ES3_N6thrust23THRUST_200600_302600_NS6detail15normal_iteratorINS9_10device_ptrIiEEEESE_iNS9_4plusIvEEiEEDaPvRmT3_T4_T5_mT6_P12ihipStream_tbENKUlT_T0_E_clISt17integral_constantIbLb0EEST_IbLb1EEEEDaSP_SQ_EUlSP_E0_NS1_11comp_targetILNS1_3genE0ELNS1_11target_archE4294967295ELNS1_3gpuE0ELNS1_3repE0EEENS1_30default_config_static_selectorELNS0_4arch9wavefront6targetE0EEEvT1_
    .private_segment_fixed_size: 0
    .sgpr_count:     22
    .sgpr_spill_count: 0
    .symbol:         _ZN7rocprim17ROCPRIM_400000_NS6detail17trampoline_kernelINS0_14default_configENS1_20scan_config_selectorIiEEZZNS1_9scan_implILNS1_25lookback_scan_determinismE0ELb0ELb0ES3_N6thrust23THRUST_200600_302600_NS6detail15normal_iteratorINS9_10device_ptrIiEEEESE_iNS9_4plusIvEEiEEDaPvRmT3_T4_T5_mT6_P12ihipStream_tbENKUlT_T0_E_clISt17integral_constantIbLb0EEST_IbLb1EEEEDaSP_SQ_EUlSP_E0_NS1_11comp_targetILNS1_3genE0ELNS1_11target_archE4294967295ELNS1_3gpuE0ELNS1_3repE0EEENS1_30default_config_static_selectorELNS0_4arch9wavefront6targetE0EEEvT1_.kd
    .uniform_work_group_size: 1
    .uses_dynamic_stack: false
    .vgpr_count:     35
    .vgpr_spill_count: 0
    .wavefront_size: 32
  - .args:
      - .offset:         0
        .size:           32
        .value_kind:     by_value
    .group_segment_fixed_size: 0
    .kernarg_segment_align: 8
    .kernarg_segment_size: 32
    .language:       OpenCL C
    .language_version:
      - 2
      - 0
    .max_flat_workgroup_size: 256
    .name:           _ZN7rocprim17ROCPRIM_400000_NS6detail17trampoline_kernelINS0_14default_configENS1_20scan_config_selectorIiEEZZNS1_9scan_implILNS1_25lookback_scan_determinismE0ELb0ELb0ES3_N6thrust23THRUST_200600_302600_NS6detail15normal_iteratorINS9_10device_ptrIiEEEESE_iNS9_4plusIvEEiEEDaPvRmT3_T4_T5_mT6_P12ihipStream_tbENKUlT_T0_E_clISt17integral_constantIbLb0EEST_IbLb1EEEEDaSP_SQ_EUlSP_E0_NS1_11comp_targetILNS1_3genE5ELNS1_11target_archE942ELNS1_3gpuE9ELNS1_3repE0EEENS1_30default_config_static_selectorELNS0_4arch9wavefront6targetE0EEEvT1_
    .private_segment_fixed_size: 0
    .sgpr_count:     0
    .sgpr_spill_count: 0
    .symbol:         _ZN7rocprim17ROCPRIM_400000_NS6detail17trampoline_kernelINS0_14default_configENS1_20scan_config_selectorIiEEZZNS1_9scan_implILNS1_25lookback_scan_determinismE0ELb0ELb0ES3_N6thrust23THRUST_200600_302600_NS6detail15normal_iteratorINS9_10device_ptrIiEEEESE_iNS9_4plusIvEEiEEDaPvRmT3_T4_T5_mT6_P12ihipStream_tbENKUlT_T0_E_clISt17integral_constantIbLb0EEST_IbLb1EEEEDaSP_SQ_EUlSP_E0_NS1_11comp_targetILNS1_3genE5ELNS1_11target_archE942ELNS1_3gpuE9ELNS1_3repE0EEENS1_30default_config_static_selectorELNS0_4arch9wavefront6targetE0EEEvT1_.kd
    .uniform_work_group_size: 1
    .uses_dynamic_stack: false
    .vgpr_count:     0
    .vgpr_spill_count: 0
    .wavefront_size: 32
  - .args:
      - .offset:         0
        .size:           32
        .value_kind:     by_value
    .group_segment_fixed_size: 0
    .kernarg_segment_align: 8
    .kernarg_segment_size: 32
    .language:       OpenCL C
    .language_version:
      - 2
      - 0
    .max_flat_workgroup_size: 128
    .name:           _ZN7rocprim17ROCPRIM_400000_NS6detail17trampoline_kernelINS0_14default_configENS1_20scan_config_selectorIiEEZZNS1_9scan_implILNS1_25lookback_scan_determinismE0ELb0ELb0ES3_N6thrust23THRUST_200600_302600_NS6detail15normal_iteratorINS9_10device_ptrIiEEEESE_iNS9_4plusIvEEiEEDaPvRmT3_T4_T5_mT6_P12ihipStream_tbENKUlT_T0_E_clISt17integral_constantIbLb0EEST_IbLb1EEEEDaSP_SQ_EUlSP_E0_NS1_11comp_targetILNS1_3genE4ELNS1_11target_archE910ELNS1_3gpuE8ELNS1_3repE0EEENS1_30default_config_static_selectorELNS0_4arch9wavefront6targetE0EEEvT1_
    .private_segment_fixed_size: 0
    .sgpr_count:     0
    .sgpr_spill_count: 0
    .symbol:         _ZN7rocprim17ROCPRIM_400000_NS6detail17trampoline_kernelINS0_14default_configENS1_20scan_config_selectorIiEEZZNS1_9scan_implILNS1_25lookback_scan_determinismE0ELb0ELb0ES3_N6thrust23THRUST_200600_302600_NS6detail15normal_iteratorINS9_10device_ptrIiEEEESE_iNS9_4plusIvEEiEEDaPvRmT3_T4_T5_mT6_P12ihipStream_tbENKUlT_T0_E_clISt17integral_constantIbLb0EEST_IbLb1EEEEDaSP_SQ_EUlSP_E0_NS1_11comp_targetILNS1_3genE4ELNS1_11target_archE910ELNS1_3gpuE8ELNS1_3repE0EEENS1_30default_config_static_selectorELNS0_4arch9wavefront6targetE0EEEvT1_.kd
    .uniform_work_group_size: 1
    .uses_dynamic_stack: false
    .vgpr_count:     0
    .vgpr_spill_count: 0
    .wavefront_size: 32
  - .args:
      - .offset:         0
        .size:           32
        .value_kind:     by_value
    .group_segment_fixed_size: 0
    .kernarg_segment_align: 8
    .kernarg_segment_size: 32
    .language:       OpenCL C
    .language_version:
      - 2
      - 0
    .max_flat_workgroup_size: 256
    .name:           _ZN7rocprim17ROCPRIM_400000_NS6detail17trampoline_kernelINS0_14default_configENS1_20scan_config_selectorIiEEZZNS1_9scan_implILNS1_25lookback_scan_determinismE0ELb0ELb0ES3_N6thrust23THRUST_200600_302600_NS6detail15normal_iteratorINS9_10device_ptrIiEEEESE_iNS9_4plusIvEEiEEDaPvRmT3_T4_T5_mT6_P12ihipStream_tbENKUlT_T0_E_clISt17integral_constantIbLb0EEST_IbLb1EEEEDaSP_SQ_EUlSP_E0_NS1_11comp_targetILNS1_3genE3ELNS1_11target_archE908ELNS1_3gpuE7ELNS1_3repE0EEENS1_30default_config_static_selectorELNS0_4arch9wavefront6targetE0EEEvT1_
    .private_segment_fixed_size: 0
    .sgpr_count:     0
    .sgpr_spill_count: 0
    .symbol:         _ZN7rocprim17ROCPRIM_400000_NS6detail17trampoline_kernelINS0_14default_configENS1_20scan_config_selectorIiEEZZNS1_9scan_implILNS1_25lookback_scan_determinismE0ELb0ELb0ES3_N6thrust23THRUST_200600_302600_NS6detail15normal_iteratorINS9_10device_ptrIiEEEESE_iNS9_4plusIvEEiEEDaPvRmT3_T4_T5_mT6_P12ihipStream_tbENKUlT_T0_E_clISt17integral_constantIbLb0EEST_IbLb1EEEEDaSP_SQ_EUlSP_E0_NS1_11comp_targetILNS1_3genE3ELNS1_11target_archE908ELNS1_3gpuE7ELNS1_3repE0EEENS1_30default_config_static_selectorELNS0_4arch9wavefront6targetE0EEEvT1_.kd
    .uniform_work_group_size: 1
    .uses_dynamic_stack: false
    .vgpr_count:     0
    .vgpr_spill_count: 0
    .wavefront_size: 32
  - .args:
      - .offset:         0
        .size:           32
        .value_kind:     by_value
    .group_segment_fixed_size: 0
    .kernarg_segment_align: 8
    .kernarg_segment_size: 32
    .language:       OpenCL C
    .language_version:
      - 2
      - 0
    .max_flat_workgroup_size: 256
    .name:           _ZN7rocprim17ROCPRIM_400000_NS6detail17trampoline_kernelINS0_14default_configENS1_20scan_config_selectorIiEEZZNS1_9scan_implILNS1_25lookback_scan_determinismE0ELb0ELb0ES3_N6thrust23THRUST_200600_302600_NS6detail15normal_iteratorINS9_10device_ptrIiEEEESE_iNS9_4plusIvEEiEEDaPvRmT3_T4_T5_mT6_P12ihipStream_tbENKUlT_T0_E_clISt17integral_constantIbLb0EEST_IbLb1EEEEDaSP_SQ_EUlSP_E0_NS1_11comp_targetILNS1_3genE2ELNS1_11target_archE906ELNS1_3gpuE6ELNS1_3repE0EEENS1_30default_config_static_selectorELNS0_4arch9wavefront6targetE0EEEvT1_
    .private_segment_fixed_size: 0
    .sgpr_count:     0
    .sgpr_spill_count: 0
    .symbol:         _ZN7rocprim17ROCPRIM_400000_NS6detail17trampoline_kernelINS0_14default_configENS1_20scan_config_selectorIiEEZZNS1_9scan_implILNS1_25lookback_scan_determinismE0ELb0ELb0ES3_N6thrust23THRUST_200600_302600_NS6detail15normal_iteratorINS9_10device_ptrIiEEEESE_iNS9_4plusIvEEiEEDaPvRmT3_T4_T5_mT6_P12ihipStream_tbENKUlT_T0_E_clISt17integral_constantIbLb0EEST_IbLb1EEEEDaSP_SQ_EUlSP_E0_NS1_11comp_targetILNS1_3genE2ELNS1_11target_archE906ELNS1_3gpuE6ELNS1_3repE0EEENS1_30default_config_static_selectorELNS0_4arch9wavefront6targetE0EEEvT1_.kd
    .uniform_work_group_size: 1
    .uses_dynamic_stack: false
    .vgpr_count:     0
    .vgpr_spill_count: 0
    .wavefront_size: 32
  - .args:
      - .offset:         0
        .size:           32
        .value_kind:     by_value
    .group_segment_fixed_size: 0
    .kernarg_segment_align: 8
    .kernarg_segment_size: 32
    .language:       OpenCL C
    .language_version:
      - 2
      - 0
    .max_flat_workgroup_size: 256
    .name:           _ZN7rocprim17ROCPRIM_400000_NS6detail17trampoline_kernelINS0_14default_configENS1_20scan_config_selectorIiEEZZNS1_9scan_implILNS1_25lookback_scan_determinismE0ELb0ELb0ES3_N6thrust23THRUST_200600_302600_NS6detail15normal_iteratorINS9_10device_ptrIiEEEESE_iNS9_4plusIvEEiEEDaPvRmT3_T4_T5_mT6_P12ihipStream_tbENKUlT_T0_E_clISt17integral_constantIbLb0EEST_IbLb1EEEEDaSP_SQ_EUlSP_E0_NS1_11comp_targetILNS1_3genE10ELNS1_11target_archE1201ELNS1_3gpuE5ELNS1_3repE0EEENS1_30default_config_static_selectorELNS0_4arch9wavefront6targetE0EEEvT1_
    .private_segment_fixed_size: 0
    .sgpr_count:     0
    .sgpr_spill_count: 0
    .symbol:         _ZN7rocprim17ROCPRIM_400000_NS6detail17trampoline_kernelINS0_14default_configENS1_20scan_config_selectorIiEEZZNS1_9scan_implILNS1_25lookback_scan_determinismE0ELb0ELb0ES3_N6thrust23THRUST_200600_302600_NS6detail15normal_iteratorINS9_10device_ptrIiEEEESE_iNS9_4plusIvEEiEEDaPvRmT3_T4_T5_mT6_P12ihipStream_tbENKUlT_T0_E_clISt17integral_constantIbLb0EEST_IbLb1EEEEDaSP_SQ_EUlSP_E0_NS1_11comp_targetILNS1_3genE10ELNS1_11target_archE1201ELNS1_3gpuE5ELNS1_3repE0EEENS1_30default_config_static_selectorELNS0_4arch9wavefront6targetE0EEEvT1_.kd
    .uniform_work_group_size: 1
    .uses_dynamic_stack: false
    .vgpr_count:     0
    .vgpr_spill_count: 0
    .wavefront_size: 32
  - .args:
      - .offset:         0
        .size:           32
        .value_kind:     by_value
    .group_segment_fixed_size: 0
    .kernarg_segment_align: 8
    .kernarg_segment_size: 32
    .language:       OpenCL C
    .language_version:
      - 2
      - 0
    .max_flat_workgroup_size: 256
    .name:           _ZN7rocprim17ROCPRIM_400000_NS6detail17trampoline_kernelINS0_14default_configENS1_20scan_config_selectorIiEEZZNS1_9scan_implILNS1_25lookback_scan_determinismE0ELb0ELb0ES3_N6thrust23THRUST_200600_302600_NS6detail15normal_iteratorINS9_10device_ptrIiEEEESE_iNS9_4plusIvEEiEEDaPvRmT3_T4_T5_mT6_P12ihipStream_tbENKUlT_T0_E_clISt17integral_constantIbLb0EEST_IbLb1EEEEDaSP_SQ_EUlSP_E0_NS1_11comp_targetILNS1_3genE10ELNS1_11target_archE1200ELNS1_3gpuE4ELNS1_3repE0EEENS1_30default_config_static_selectorELNS0_4arch9wavefront6targetE0EEEvT1_
    .private_segment_fixed_size: 0
    .sgpr_count:     0
    .sgpr_spill_count: 0
    .symbol:         _ZN7rocprim17ROCPRIM_400000_NS6detail17trampoline_kernelINS0_14default_configENS1_20scan_config_selectorIiEEZZNS1_9scan_implILNS1_25lookback_scan_determinismE0ELb0ELb0ES3_N6thrust23THRUST_200600_302600_NS6detail15normal_iteratorINS9_10device_ptrIiEEEESE_iNS9_4plusIvEEiEEDaPvRmT3_T4_T5_mT6_P12ihipStream_tbENKUlT_T0_E_clISt17integral_constantIbLb0EEST_IbLb1EEEEDaSP_SQ_EUlSP_E0_NS1_11comp_targetILNS1_3genE10ELNS1_11target_archE1200ELNS1_3gpuE4ELNS1_3repE0EEENS1_30default_config_static_selectorELNS0_4arch9wavefront6targetE0EEEvT1_.kd
    .uniform_work_group_size: 1
    .uses_dynamic_stack: false
    .vgpr_count:     0
    .vgpr_spill_count: 0
    .wavefront_size: 32
  - .args:
      - .offset:         0
        .size:           32
        .value_kind:     by_value
    .group_segment_fixed_size: 0
    .kernarg_segment_align: 8
    .kernarg_segment_size: 32
    .language:       OpenCL C
    .language_version:
      - 2
      - 0
    .max_flat_workgroup_size: 256
    .name:           _ZN7rocprim17ROCPRIM_400000_NS6detail17trampoline_kernelINS0_14default_configENS1_20scan_config_selectorIiEEZZNS1_9scan_implILNS1_25lookback_scan_determinismE0ELb0ELb0ES3_N6thrust23THRUST_200600_302600_NS6detail15normal_iteratorINS9_10device_ptrIiEEEESE_iNS9_4plusIvEEiEEDaPvRmT3_T4_T5_mT6_P12ihipStream_tbENKUlT_T0_E_clISt17integral_constantIbLb0EEST_IbLb1EEEEDaSP_SQ_EUlSP_E0_NS1_11comp_targetILNS1_3genE9ELNS1_11target_archE1100ELNS1_3gpuE3ELNS1_3repE0EEENS1_30default_config_static_selectorELNS0_4arch9wavefront6targetE0EEEvT1_
    .private_segment_fixed_size: 0
    .sgpr_count:     0
    .sgpr_spill_count: 0
    .symbol:         _ZN7rocprim17ROCPRIM_400000_NS6detail17trampoline_kernelINS0_14default_configENS1_20scan_config_selectorIiEEZZNS1_9scan_implILNS1_25lookback_scan_determinismE0ELb0ELb0ES3_N6thrust23THRUST_200600_302600_NS6detail15normal_iteratorINS9_10device_ptrIiEEEESE_iNS9_4plusIvEEiEEDaPvRmT3_T4_T5_mT6_P12ihipStream_tbENKUlT_T0_E_clISt17integral_constantIbLb0EEST_IbLb1EEEEDaSP_SQ_EUlSP_E0_NS1_11comp_targetILNS1_3genE9ELNS1_11target_archE1100ELNS1_3gpuE3ELNS1_3repE0EEENS1_30default_config_static_selectorELNS0_4arch9wavefront6targetE0EEEvT1_.kd
    .uniform_work_group_size: 1
    .uses_dynamic_stack: false
    .vgpr_count:     0
    .vgpr_spill_count: 0
    .wavefront_size: 32
  - .args:
      - .offset:         0
        .size:           32
        .value_kind:     by_value
    .group_segment_fixed_size: 0
    .kernarg_segment_align: 8
    .kernarg_segment_size: 32
    .language:       OpenCL C
    .language_version:
      - 2
      - 0
    .max_flat_workgroup_size: 64
    .name:           _ZN7rocprim17ROCPRIM_400000_NS6detail17trampoline_kernelINS0_14default_configENS1_20scan_config_selectorIiEEZZNS1_9scan_implILNS1_25lookback_scan_determinismE0ELb0ELb0ES3_N6thrust23THRUST_200600_302600_NS6detail15normal_iteratorINS9_10device_ptrIiEEEESE_iNS9_4plusIvEEiEEDaPvRmT3_T4_T5_mT6_P12ihipStream_tbENKUlT_T0_E_clISt17integral_constantIbLb0EEST_IbLb1EEEEDaSP_SQ_EUlSP_E0_NS1_11comp_targetILNS1_3genE8ELNS1_11target_archE1030ELNS1_3gpuE2ELNS1_3repE0EEENS1_30default_config_static_selectorELNS0_4arch9wavefront6targetE0EEEvT1_
    .private_segment_fixed_size: 0
    .sgpr_count:     0
    .sgpr_spill_count: 0
    .symbol:         _ZN7rocprim17ROCPRIM_400000_NS6detail17trampoline_kernelINS0_14default_configENS1_20scan_config_selectorIiEEZZNS1_9scan_implILNS1_25lookback_scan_determinismE0ELb0ELb0ES3_N6thrust23THRUST_200600_302600_NS6detail15normal_iteratorINS9_10device_ptrIiEEEESE_iNS9_4plusIvEEiEEDaPvRmT3_T4_T5_mT6_P12ihipStream_tbENKUlT_T0_E_clISt17integral_constantIbLb0EEST_IbLb1EEEEDaSP_SQ_EUlSP_E0_NS1_11comp_targetILNS1_3genE8ELNS1_11target_archE1030ELNS1_3gpuE2ELNS1_3repE0EEENS1_30default_config_static_selectorELNS0_4arch9wavefront6targetE0EEEvT1_.kd
    .uniform_work_group_size: 1
    .uses_dynamic_stack: false
    .vgpr_count:     0
    .vgpr_spill_count: 0
    .wavefront_size: 32
  - .args:
      - .address_space:  global
        .offset:         0
        .size:           8
        .value_kind:     global_buffer
      - .offset:         8
        .size:           4
        .value_kind:     by_value
      - .offset:         12
        .size:           4
        .value_kind:     by_value
      - .address_space:  global
        .offset:         16
        .size:           8
        .value_kind:     global_buffer
      - .offset:         24
        .size:           8
        .value_kind:     by_value
      - .actual_access:  write_only
        .address_space:  global
        .offset:         32
        .size:           8
        .value_kind:     global_buffer
      - .offset:         40
        .size:           8
        .value_kind:     by_value
      - .offset:         48
        .size:           4
        .value_kind:     by_value
      - .offset:         52
        .size:           1
        .value_kind:     by_value
      - .offset:         56
        .size:           4
        .value_kind:     hidden_block_count_x
      - .offset:         60
        .size:           4
        .value_kind:     hidden_block_count_y
      - .offset:         64
        .size:           4
        .value_kind:     hidden_block_count_z
      - .offset:         68
        .size:           2
        .value_kind:     hidden_group_size_x
      - .offset:         70
        .size:           2
        .value_kind:     hidden_group_size_y
      - .offset:         72
        .size:           2
        .value_kind:     hidden_group_size_z
      - .offset:         74
        .size:           2
        .value_kind:     hidden_remainder_x
      - .offset:         76
        .size:           2
        .value_kind:     hidden_remainder_y
      - .offset:         78
        .size:           2
        .value_kind:     hidden_remainder_z
      - .offset:         96
        .size:           8
        .value_kind:     hidden_global_offset_x
      - .offset:         104
        .size:           8
        .value_kind:     hidden_global_offset_y
      - .offset:         112
        .size:           8
        .value_kind:     hidden_global_offset_z
      - .offset:         120
        .size:           2
        .value_kind:     hidden_grid_dims
    .group_segment_fixed_size: 0
    .kernarg_segment_align: 8
    .kernarg_segment_size: 312
    .language:       OpenCL C
    .language_version:
      - 2
      - 0
    .max_flat_workgroup_size: 256
    .name:           _ZN7rocprim17ROCPRIM_400000_NS6detail30init_device_scan_by_key_kernelINS1_19lookback_scan_stateINS0_5tupleIJibEEELb0ELb1EEEN6thrust23THRUST_200600_302600_NS18transform_iteratorI9which_rowNS8_17counting_iteratorIiNS8_11use_defaultESC_SC_EESC_SC_EEjNS1_16block_id_wrapperIjLb0EEEEEvT_jjPNSH_10value_typeET0_PNSt15iterator_traitsISK_E10value_typeEmT1_T2_
    .private_segment_fixed_size: 0
    .sgpr_count:     19
    .sgpr_spill_count: 0
    .symbol:         _ZN7rocprim17ROCPRIM_400000_NS6detail30init_device_scan_by_key_kernelINS1_19lookback_scan_stateINS0_5tupleIJibEEELb0ELb1EEEN6thrust23THRUST_200600_302600_NS18transform_iteratorI9which_rowNS8_17counting_iteratorIiNS8_11use_defaultESC_SC_EESC_SC_EEjNS1_16block_id_wrapperIjLb0EEEEEvT_jjPNSH_10value_typeET0_PNSt15iterator_traitsISK_E10value_typeEmT1_T2_.kd
    .uniform_work_group_size: 1
    .uses_dynamic_stack: false
    .vgpr_count:     10
    .vgpr_spill_count: 0
    .wavefront_size: 32
  - .args:
      - .address_space:  global
        .offset:         0
        .size:           8
        .value_kind:     global_buffer
      - .offset:         8
        .size:           4
        .value_kind:     by_value
      - .offset:         12
        .size:           4
        .value_kind:     by_value
      - .address_space:  global
        .offset:         16
        .size:           8
        .value_kind:     global_buffer
      - .offset:         24
        .size:           1
        .value_kind:     by_value
      - .offset:         32
        .size:           4
        .value_kind:     hidden_block_count_x
      - .offset:         36
        .size:           4
        .value_kind:     hidden_block_count_y
      - .offset:         40
        .size:           4
        .value_kind:     hidden_block_count_z
      - .offset:         44
        .size:           2
        .value_kind:     hidden_group_size_x
      - .offset:         46
        .size:           2
        .value_kind:     hidden_group_size_y
      - .offset:         48
        .size:           2
        .value_kind:     hidden_group_size_z
      - .offset:         50
        .size:           2
        .value_kind:     hidden_remainder_x
      - .offset:         52
        .size:           2
        .value_kind:     hidden_remainder_y
      - .offset:         54
        .size:           2
        .value_kind:     hidden_remainder_z
      - .offset:         72
        .size:           8
        .value_kind:     hidden_global_offset_x
      - .offset:         80
        .size:           8
        .value_kind:     hidden_global_offset_y
      - .offset:         88
        .size:           8
        .value_kind:     hidden_global_offset_z
      - .offset:         96
        .size:           2
        .value_kind:     hidden_grid_dims
    .group_segment_fixed_size: 0
    .kernarg_segment_align: 8
    .kernarg_segment_size: 288
    .language:       OpenCL C
    .language_version:
      - 2
      - 0
    .max_flat_workgroup_size: 256
    .name:           _ZN7rocprim17ROCPRIM_400000_NS6detail30init_device_scan_by_key_kernelINS1_19lookback_scan_stateINS0_5tupleIJibEEELb0ELb1EEENS1_16block_id_wrapperIjLb0EEEEEvT_jjPNS9_10value_typeET0_
    .private_segment_fixed_size: 0
    .sgpr_count:     13
    .sgpr_spill_count: 0
    .symbol:         _ZN7rocprim17ROCPRIM_400000_NS6detail30init_device_scan_by_key_kernelINS1_19lookback_scan_stateINS0_5tupleIJibEEELb0ELb1EEENS1_16block_id_wrapperIjLb0EEEEEvT_jjPNS9_10value_typeET0_.kd
    .uniform_work_group_size: 1
    .uses_dynamic_stack: false
    .vgpr_count:     9
    .vgpr_spill_count: 0
    .wavefront_size: 32
  - .args:
      - .offset:         0
        .size:           112
        .value_kind:     by_value
    .group_segment_fixed_size: 14336
    .kernarg_segment_align: 8
    .kernarg_segment_size: 112
    .language:       OpenCL C
    .language_version:
      - 2
      - 0
    .max_flat_workgroup_size: 256
    .name:           _ZN7rocprim17ROCPRIM_400000_NS6detail17trampoline_kernelINS0_14default_configENS1_27scan_by_key_config_selectorIiiEEZZNS1_16scan_by_key_implILNS1_25lookback_scan_determinismE0ELb0ES3_N6thrust23THRUST_200600_302600_NS18transform_iteratorI9which_rowNS9_17counting_iteratorIiNS9_11use_defaultESD_SD_EESD_SD_EENS9_6detail15normal_iteratorINS9_10device_ptrIiEEEESK_iNS9_4plusIvEENS9_8equal_toIvEEiEE10hipError_tPvRmT2_T3_T4_T5_mT6_T7_P12ihipStream_tbENKUlT_T0_E_clISt17integral_constantIbLb0EES15_EEDaS10_S11_EUlS10_E_NS1_11comp_targetILNS1_3genE0ELNS1_11target_archE4294967295ELNS1_3gpuE0ELNS1_3repE0EEENS1_30default_config_static_selectorELNS0_4arch9wavefront6targetE0EEEvT1_
    .private_segment_fixed_size: 0
    .sgpr_count:     48
    .sgpr_spill_count: 0
    .symbol:         _ZN7rocprim17ROCPRIM_400000_NS6detail17trampoline_kernelINS0_14default_configENS1_27scan_by_key_config_selectorIiiEEZZNS1_16scan_by_key_implILNS1_25lookback_scan_determinismE0ELb0ES3_N6thrust23THRUST_200600_302600_NS18transform_iteratorI9which_rowNS9_17counting_iteratorIiNS9_11use_defaultESD_SD_EESD_SD_EENS9_6detail15normal_iteratorINS9_10device_ptrIiEEEESK_iNS9_4plusIvEENS9_8equal_toIvEEiEE10hipError_tPvRmT2_T3_T4_T5_mT6_T7_P12ihipStream_tbENKUlT_T0_E_clISt17integral_constantIbLb0EES15_EEDaS10_S11_EUlS10_E_NS1_11comp_targetILNS1_3genE0ELNS1_11target_archE4294967295ELNS1_3gpuE0ELNS1_3repE0EEENS1_30default_config_static_selectorELNS0_4arch9wavefront6targetE0EEEvT1_.kd
    .uniform_work_group_size: 1
    .uses_dynamic_stack: false
    .vgpr_count:     60
    .vgpr_spill_count: 0
    .wavefront_size: 32
  - .args:
      - .offset:         0
        .size:           112
        .value_kind:     by_value
    .group_segment_fixed_size: 0
    .kernarg_segment_align: 8
    .kernarg_segment_size: 112
    .language:       OpenCL C
    .language_version:
      - 2
      - 0
    .max_flat_workgroup_size: 256
    .name:           _ZN7rocprim17ROCPRIM_400000_NS6detail17trampoline_kernelINS0_14default_configENS1_27scan_by_key_config_selectorIiiEEZZNS1_16scan_by_key_implILNS1_25lookback_scan_determinismE0ELb0ES3_N6thrust23THRUST_200600_302600_NS18transform_iteratorI9which_rowNS9_17counting_iteratorIiNS9_11use_defaultESD_SD_EESD_SD_EENS9_6detail15normal_iteratorINS9_10device_ptrIiEEEESK_iNS9_4plusIvEENS9_8equal_toIvEEiEE10hipError_tPvRmT2_T3_T4_T5_mT6_T7_P12ihipStream_tbENKUlT_T0_E_clISt17integral_constantIbLb0EES15_EEDaS10_S11_EUlS10_E_NS1_11comp_targetILNS1_3genE10ELNS1_11target_archE1201ELNS1_3gpuE5ELNS1_3repE0EEENS1_30default_config_static_selectorELNS0_4arch9wavefront6targetE0EEEvT1_
    .private_segment_fixed_size: 0
    .sgpr_count:     0
    .sgpr_spill_count: 0
    .symbol:         _ZN7rocprim17ROCPRIM_400000_NS6detail17trampoline_kernelINS0_14default_configENS1_27scan_by_key_config_selectorIiiEEZZNS1_16scan_by_key_implILNS1_25lookback_scan_determinismE0ELb0ES3_N6thrust23THRUST_200600_302600_NS18transform_iteratorI9which_rowNS9_17counting_iteratorIiNS9_11use_defaultESD_SD_EESD_SD_EENS9_6detail15normal_iteratorINS9_10device_ptrIiEEEESK_iNS9_4plusIvEENS9_8equal_toIvEEiEE10hipError_tPvRmT2_T3_T4_T5_mT6_T7_P12ihipStream_tbENKUlT_T0_E_clISt17integral_constantIbLb0EES15_EEDaS10_S11_EUlS10_E_NS1_11comp_targetILNS1_3genE10ELNS1_11target_archE1201ELNS1_3gpuE5ELNS1_3repE0EEENS1_30default_config_static_selectorELNS0_4arch9wavefront6targetE0EEEvT1_.kd
    .uniform_work_group_size: 1
    .uses_dynamic_stack: false
    .vgpr_count:     0
    .vgpr_spill_count: 0
    .wavefront_size: 32
  - .args:
      - .offset:         0
        .size:           112
        .value_kind:     by_value
    .group_segment_fixed_size: 0
    .kernarg_segment_align: 8
    .kernarg_segment_size: 112
    .language:       OpenCL C
    .language_version:
      - 2
      - 0
    .max_flat_workgroup_size: 256
    .name:           _ZN7rocprim17ROCPRIM_400000_NS6detail17trampoline_kernelINS0_14default_configENS1_27scan_by_key_config_selectorIiiEEZZNS1_16scan_by_key_implILNS1_25lookback_scan_determinismE0ELb0ES3_N6thrust23THRUST_200600_302600_NS18transform_iteratorI9which_rowNS9_17counting_iteratorIiNS9_11use_defaultESD_SD_EESD_SD_EENS9_6detail15normal_iteratorINS9_10device_ptrIiEEEESK_iNS9_4plusIvEENS9_8equal_toIvEEiEE10hipError_tPvRmT2_T3_T4_T5_mT6_T7_P12ihipStream_tbENKUlT_T0_E_clISt17integral_constantIbLb0EES15_EEDaS10_S11_EUlS10_E_NS1_11comp_targetILNS1_3genE5ELNS1_11target_archE942ELNS1_3gpuE9ELNS1_3repE0EEENS1_30default_config_static_selectorELNS0_4arch9wavefront6targetE0EEEvT1_
    .private_segment_fixed_size: 0
    .sgpr_count:     0
    .sgpr_spill_count: 0
    .symbol:         _ZN7rocprim17ROCPRIM_400000_NS6detail17trampoline_kernelINS0_14default_configENS1_27scan_by_key_config_selectorIiiEEZZNS1_16scan_by_key_implILNS1_25lookback_scan_determinismE0ELb0ES3_N6thrust23THRUST_200600_302600_NS18transform_iteratorI9which_rowNS9_17counting_iteratorIiNS9_11use_defaultESD_SD_EESD_SD_EENS9_6detail15normal_iteratorINS9_10device_ptrIiEEEESK_iNS9_4plusIvEENS9_8equal_toIvEEiEE10hipError_tPvRmT2_T3_T4_T5_mT6_T7_P12ihipStream_tbENKUlT_T0_E_clISt17integral_constantIbLb0EES15_EEDaS10_S11_EUlS10_E_NS1_11comp_targetILNS1_3genE5ELNS1_11target_archE942ELNS1_3gpuE9ELNS1_3repE0EEENS1_30default_config_static_selectorELNS0_4arch9wavefront6targetE0EEEvT1_.kd
    .uniform_work_group_size: 1
    .uses_dynamic_stack: false
    .vgpr_count:     0
    .vgpr_spill_count: 0
    .wavefront_size: 32
  - .args:
      - .offset:         0
        .size:           112
        .value_kind:     by_value
    .group_segment_fixed_size: 0
    .kernarg_segment_align: 8
    .kernarg_segment_size: 112
    .language:       OpenCL C
    .language_version:
      - 2
      - 0
    .max_flat_workgroup_size: 256
    .name:           _ZN7rocprim17ROCPRIM_400000_NS6detail17trampoline_kernelINS0_14default_configENS1_27scan_by_key_config_selectorIiiEEZZNS1_16scan_by_key_implILNS1_25lookback_scan_determinismE0ELb0ES3_N6thrust23THRUST_200600_302600_NS18transform_iteratorI9which_rowNS9_17counting_iteratorIiNS9_11use_defaultESD_SD_EESD_SD_EENS9_6detail15normal_iteratorINS9_10device_ptrIiEEEESK_iNS9_4plusIvEENS9_8equal_toIvEEiEE10hipError_tPvRmT2_T3_T4_T5_mT6_T7_P12ihipStream_tbENKUlT_T0_E_clISt17integral_constantIbLb0EES15_EEDaS10_S11_EUlS10_E_NS1_11comp_targetILNS1_3genE4ELNS1_11target_archE910ELNS1_3gpuE8ELNS1_3repE0EEENS1_30default_config_static_selectorELNS0_4arch9wavefront6targetE0EEEvT1_
    .private_segment_fixed_size: 0
    .sgpr_count:     0
    .sgpr_spill_count: 0
    .symbol:         _ZN7rocprim17ROCPRIM_400000_NS6detail17trampoline_kernelINS0_14default_configENS1_27scan_by_key_config_selectorIiiEEZZNS1_16scan_by_key_implILNS1_25lookback_scan_determinismE0ELb0ES3_N6thrust23THRUST_200600_302600_NS18transform_iteratorI9which_rowNS9_17counting_iteratorIiNS9_11use_defaultESD_SD_EESD_SD_EENS9_6detail15normal_iteratorINS9_10device_ptrIiEEEESK_iNS9_4plusIvEENS9_8equal_toIvEEiEE10hipError_tPvRmT2_T3_T4_T5_mT6_T7_P12ihipStream_tbENKUlT_T0_E_clISt17integral_constantIbLb0EES15_EEDaS10_S11_EUlS10_E_NS1_11comp_targetILNS1_3genE4ELNS1_11target_archE910ELNS1_3gpuE8ELNS1_3repE0EEENS1_30default_config_static_selectorELNS0_4arch9wavefront6targetE0EEEvT1_.kd
    .uniform_work_group_size: 1
    .uses_dynamic_stack: false
    .vgpr_count:     0
    .vgpr_spill_count: 0
    .wavefront_size: 32
  - .args:
      - .offset:         0
        .size:           112
        .value_kind:     by_value
    .group_segment_fixed_size: 0
    .kernarg_segment_align: 8
    .kernarg_segment_size: 112
    .language:       OpenCL C
    .language_version:
      - 2
      - 0
    .max_flat_workgroup_size: 256
    .name:           _ZN7rocprim17ROCPRIM_400000_NS6detail17trampoline_kernelINS0_14default_configENS1_27scan_by_key_config_selectorIiiEEZZNS1_16scan_by_key_implILNS1_25lookback_scan_determinismE0ELb0ES3_N6thrust23THRUST_200600_302600_NS18transform_iteratorI9which_rowNS9_17counting_iteratorIiNS9_11use_defaultESD_SD_EESD_SD_EENS9_6detail15normal_iteratorINS9_10device_ptrIiEEEESK_iNS9_4plusIvEENS9_8equal_toIvEEiEE10hipError_tPvRmT2_T3_T4_T5_mT6_T7_P12ihipStream_tbENKUlT_T0_E_clISt17integral_constantIbLb0EES15_EEDaS10_S11_EUlS10_E_NS1_11comp_targetILNS1_3genE3ELNS1_11target_archE908ELNS1_3gpuE7ELNS1_3repE0EEENS1_30default_config_static_selectorELNS0_4arch9wavefront6targetE0EEEvT1_
    .private_segment_fixed_size: 0
    .sgpr_count:     0
    .sgpr_spill_count: 0
    .symbol:         _ZN7rocprim17ROCPRIM_400000_NS6detail17trampoline_kernelINS0_14default_configENS1_27scan_by_key_config_selectorIiiEEZZNS1_16scan_by_key_implILNS1_25lookback_scan_determinismE0ELb0ES3_N6thrust23THRUST_200600_302600_NS18transform_iteratorI9which_rowNS9_17counting_iteratorIiNS9_11use_defaultESD_SD_EESD_SD_EENS9_6detail15normal_iteratorINS9_10device_ptrIiEEEESK_iNS9_4plusIvEENS9_8equal_toIvEEiEE10hipError_tPvRmT2_T3_T4_T5_mT6_T7_P12ihipStream_tbENKUlT_T0_E_clISt17integral_constantIbLb0EES15_EEDaS10_S11_EUlS10_E_NS1_11comp_targetILNS1_3genE3ELNS1_11target_archE908ELNS1_3gpuE7ELNS1_3repE0EEENS1_30default_config_static_selectorELNS0_4arch9wavefront6targetE0EEEvT1_.kd
    .uniform_work_group_size: 1
    .uses_dynamic_stack: false
    .vgpr_count:     0
    .vgpr_spill_count: 0
    .wavefront_size: 32
  - .args:
      - .offset:         0
        .size:           112
        .value_kind:     by_value
    .group_segment_fixed_size: 0
    .kernarg_segment_align: 8
    .kernarg_segment_size: 112
    .language:       OpenCL C
    .language_version:
      - 2
      - 0
    .max_flat_workgroup_size: 256
    .name:           _ZN7rocprim17ROCPRIM_400000_NS6detail17trampoline_kernelINS0_14default_configENS1_27scan_by_key_config_selectorIiiEEZZNS1_16scan_by_key_implILNS1_25lookback_scan_determinismE0ELb0ES3_N6thrust23THRUST_200600_302600_NS18transform_iteratorI9which_rowNS9_17counting_iteratorIiNS9_11use_defaultESD_SD_EESD_SD_EENS9_6detail15normal_iteratorINS9_10device_ptrIiEEEESK_iNS9_4plusIvEENS9_8equal_toIvEEiEE10hipError_tPvRmT2_T3_T4_T5_mT6_T7_P12ihipStream_tbENKUlT_T0_E_clISt17integral_constantIbLb0EES15_EEDaS10_S11_EUlS10_E_NS1_11comp_targetILNS1_3genE2ELNS1_11target_archE906ELNS1_3gpuE6ELNS1_3repE0EEENS1_30default_config_static_selectorELNS0_4arch9wavefront6targetE0EEEvT1_
    .private_segment_fixed_size: 0
    .sgpr_count:     0
    .sgpr_spill_count: 0
    .symbol:         _ZN7rocprim17ROCPRIM_400000_NS6detail17trampoline_kernelINS0_14default_configENS1_27scan_by_key_config_selectorIiiEEZZNS1_16scan_by_key_implILNS1_25lookback_scan_determinismE0ELb0ES3_N6thrust23THRUST_200600_302600_NS18transform_iteratorI9which_rowNS9_17counting_iteratorIiNS9_11use_defaultESD_SD_EESD_SD_EENS9_6detail15normal_iteratorINS9_10device_ptrIiEEEESK_iNS9_4plusIvEENS9_8equal_toIvEEiEE10hipError_tPvRmT2_T3_T4_T5_mT6_T7_P12ihipStream_tbENKUlT_T0_E_clISt17integral_constantIbLb0EES15_EEDaS10_S11_EUlS10_E_NS1_11comp_targetILNS1_3genE2ELNS1_11target_archE906ELNS1_3gpuE6ELNS1_3repE0EEENS1_30default_config_static_selectorELNS0_4arch9wavefront6targetE0EEEvT1_.kd
    .uniform_work_group_size: 1
    .uses_dynamic_stack: false
    .vgpr_count:     0
    .vgpr_spill_count: 0
    .wavefront_size: 32
  - .args:
      - .offset:         0
        .size:           112
        .value_kind:     by_value
    .group_segment_fixed_size: 0
    .kernarg_segment_align: 8
    .kernarg_segment_size: 112
    .language:       OpenCL C
    .language_version:
      - 2
      - 0
    .max_flat_workgroup_size: 256
    .name:           _ZN7rocprim17ROCPRIM_400000_NS6detail17trampoline_kernelINS0_14default_configENS1_27scan_by_key_config_selectorIiiEEZZNS1_16scan_by_key_implILNS1_25lookback_scan_determinismE0ELb0ES3_N6thrust23THRUST_200600_302600_NS18transform_iteratorI9which_rowNS9_17counting_iteratorIiNS9_11use_defaultESD_SD_EESD_SD_EENS9_6detail15normal_iteratorINS9_10device_ptrIiEEEESK_iNS9_4plusIvEENS9_8equal_toIvEEiEE10hipError_tPvRmT2_T3_T4_T5_mT6_T7_P12ihipStream_tbENKUlT_T0_E_clISt17integral_constantIbLb0EES15_EEDaS10_S11_EUlS10_E_NS1_11comp_targetILNS1_3genE10ELNS1_11target_archE1200ELNS1_3gpuE4ELNS1_3repE0EEENS1_30default_config_static_selectorELNS0_4arch9wavefront6targetE0EEEvT1_
    .private_segment_fixed_size: 0
    .sgpr_count:     0
    .sgpr_spill_count: 0
    .symbol:         _ZN7rocprim17ROCPRIM_400000_NS6detail17trampoline_kernelINS0_14default_configENS1_27scan_by_key_config_selectorIiiEEZZNS1_16scan_by_key_implILNS1_25lookback_scan_determinismE0ELb0ES3_N6thrust23THRUST_200600_302600_NS18transform_iteratorI9which_rowNS9_17counting_iteratorIiNS9_11use_defaultESD_SD_EESD_SD_EENS9_6detail15normal_iteratorINS9_10device_ptrIiEEEESK_iNS9_4plusIvEENS9_8equal_toIvEEiEE10hipError_tPvRmT2_T3_T4_T5_mT6_T7_P12ihipStream_tbENKUlT_T0_E_clISt17integral_constantIbLb0EES15_EEDaS10_S11_EUlS10_E_NS1_11comp_targetILNS1_3genE10ELNS1_11target_archE1200ELNS1_3gpuE4ELNS1_3repE0EEENS1_30default_config_static_selectorELNS0_4arch9wavefront6targetE0EEEvT1_.kd
    .uniform_work_group_size: 1
    .uses_dynamic_stack: false
    .vgpr_count:     0
    .vgpr_spill_count: 0
    .wavefront_size: 32
  - .args:
      - .offset:         0
        .size:           112
        .value_kind:     by_value
    .group_segment_fixed_size: 0
    .kernarg_segment_align: 8
    .kernarg_segment_size: 112
    .language:       OpenCL C
    .language_version:
      - 2
      - 0
    .max_flat_workgroup_size: 256
    .name:           _ZN7rocprim17ROCPRIM_400000_NS6detail17trampoline_kernelINS0_14default_configENS1_27scan_by_key_config_selectorIiiEEZZNS1_16scan_by_key_implILNS1_25lookback_scan_determinismE0ELb0ES3_N6thrust23THRUST_200600_302600_NS18transform_iteratorI9which_rowNS9_17counting_iteratorIiNS9_11use_defaultESD_SD_EESD_SD_EENS9_6detail15normal_iteratorINS9_10device_ptrIiEEEESK_iNS9_4plusIvEENS9_8equal_toIvEEiEE10hipError_tPvRmT2_T3_T4_T5_mT6_T7_P12ihipStream_tbENKUlT_T0_E_clISt17integral_constantIbLb0EES15_EEDaS10_S11_EUlS10_E_NS1_11comp_targetILNS1_3genE9ELNS1_11target_archE1100ELNS1_3gpuE3ELNS1_3repE0EEENS1_30default_config_static_selectorELNS0_4arch9wavefront6targetE0EEEvT1_
    .private_segment_fixed_size: 0
    .sgpr_count:     0
    .sgpr_spill_count: 0
    .symbol:         _ZN7rocprim17ROCPRIM_400000_NS6detail17trampoline_kernelINS0_14default_configENS1_27scan_by_key_config_selectorIiiEEZZNS1_16scan_by_key_implILNS1_25lookback_scan_determinismE0ELb0ES3_N6thrust23THRUST_200600_302600_NS18transform_iteratorI9which_rowNS9_17counting_iteratorIiNS9_11use_defaultESD_SD_EESD_SD_EENS9_6detail15normal_iteratorINS9_10device_ptrIiEEEESK_iNS9_4plusIvEENS9_8equal_toIvEEiEE10hipError_tPvRmT2_T3_T4_T5_mT6_T7_P12ihipStream_tbENKUlT_T0_E_clISt17integral_constantIbLb0EES15_EEDaS10_S11_EUlS10_E_NS1_11comp_targetILNS1_3genE9ELNS1_11target_archE1100ELNS1_3gpuE3ELNS1_3repE0EEENS1_30default_config_static_selectorELNS0_4arch9wavefront6targetE0EEEvT1_.kd
    .uniform_work_group_size: 1
    .uses_dynamic_stack: false
    .vgpr_count:     0
    .vgpr_spill_count: 0
    .wavefront_size: 32
  - .args:
      - .offset:         0
        .size:           112
        .value_kind:     by_value
    .group_segment_fixed_size: 0
    .kernarg_segment_align: 8
    .kernarg_segment_size: 112
    .language:       OpenCL C
    .language_version:
      - 2
      - 0
    .max_flat_workgroup_size: 256
    .name:           _ZN7rocprim17ROCPRIM_400000_NS6detail17trampoline_kernelINS0_14default_configENS1_27scan_by_key_config_selectorIiiEEZZNS1_16scan_by_key_implILNS1_25lookback_scan_determinismE0ELb0ES3_N6thrust23THRUST_200600_302600_NS18transform_iteratorI9which_rowNS9_17counting_iteratorIiNS9_11use_defaultESD_SD_EESD_SD_EENS9_6detail15normal_iteratorINS9_10device_ptrIiEEEESK_iNS9_4plusIvEENS9_8equal_toIvEEiEE10hipError_tPvRmT2_T3_T4_T5_mT6_T7_P12ihipStream_tbENKUlT_T0_E_clISt17integral_constantIbLb0EES15_EEDaS10_S11_EUlS10_E_NS1_11comp_targetILNS1_3genE8ELNS1_11target_archE1030ELNS1_3gpuE2ELNS1_3repE0EEENS1_30default_config_static_selectorELNS0_4arch9wavefront6targetE0EEEvT1_
    .private_segment_fixed_size: 0
    .sgpr_count:     0
    .sgpr_spill_count: 0
    .symbol:         _ZN7rocprim17ROCPRIM_400000_NS6detail17trampoline_kernelINS0_14default_configENS1_27scan_by_key_config_selectorIiiEEZZNS1_16scan_by_key_implILNS1_25lookback_scan_determinismE0ELb0ES3_N6thrust23THRUST_200600_302600_NS18transform_iteratorI9which_rowNS9_17counting_iteratorIiNS9_11use_defaultESD_SD_EESD_SD_EENS9_6detail15normal_iteratorINS9_10device_ptrIiEEEESK_iNS9_4plusIvEENS9_8equal_toIvEEiEE10hipError_tPvRmT2_T3_T4_T5_mT6_T7_P12ihipStream_tbENKUlT_T0_E_clISt17integral_constantIbLb0EES15_EEDaS10_S11_EUlS10_E_NS1_11comp_targetILNS1_3genE8ELNS1_11target_archE1030ELNS1_3gpuE2ELNS1_3repE0EEENS1_30default_config_static_selectorELNS0_4arch9wavefront6targetE0EEEvT1_.kd
    .uniform_work_group_size: 1
    .uses_dynamic_stack: false
    .vgpr_count:     0
    .vgpr_spill_count: 0
    .wavefront_size: 32
  - .args:
      - .address_space:  global
        .offset:         0
        .size:           8
        .value_kind:     global_buffer
      - .offset:         8
        .size:           4
        .value_kind:     by_value
      - .offset:         12
        .size:           4
        .value_kind:     by_value
      - .address_space:  global
        .offset:         16
        .size:           8
        .value_kind:     global_buffer
      - .offset:         24
        .size:           8
        .value_kind:     by_value
      - .actual_access:  write_only
        .address_space:  global
        .offset:         32
        .size:           8
        .value_kind:     global_buffer
      - .offset:         40
        .size:           8
        .value_kind:     by_value
      - .offset:         48
        .size:           4
        .value_kind:     by_value
      - .address_space:  global
        .offset:         56
        .size:           8
        .value_kind:     global_buffer
      - .offset:         64
        .size:           4
        .value_kind:     hidden_block_count_x
      - .offset:         68
        .size:           4
        .value_kind:     hidden_block_count_y
      - .offset:         72
        .size:           4
        .value_kind:     hidden_block_count_z
      - .offset:         76
        .size:           2
        .value_kind:     hidden_group_size_x
      - .offset:         78
        .size:           2
        .value_kind:     hidden_group_size_y
      - .offset:         80
        .size:           2
        .value_kind:     hidden_group_size_z
      - .offset:         82
        .size:           2
        .value_kind:     hidden_remainder_x
      - .offset:         84
        .size:           2
        .value_kind:     hidden_remainder_y
      - .offset:         86
        .size:           2
        .value_kind:     hidden_remainder_z
      - .offset:         104
        .size:           8
        .value_kind:     hidden_global_offset_x
      - .offset:         112
        .size:           8
        .value_kind:     hidden_global_offset_y
      - .offset:         120
        .size:           8
        .value_kind:     hidden_global_offset_z
      - .offset:         128
        .size:           2
        .value_kind:     hidden_grid_dims
    .group_segment_fixed_size: 0
    .kernarg_segment_align: 8
    .kernarg_segment_size: 320
    .language:       OpenCL C
    .language_version:
      - 2
      - 0
    .max_flat_workgroup_size: 256
    .name:           _ZN7rocprim17ROCPRIM_400000_NS6detail30init_device_scan_by_key_kernelINS1_19lookback_scan_stateINS0_5tupleIJibEEELb1ELb1EEEN6thrust23THRUST_200600_302600_NS18transform_iteratorI9which_rowNS8_17counting_iteratorIiNS8_11use_defaultESC_SC_EESC_SC_EEjNS1_16block_id_wrapperIjLb1EEEEEvT_jjPNSH_10value_typeET0_PNSt15iterator_traitsISK_E10value_typeEmT1_T2_
    .private_segment_fixed_size: 0
    .sgpr_count:     19
    .sgpr_spill_count: 0
    .symbol:         _ZN7rocprim17ROCPRIM_400000_NS6detail30init_device_scan_by_key_kernelINS1_19lookback_scan_stateINS0_5tupleIJibEEELb1ELb1EEEN6thrust23THRUST_200600_302600_NS18transform_iteratorI9which_rowNS8_17counting_iteratorIiNS8_11use_defaultESC_SC_EESC_SC_EEjNS1_16block_id_wrapperIjLb1EEEEEvT_jjPNSH_10value_typeET0_PNSt15iterator_traitsISK_E10value_typeEmT1_T2_.kd
    .uniform_work_group_size: 1
    .uses_dynamic_stack: false
    .vgpr_count:     10
    .vgpr_spill_count: 0
    .wavefront_size: 32
  - .args:
      - .address_space:  global
        .offset:         0
        .size:           8
        .value_kind:     global_buffer
      - .offset:         8
        .size:           4
        .value_kind:     by_value
      - .offset:         12
        .size:           4
        .value_kind:     by_value
      - .address_space:  global
        .offset:         16
        .size:           8
        .value_kind:     global_buffer
      - .address_space:  global
        .offset:         24
        .size:           8
        .value_kind:     global_buffer
      - .offset:         32
        .size:           4
        .value_kind:     hidden_block_count_x
      - .offset:         36
        .size:           4
        .value_kind:     hidden_block_count_y
      - .offset:         40
        .size:           4
        .value_kind:     hidden_block_count_z
      - .offset:         44
        .size:           2
        .value_kind:     hidden_group_size_x
      - .offset:         46
        .size:           2
        .value_kind:     hidden_group_size_y
      - .offset:         48
        .size:           2
        .value_kind:     hidden_group_size_z
      - .offset:         50
        .size:           2
        .value_kind:     hidden_remainder_x
      - .offset:         52
        .size:           2
        .value_kind:     hidden_remainder_y
      - .offset:         54
        .size:           2
        .value_kind:     hidden_remainder_z
      - .offset:         72
        .size:           8
        .value_kind:     hidden_global_offset_x
      - .offset:         80
        .size:           8
        .value_kind:     hidden_global_offset_y
      - .offset:         88
        .size:           8
        .value_kind:     hidden_global_offset_z
      - .offset:         96
        .size:           2
        .value_kind:     hidden_grid_dims
    .group_segment_fixed_size: 0
    .kernarg_segment_align: 8
    .kernarg_segment_size: 288
    .language:       OpenCL C
    .language_version:
      - 2
      - 0
    .max_flat_workgroup_size: 256
    .name:           _ZN7rocprim17ROCPRIM_400000_NS6detail30init_device_scan_by_key_kernelINS1_19lookback_scan_stateINS0_5tupleIJibEEELb1ELb1EEENS1_16block_id_wrapperIjLb1EEEEEvT_jjPNS9_10value_typeET0_
    .private_segment_fixed_size: 0
    .sgpr_count:     15
    .sgpr_spill_count: 0
    .symbol:         _ZN7rocprim17ROCPRIM_400000_NS6detail30init_device_scan_by_key_kernelINS1_19lookback_scan_stateINS0_5tupleIJibEEELb1ELb1EEENS1_16block_id_wrapperIjLb1EEEEEvT_jjPNS9_10value_typeET0_.kd
    .uniform_work_group_size: 1
    .uses_dynamic_stack: false
    .vgpr_count:     9
    .vgpr_spill_count: 0
    .wavefront_size: 32
  - .args:
      - .offset:         0
        .size:           112
        .value_kind:     by_value
    .group_segment_fixed_size: 0
    .kernarg_segment_align: 8
    .kernarg_segment_size: 112
    .language:       OpenCL C
    .language_version:
      - 2
      - 0
    .max_flat_workgroup_size: 256
    .name:           _ZN7rocprim17ROCPRIM_400000_NS6detail17trampoline_kernelINS0_14default_configENS1_27scan_by_key_config_selectorIiiEEZZNS1_16scan_by_key_implILNS1_25lookback_scan_determinismE0ELb0ES3_N6thrust23THRUST_200600_302600_NS18transform_iteratorI9which_rowNS9_17counting_iteratorIiNS9_11use_defaultESD_SD_EESD_SD_EENS9_6detail15normal_iteratorINS9_10device_ptrIiEEEESK_iNS9_4plusIvEENS9_8equal_toIvEEiEE10hipError_tPvRmT2_T3_T4_T5_mT6_T7_P12ihipStream_tbENKUlT_T0_E_clISt17integral_constantIbLb1EES15_EEDaS10_S11_EUlS10_E_NS1_11comp_targetILNS1_3genE0ELNS1_11target_archE4294967295ELNS1_3gpuE0ELNS1_3repE0EEENS1_30default_config_static_selectorELNS0_4arch9wavefront6targetE0EEEvT1_
    .private_segment_fixed_size: 0
    .sgpr_count:     0
    .sgpr_spill_count: 0
    .symbol:         _ZN7rocprim17ROCPRIM_400000_NS6detail17trampoline_kernelINS0_14default_configENS1_27scan_by_key_config_selectorIiiEEZZNS1_16scan_by_key_implILNS1_25lookback_scan_determinismE0ELb0ES3_N6thrust23THRUST_200600_302600_NS18transform_iteratorI9which_rowNS9_17counting_iteratorIiNS9_11use_defaultESD_SD_EESD_SD_EENS9_6detail15normal_iteratorINS9_10device_ptrIiEEEESK_iNS9_4plusIvEENS9_8equal_toIvEEiEE10hipError_tPvRmT2_T3_T4_T5_mT6_T7_P12ihipStream_tbENKUlT_T0_E_clISt17integral_constantIbLb1EES15_EEDaS10_S11_EUlS10_E_NS1_11comp_targetILNS1_3genE0ELNS1_11target_archE4294967295ELNS1_3gpuE0ELNS1_3repE0EEENS1_30default_config_static_selectorELNS0_4arch9wavefront6targetE0EEEvT1_.kd
    .uniform_work_group_size: 1
    .uses_dynamic_stack: false
    .vgpr_count:     0
    .vgpr_spill_count: 0
    .wavefront_size: 32
  - .args:
      - .offset:         0
        .size:           112
        .value_kind:     by_value
    .group_segment_fixed_size: 0
    .kernarg_segment_align: 8
    .kernarg_segment_size: 112
    .language:       OpenCL C
    .language_version:
      - 2
      - 0
    .max_flat_workgroup_size: 256
    .name:           _ZN7rocprim17ROCPRIM_400000_NS6detail17trampoline_kernelINS0_14default_configENS1_27scan_by_key_config_selectorIiiEEZZNS1_16scan_by_key_implILNS1_25lookback_scan_determinismE0ELb0ES3_N6thrust23THRUST_200600_302600_NS18transform_iteratorI9which_rowNS9_17counting_iteratorIiNS9_11use_defaultESD_SD_EESD_SD_EENS9_6detail15normal_iteratorINS9_10device_ptrIiEEEESK_iNS9_4plusIvEENS9_8equal_toIvEEiEE10hipError_tPvRmT2_T3_T4_T5_mT6_T7_P12ihipStream_tbENKUlT_T0_E_clISt17integral_constantIbLb1EES15_EEDaS10_S11_EUlS10_E_NS1_11comp_targetILNS1_3genE10ELNS1_11target_archE1201ELNS1_3gpuE5ELNS1_3repE0EEENS1_30default_config_static_selectorELNS0_4arch9wavefront6targetE0EEEvT1_
    .private_segment_fixed_size: 0
    .sgpr_count:     0
    .sgpr_spill_count: 0
    .symbol:         _ZN7rocprim17ROCPRIM_400000_NS6detail17trampoline_kernelINS0_14default_configENS1_27scan_by_key_config_selectorIiiEEZZNS1_16scan_by_key_implILNS1_25lookback_scan_determinismE0ELb0ES3_N6thrust23THRUST_200600_302600_NS18transform_iteratorI9which_rowNS9_17counting_iteratorIiNS9_11use_defaultESD_SD_EESD_SD_EENS9_6detail15normal_iteratorINS9_10device_ptrIiEEEESK_iNS9_4plusIvEENS9_8equal_toIvEEiEE10hipError_tPvRmT2_T3_T4_T5_mT6_T7_P12ihipStream_tbENKUlT_T0_E_clISt17integral_constantIbLb1EES15_EEDaS10_S11_EUlS10_E_NS1_11comp_targetILNS1_3genE10ELNS1_11target_archE1201ELNS1_3gpuE5ELNS1_3repE0EEENS1_30default_config_static_selectorELNS0_4arch9wavefront6targetE0EEEvT1_.kd
    .uniform_work_group_size: 1
    .uses_dynamic_stack: false
    .vgpr_count:     0
    .vgpr_spill_count: 0
    .wavefront_size: 32
  - .args:
      - .offset:         0
        .size:           112
        .value_kind:     by_value
    .group_segment_fixed_size: 0
    .kernarg_segment_align: 8
    .kernarg_segment_size: 112
    .language:       OpenCL C
    .language_version:
      - 2
      - 0
    .max_flat_workgroup_size: 256
    .name:           _ZN7rocprim17ROCPRIM_400000_NS6detail17trampoline_kernelINS0_14default_configENS1_27scan_by_key_config_selectorIiiEEZZNS1_16scan_by_key_implILNS1_25lookback_scan_determinismE0ELb0ES3_N6thrust23THRUST_200600_302600_NS18transform_iteratorI9which_rowNS9_17counting_iteratorIiNS9_11use_defaultESD_SD_EESD_SD_EENS9_6detail15normal_iteratorINS9_10device_ptrIiEEEESK_iNS9_4plusIvEENS9_8equal_toIvEEiEE10hipError_tPvRmT2_T3_T4_T5_mT6_T7_P12ihipStream_tbENKUlT_T0_E_clISt17integral_constantIbLb1EES15_EEDaS10_S11_EUlS10_E_NS1_11comp_targetILNS1_3genE5ELNS1_11target_archE942ELNS1_3gpuE9ELNS1_3repE0EEENS1_30default_config_static_selectorELNS0_4arch9wavefront6targetE0EEEvT1_
    .private_segment_fixed_size: 0
    .sgpr_count:     0
    .sgpr_spill_count: 0
    .symbol:         _ZN7rocprim17ROCPRIM_400000_NS6detail17trampoline_kernelINS0_14default_configENS1_27scan_by_key_config_selectorIiiEEZZNS1_16scan_by_key_implILNS1_25lookback_scan_determinismE0ELb0ES3_N6thrust23THRUST_200600_302600_NS18transform_iteratorI9which_rowNS9_17counting_iteratorIiNS9_11use_defaultESD_SD_EESD_SD_EENS9_6detail15normal_iteratorINS9_10device_ptrIiEEEESK_iNS9_4plusIvEENS9_8equal_toIvEEiEE10hipError_tPvRmT2_T3_T4_T5_mT6_T7_P12ihipStream_tbENKUlT_T0_E_clISt17integral_constantIbLb1EES15_EEDaS10_S11_EUlS10_E_NS1_11comp_targetILNS1_3genE5ELNS1_11target_archE942ELNS1_3gpuE9ELNS1_3repE0EEENS1_30default_config_static_selectorELNS0_4arch9wavefront6targetE0EEEvT1_.kd
    .uniform_work_group_size: 1
    .uses_dynamic_stack: false
    .vgpr_count:     0
    .vgpr_spill_count: 0
    .wavefront_size: 32
  - .args:
      - .offset:         0
        .size:           112
        .value_kind:     by_value
    .group_segment_fixed_size: 0
    .kernarg_segment_align: 8
    .kernarg_segment_size: 112
    .language:       OpenCL C
    .language_version:
      - 2
      - 0
    .max_flat_workgroup_size: 256
    .name:           _ZN7rocprim17ROCPRIM_400000_NS6detail17trampoline_kernelINS0_14default_configENS1_27scan_by_key_config_selectorIiiEEZZNS1_16scan_by_key_implILNS1_25lookback_scan_determinismE0ELb0ES3_N6thrust23THRUST_200600_302600_NS18transform_iteratorI9which_rowNS9_17counting_iteratorIiNS9_11use_defaultESD_SD_EESD_SD_EENS9_6detail15normal_iteratorINS9_10device_ptrIiEEEESK_iNS9_4plusIvEENS9_8equal_toIvEEiEE10hipError_tPvRmT2_T3_T4_T5_mT6_T7_P12ihipStream_tbENKUlT_T0_E_clISt17integral_constantIbLb1EES15_EEDaS10_S11_EUlS10_E_NS1_11comp_targetILNS1_3genE4ELNS1_11target_archE910ELNS1_3gpuE8ELNS1_3repE0EEENS1_30default_config_static_selectorELNS0_4arch9wavefront6targetE0EEEvT1_
    .private_segment_fixed_size: 0
    .sgpr_count:     0
    .sgpr_spill_count: 0
    .symbol:         _ZN7rocprim17ROCPRIM_400000_NS6detail17trampoline_kernelINS0_14default_configENS1_27scan_by_key_config_selectorIiiEEZZNS1_16scan_by_key_implILNS1_25lookback_scan_determinismE0ELb0ES3_N6thrust23THRUST_200600_302600_NS18transform_iteratorI9which_rowNS9_17counting_iteratorIiNS9_11use_defaultESD_SD_EESD_SD_EENS9_6detail15normal_iteratorINS9_10device_ptrIiEEEESK_iNS9_4plusIvEENS9_8equal_toIvEEiEE10hipError_tPvRmT2_T3_T4_T5_mT6_T7_P12ihipStream_tbENKUlT_T0_E_clISt17integral_constantIbLb1EES15_EEDaS10_S11_EUlS10_E_NS1_11comp_targetILNS1_3genE4ELNS1_11target_archE910ELNS1_3gpuE8ELNS1_3repE0EEENS1_30default_config_static_selectorELNS0_4arch9wavefront6targetE0EEEvT1_.kd
    .uniform_work_group_size: 1
    .uses_dynamic_stack: false
    .vgpr_count:     0
    .vgpr_spill_count: 0
    .wavefront_size: 32
  - .args:
      - .offset:         0
        .size:           112
        .value_kind:     by_value
    .group_segment_fixed_size: 0
    .kernarg_segment_align: 8
    .kernarg_segment_size: 112
    .language:       OpenCL C
    .language_version:
      - 2
      - 0
    .max_flat_workgroup_size: 256
    .name:           _ZN7rocprim17ROCPRIM_400000_NS6detail17trampoline_kernelINS0_14default_configENS1_27scan_by_key_config_selectorIiiEEZZNS1_16scan_by_key_implILNS1_25lookback_scan_determinismE0ELb0ES3_N6thrust23THRUST_200600_302600_NS18transform_iteratorI9which_rowNS9_17counting_iteratorIiNS9_11use_defaultESD_SD_EESD_SD_EENS9_6detail15normal_iteratorINS9_10device_ptrIiEEEESK_iNS9_4plusIvEENS9_8equal_toIvEEiEE10hipError_tPvRmT2_T3_T4_T5_mT6_T7_P12ihipStream_tbENKUlT_T0_E_clISt17integral_constantIbLb1EES15_EEDaS10_S11_EUlS10_E_NS1_11comp_targetILNS1_3genE3ELNS1_11target_archE908ELNS1_3gpuE7ELNS1_3repE0EEENS1_30default_config_static_selectorELNS0_4arch9wavefront6targetE0EEEvT1_
    .private_segment_fixed_size: 0
    .sgpr_count:     0
    .sgpr_spill_count: 0
    .symbol:         _ZN7rocprim17ROCPRIM_400000_NS6detail17trampoline_kernelINS0_14default_configENS1_27scan_by_key_config_selectorIiiEEZZNS1_16scan_by_key_implILNS1_25lookback_scan_determinismE0ELb0ES3_N6thrust23THRUST_200600_302600_NS18transform_iteratorI9which_rowNS9_17counting_iteratorIiNS9_11use_defaultESD_SD_EESD_SD_EENS9_6detail15normal_iteratorINS9_10device_ptrIiEEEESK_iNS9_4plusIvEENS9_8equal_toIvEEiEE10hipError_tPvRmT2_T3_T4_T5_mT6_T7_P12ihipStream_tbENKUlT_T0_E_clISt17integral_constantIbLb1EES15_EEDaS10_S11_EUlS10_E_NS1_11comp_targetILNS1_3genE3ELNS1_11target_archE908ELNS1_3gpuE7ELNS1_3repE0EEENS1_30default_config_static_selectorELNS0_4arch9wavefront6targetE0EEEvT1_.kd
    .uniform_work_group_size: 1
    .uses_dynamic_stack: false
    .vgpr_count:     0
    .vgpr_spill_count: 0
    .wavefront_size: 32
  - .args:
      - .offset:         0
        .size:           112
        .value_kind:     by_value
    .group_segment_fixed_size: 0
    .kernarg_segment_align: 8
    .kernarg_segment_size: 112
    .language:       OpenCL C
    .language_version:
      - 2
      - 0
    .max_flat_workgroup_size: 256
    .name:           _ZN7rocprim17ROCPRIM_400000_NS6detail17trampoline_kernelINS0_14default_configENS1_27scan_by_key_config_selectorIiiEEZZNS1_16scan_by_key_implILNS1_25lookback_scan_determinismE0ELb0ES3_N6thrust23THRUST_200600_302600_NS18transform_iteratorI9which_rowNS9_17counting_iteratorIiNS9_11use_defaultESD_SD_EESD_SD_EENS9_6detail15normal_iteratorINS9_10device_ptrIiEEEESK_iNS9_4plusIvEENS9_8equal_toIvEEiEE10hipError_tPvRmT2_T3_T4_T5_mT6_T7_P12ihipStream_tbENKUlT_T0_E_clISt17integral_constantIbLb1EES15_EEDaS10_S11_EUlS10_E_NS1_11comp_targetILNS1_3genE2ELNS1_11target_archE906ELNS1_3gpuE6ELNS1_3repE0EEENS1_30default_config_static_selectorELNS0_4arch9wavefront6targetE0EEEvT1_
    .private_segment_fixed_size: 0
    .sgpr_count:     0
    .sgpr_spill_count: 0
    .symbol:         _ZN7rocprim17ROCPRIM_400000_NS6detail17trampoline_kernelINS0_14default_configENS1_27scan_by_key_config_selectorIiiEEZZNS1_16scan_by_key_implILNS1_25lookback_scan_determinismE0ELb0ES3_N6thrust23THRUST_200600_302600_NS18transform_iteratorI9which_rowNS9_17counting_iteratorIiNS9_11use_defaultESD_SD_EESD_SD_EENS9_6detail15normal_iteratorINS9_10device_ptrIiEEEESK_iNS9_4plusIvEENS9_8equal_toIvEEiEE10hipError_tPvRmT2_T3_T4_T5_mT6_T7_P12ihipStream_tbENKUlT_T0_E_clISt17integral_constantIbLb1EES15_EEDaS10_S11_EUlS10_E_NS1_11comp_targetILNS1_3genE2ELNS1_11target_archE906ELNS1_3gpuE6ELNS1_3repE0EEENS1_30default_config_static_selectorELNS0_4arch9wavefront6targetE0EEEvT1_.kd
    .uniform_work_group_size: 1
    .uses_dynamic_stack: false
    .vgpr_count:     0
    .vgpr_spill_count: 0
    .wavefront_size: 32
  - .args:
      - .offset:         0
        .size:           112
        .value_kind:     by_value
    .group_segment_fixed_size: 0
    .kernarg_segment_align: 8
    .kernarg_segment_size: 112
    .language:       OpenCL C
    .language_version:
      - 2
      - 0
    .max_flat_workgroup_size: 256
    .name:           _ZN7rocprim17ROCPRIM_400000_NS6detail17trampoline_kernelINS0_14default_configENS1_27scan_by_key_config_selectorIiiEEZZNS1_16scan_by_key_implILNS1_25lookback_scan_determinismE0ELb0ES3_N6thrust23THRUST_200600_302600_NS18transform_iteratorI9which_rowNS9_17counting_iteratorIiNS9_11use_defaultESD_SD_EESD_SD_EENS9_6detail15normal_iteratorINS9_10device_ptrIiEEEESK_iNS9_4plusIvEENS9_8equal_toIvEEiEE10hipError_tPvRmT2_T3_T4_T5_mT6_T7_P12ihipStream_tbENKUlT_T0_E_clISt17integral_constantIbLb1EES15_EEDaS10_S11_EUlS10_E_NS1_11comp_targetILNS1_3genE10ELNS1_11target_archE1200ELNS1_3gpuE4ELNS1_3repE0EEENS1_30default_config_static_selectorELNS0_4arch9wavefront6targetE0EEEvT1_
    .private_segment_fixed_size: 0
    .sgpr_count:     0
    .sgpr_spill_count: 0
    .symbol:         _ZN7rocprim17ROCPRIM_400000_NS6detail17trampoline_kernelINS0_14default_configENS1_27scan_by_key_config_selectorIiiEEZZNS1_16scan_by_key_implILNS1_25lookback_scan_determinismE0ELb0ES3_N6thrust23THRUST_200600_302600_NS18transform_iteratorI9which_rowNS9_17counting_iteratorIiNS9_11use_defaultESD_SD_EESD_SD_EENS9_6detail15normal_iteratorINS9_10device_ptrIiEEEESK_iNS9_4plusIvEENS9_8equal_toIvEEiEE10hipError_tPvRmT2_T3_T4_T5_mT6_T7_P12ihipStream_tbENKUlT_T0_E_clISt17integral_constantIbLb1EES15_EEDaS10_S11_EUlS10_E_NS1_11comp_targetILNS1_3genE10ELNS1_11target_archE1200ELNS1_3gpuE4ELNS1_3repE0EEENS1_30default_config_static_selectorELNS0_4arch9wavefront6targetE0EEEvT1_.kd
    .uniform_work_group_size: 1
    .uses_dynamic_stack: false
    .vgpr_count:     0
    .vgpr_spill_count: 0
    .wavefront_size: 32
  - .args:
      - .offset:         0
        .size:           112
        .value_kind:     by_value
    .group_segment_fixed_size: 0
    .kernarg_segment_align: 8
    .kernarg_segment_size: 112
    .language:       OpenCL C
    .language_version:
      - 2
      - 0
    .max_flat_workgroup_size: 256
    .name:           _ZN7rocprim17ROCPRIM_400000_NS6detail17trampoline_kernelINS0_14default_configENS1_27scan_by_key_config_selectorIiiEEZZNS1_16scan_by_key_implILNS1_25lookback_scan_determinismE0ELb0ES3_N6thrust23THRUST_200600_302600_NS18transform_iteratorI9which_rowNS9_17counting_iteratorIiNS9_11use_defaultESD_SD_EESD_SD_EENS9_6detail15normal_iteratorINS9_10device_ptrIiEEEESK_iNS9_4plusIvEENS9_8equal_toIvEEiEE10hipError_tPvRmT2_T3_T4_T5_mT6_T7_P12ihipStream_tbENKUlT_T0_E_clISt17integral_constantIbLb1EES15_EEDaS10_S11_EUlS10_E_NS1_11comp_targetILNS1_3genE9ELNS1_11target_archE1100ELNS1_3gpuE3ELNS1_3repE0EEENS1_30default_config_static_selectorELNS0_4arch9wavefront6targetE0EEEvT1_
    .private_segment_fixed_size: 0
    .sgpr_count:     0
    .sgpr_spill_count: 0
    .symbol:         _ZN7rocprim17ROCPRIM_400000_NS6detail17trampoline_kernelINS0_14default_configENS1_27scan_by_key_config_selectorIiiEEZZNS1_16scan_by_key_implILNS1_25lookback_scan_determinismE0ELb0ES3_N6thrust23THRUST_200600_302600_NS18transform_iteratorI9which_rowNS9_17counting_iteratorIiNS9_11use_defaultESD_SD_EESD_SD_EENS9_6detail15normal_iteratorINS9_10device_ptrIiEEEESK_iNS9_4plusIvEENS9_8equal_toIvEEiEE10hipError_tPvRmT2_T3_T4_T5_mT6_T7_P12ihipStream_tbENKUlT_T0_E_clISt17integral_constantIbLb1EES15_EEDaS10_S11_EUlS10_E_NS1_11comp_targetILNS1_3genE9ELNS1_11target_archE1100ELNS1_3gpuE3ELNS1_3repE0EEENS1_30default_config_static_selectorELNS0_4arch9wavefront6targetE0EEEvT1_.kd
    .uniform_work_group_size: 1
    .uses_dynamic_stack: false
    .vgpr_count:     0
    .vgpr_spill_count: 0
    .wavefront_size: 32
  - .args:
      - .offset:         0
        .size:           112
        .value_kind:     by_value
    .group_segment_fixed_size: 0
    .kernarg_segment_align: 8
    .kernarg_segment_size: 112
    .language:       OpenCL C
    .language_version:
      - 2
      - 0
    .max_flat_workgroup_size: 256
    .name:           _ZN7rocprim17ROCPRIM_400000_NS6detail17trampoline_kernelINS0_14default_configENS1_27scan_by_key_config_selectorIiiEEZZNS1_16scan_by_key_implILNS1_25lookback_scan_determinismE0ELb0ES3_N6thrust23THRUST_200600_302600_NS18transform_iteratorI9which_rowNS9_17counting_iteratorIiNS9_11use_defaultESD_SD_EESD_SD_EENS9_6detail15normal_iteratorINS9_10device_ptrIiEEEESK_iNS9_4plusIvEENS9_8equal_toIvEEiEE10hipError_tPvRmT2_T3_T4_T5_mT6_T7_P12ihipStream_tbENKUlT_T0_E_clISt17integral_constantIbLb1EES15_EEDaS10_S11_EUlS10_E_NS1_11comp_targetILNS1_3genE8ELNS1_11target_archE1030ELNS1_3gpuE2ELNS1_3repE0EEENS1_30default_config_static_selectorELNS0_4arch9wavefront6targetE0EEEvT1_
    .private_segment_fixed_size: 0
    .sgpr_count:     0
    .sgpr_spill_count: 0
    .symbol:         _ZN7rocprim17ROCPRIM_400000_NS6detail17trampoline_kernelINS0_14default_configENS1_27scan_by_key_config_selectorIiiEEZZNS1_16scan_by_key_implILNS1_25lookback_scan_determinismE0ELb0ES3_N6thrust23THRUST_200600_302600_NS18transform_iteratorI9which_rowNS9_17counting_iteratorIiNS9_11use_defaultESD_SD_EESD_SD_EENS9_6detail15normal_iteratorINS9_10device_ptrIiEEEESK_iNS9_4plusIvEENS9_8equal_toIvEEiEE10hipError_tPvRmT2_T3_T4_T5_mT6_T7_P12ihipStream_tbENKUlT_T0_E_clISt17integral_constantIbLb1EES15_EEDaS10_S11_EUlS10_E_NS1_11comp_targetILNS1_3genE8ELNS1_11target_archE1030ELNS1_3gpuE2ELNS1_3repE0EEENS1_30default_config_static_selectorELNS0_4arch9wavefront6targetE0EEEvT1_.kd
    .uniform_work_group_size: 1
    .uses_dynamic_stack: false
    .vgpr_count:     0
    .vgpr_spill_count: 0
    .wavefront_size: 32
  - .args:
      - .address_space:  global
        .offset:         0
        .size:           8
        .value_kind:     global_buffer
      - .offset:         8
        .size:           4
        .value_kind:     by_value
      - .offset:         12
        .size:           4
        .value_kind:     by_value
      - .address_space:  global
        .offset:         16
        .size:           8
        .value_kind:     global_buffer
      - .offset:         24
        .size:           8
        .value_kind:     by_value
      - .actual_access:  write_only
        .address_space:  global
        .offset:         32
        .size:           8
        .value_kind:     global_buffer
      - .offset:         40
        .size:           8
        .value_kind:     by_value
      - .offset:         48
        .size:           4
        .value_kind:     by_value
      - .offset:         52
        .size:           1
        .value_kind:     by_value
      - .offset:         56
        .size:           4
        .value_kind:     hidden_block_count_x
      - .offset:         60
        .size:           4
        .value_kind:     hidden_block_count_y
      - .offset:         64
        .size:           4
        .value_kind:     hidden_block_count_z
      - .offset:         68
        .size:           2
        .value_kind:     hidden_group_size_x
      - .offset:         70
        .size:           2
        .value_kind:     hidden_group_size_y
      - .offset:         72
        .size:           2
        .value_kind:     hidden_group_size_z
      - .offset:         74
        .size:           2
        .value_kind:     hidden_remainder_x
      - .offset:         76
        .size:           2
        .value_kind:     hidden_remainder_y
      - .offset:         78
        .size:           2
        .value_kind:     hidden_remainder_z
      - .offset:         96
        .size:           8
        .value_kind:     hidden_global_offset_x
      - .offset:         104
        .size:           8
        .value_kind:     hidden_global_offset_y
      - .offset:         112
        .size:           8
        .value_kind:     hidden_global_offset_z
      - .offset:         120
        .size:           2
        .value_kind:     hidden_grid_dims
    .group_segment_fixed_size: 0
    .kernarg_segment_align: 8
    .kernarg_segment_size: 312
    .language:       OpenCL C
    .language_version:
      - 2
      - 0
    .max_flat_workgroup_size: 256
    .name:           _ZN7rocprim17ROCPRIM_400000_NS6detail30init_device_scan_by_key_kernelINS1_19lookback_scan_stateINS0_5tupleIJibEEELb1ELb1EEEN6thrust23THRUST_200600_302600_NS18transform_iteratorI9which_rowNS8_17counting_iteratorIiNS8_11use_defaultESC_SC_EESC_SC_EEjNS1_16block_id_wrapperIjLb0EEEEEvT_jjPNSH_10value_typeET0_PNSt15iterator_traitsISK_E10value_typeEmT1_T2_
    .private_segment_fixed_size: 0
    .sgpr_count:     19
    .sgpr_spill_count: 0
    .symbol:         _ZN7rocprim17ROCPRIM_400000_NS6detail30init_device_scan_by_key_kernelINS1_19lookback_scan_stateINS0_5tupleIJibEEELb1ELb1EEEN6thrust23THRUST_200600_302600_NS18transform_iteratorI9which_rowNS8_17counting_iteratorIiNS8_11use_defaultESC_SC_EESC_SC_EEjNS1_16block_id_wrapperIjLb0EEEEEvT_jjPNSH_10value_typeET0_PNSt15iterator_traitsISK_E10value_typeEmT1_T2_.kd
    .uniform_work_group_size: 1
    .uses_dynamic_stack: false
    .vgpr_count:     10
    .vgpr_spill_count: 0
    .wavefront_size: 32
  - .args:
      - .address_space:  global
        .offset:         0
        .size:           8
        .value_kind:     global_buffer
      - .offset:         8
        .size:           4
        .value_kind:     by_value
      - .offset:         12
        .size:           4
        .value_kind:     by_value
      - .address_space:  global
        .offset:         16
        .size:           8
        .value_kind:     global_buffer
      - .offset:         24
        .size:           1
        .value_kind:     by_value
      - .offset:         32
        .size:           4
        .value_kind:     hidden_block_count_x
      - .offset:         36
        .size:           4
        .value_kind:     hidden_block_count_y
      - .offset:         40
        .size:           4
        .value_kind:     hidden_block_count_z
      - .offset:         44
        .size:           2
        .value_kind:     hidden_group_size_x
      - .offset:         46
        .size:           2
        .value_kind:     hidden_group_size_y
      - .offset:         48
        .size:           2
        .value_kind:     hidden_group_size_z
      - .offset:         50
        .size:           2
        .value_kind:     hidden_remainder_x
      - .offset:         52
        .size:           2
        .value_kind:     hidden_remainder_y
      - .offset:         54
        .size:           2
        .value_kind:     hidden_remainder_z
      - .offset:         72
        .size:           8
        .value_kind:     hidden_global_offset_x
      - .offset:         80
        .size:           8
        .value_kind:     hidden_global_offset_y
      - .offset:         88
        .size:           8
        .value_kind:     hidden_global_offset_z
      - .offset:         96
        .size:           2
        .value_kind:     hidden_grid_dims
    .group_segment_fixed_size: 0
    .kernarg_segment_align: 8
    .kernarg_segment_size: 288
    .language:       OpenCL C
    .language_version:
      - 2
      - 0
    .max_flat_workgroup_size: 256
    .name:           _ZN7rocprim17ROCPRIM_400000_NS6detail30init_device_scan_by_key_kernelINS1_19lookback_scan_stateINS0_5tupleIJibEEELb1ELb1EEENS1_16block_id_wrapperIjLb0EEEEEvT_jjPNS9_10value_typeET0_
    .private_segment_fixed_size: 0
    .sgpr_count:     13
    .sgpr_spill_count: 0
    .symbol:         _ZN7rocprim17ROCPRIM_400000_NS6detail30init_device_scan_by_key_kernelINS1_19lookback_scan_stateINS0_5tupleIJibEEELb1ELb1EEENS1_16block_id_wrapperIjLb0EEEEEvT_jjPNS9_10value_typeET0_.kd
    .uniform_work_group_size: 1
    .uses_dynamic_stack: false
    .vgpr_count:     9
    .vgpr_spill_count: 0
    .wavefront_size: 32
  - .args:
      - .offset:         0
        .size:           112
        .value_kind:     by_value
    .group_segment_fixed_size: 0
    .kernarg_segment_align: 8
    .kernarg_segment_size: 112
    .language:       OpenCL C
    .language_version:
      - 2
      - 0
    .max_flat_workgroup_size: 256
    .name:           _ZN7rocprim17ROCPRIM_400000_NS6detail17trampoline_kernelINS0_14default_configENS1_27scan_by_key_config_selectorIiiEEZZNS1_16scan_by_key_implILNS1_25lookback_scan_determinismE0ELb0ES3_N6thrust23THRUST_200600_302600_NS18transform_iteratorI9which_rowNS9_17counting_iteratorIiNS9_11use_defaultESD_SD_EESD_SD_EENS9_6detail15normal_iteratorINS9_10device_ptrIiEEEESK_iNS9_4plusIvEENS9_8equal_toIvEEiEE10hipError_tPvRmT2_T3_T4_T5_mT6_T7_P12ihipStream_tbENKUlT_T0_E_clISt17integral_constantIbLb1EES14_IbLb0EEEEDaS10_S11_EUlS10_E_NS1_11comp_targetILNS1_3genE0ELNS1_11target_archE4294967295ELNS1_3gpuE0ELNS1_3repE0EEENS1_30default_config_static_selectorELNS0_4arch9wavefront6targetE0EEEvT1_
    .private_segment_fixed_size: 0
    .sgpr_count:     0
    .sgpr_spill_count: 0
    .symbol:         _ZN7rocprim17ROCPRIM_400000_NS6detail17trampoline_kernelINS0_14default_configENS1_27scan_by_key_config_selectorIiiEEZZNS1_16scan_by_key_implILNS1_25lookback_scan_determinismE0ELb0ES3_N6thrust23THRUST_200600_302600_NS18transform_iteratorI9which_rowNS9_17counting_iteratorIiNS9_11use_defaultESD_SD_EESD_SD_EENS9_6detail15normal_iteratorINS9_10device_ptrIiEEEESK_iNS9_4plusIvEENS9_8equal_toIvEEiEE10hipError_tPvRmT2_T3_T4_T5_mT6_T7_P12ihipStream_tbENKUlT_T0_E_clISt17integral_constantIbLb1EES14_IbLb0EEEEDaS10_S11_EUlS10_E_NS1_11comp_targetILNS1_3genE0ELNS1_11target_archE4294967295ELNS1_3gpuE0ELNS1_3repE0EEENS1_30default_config_static_selectorELNS0_4arch9wavefront6targetE0EEEvT1_.kd
    .uniform_work_group_size: 1
    .uses_dynamic_stack: false
    .vgpr_count:     0
    .vgpr_spill_count: 0
    .wavefront_size: 32
  - .args:
      - .offset:         0
        .size:           112
        .value_kind:     by_value
    .group_segment_fixed_size: 0
    .kernarg_segment_align: 8
    .kernarg_segment_size: 112
    .language:       OpenCL C
    .language_version:
      - 2
      - 0
    .max_flat_workgroup_size: 256
    .name:           _ZN7rocprim17ROCPRIM_400000_NS6detail17trampoline_kernelINS0_14default_configENS1_27scan_by_key_config_selectorIiiEEZZNS1_16scan_by_key_implILNS1_25lookback_scan_determinismE0ELb0ES3_N6thrust23THRUST_200600_302600_NS18transform_iteratorI9which_rowNS9_17counting_iteratorIiNS9_11use_defaultESD_SD_EESD_SD_EENS9_6detail15normal_iteratorINS9_10device_ptrIiEEEESK_iNS9_4plusIvEENS9_8equal_toIvEEiEE10hipError_tPvRmT2_T3_T4_T5_mT6_T7_P12ihipStream_tbENKUlT_T0_E_clISt17integral_constantIbLb1EES14_IbLb0EEEEDaS10_S11_EUlS10_E_NS1_11comp_targetILNS1_3genE10ELNS1_11target_archE1201ELNS1_3gpuE5ELNS1_3repE0EEENS1_30default_config_static_selectorELNS0_4arch9wavefront6targetE0EEEvT1_
    .private_segment_fixed_size: 0
    .sgpr_count:     0
    .sgpr_spill_count: 0
    .symbol:         _ZN7rocprim17ROCPRIM_400000_NS6detail17trampoline_kernelINS0_14default_configENS1_27scan_by_key_config_selectorIiiEEZZNS1_16scan_by_key_implILNS1_25lookback_scan_determinismE0ELb0ES3_N6thrust23THRUST_200600_302600_NS18transform_iteratorI9which_rowNS9_17counting_iteratorIiNS9_11use_defaultESD_SD_EESD_SD_EENS9_6detail15normal_iteratorINS9_10device_ptrIiEEEESK_iNS9_4plusIvEENS9_8equal_toIvEEiEE10hipError_tPvRmT2_T3_T4_T5_mT6_T7_P12ihipStream_tbENKUlT_T0_E_clISt17integral_constantIbLb1EES14_IbLb0EEEEDaS10_S11_EUlS10_E_NS1_11comp_targetILNS1_3genE10ELNS1_11target_archE1201ELNS1_3gpuE5ELNS1_3repE0EEENS1_30default_config_static_selectorELNS0_4arch9wavefront6targetE0EEEvT1_.kd
    .uniform_work_group_size: 1
    .uses_dynamic_stack: false
    .vgpr_count:     0
    .vgpr_spill_count: 0
    .wavefront_size: 32
  - .args:
      - .offset:         0
        .size:           112
        .value_kind:     by_value
    .group_segment_fixed_size: 0
    .kernarg_segment_align: 8
    .kernarg_segment_size: 112
    .language:       OpenCL C
    .language_version:
      - 2
      - 0
    .max_flat_workgroup_size: 256
    .name:           _ZN7rocprim17ROCPRIM_400000_NS6detail17trampoline_kernelINS0_14default_configENS1_27scan_by_key_config_selectorIiiEEZZNS1_16scan_by_key_implILNS1_25lookback_scan_determinismE0ELb0ES3_N6thrust23THRUST_200600_302600_NS18transform_iteratorI9which_rowNS9_17counting_iteratorIiNS9_11use_defaultESD_SD_EESD_SD_EENS9_6detail15normal_iteratorINS9_10device_ptrIiEEEESK_iNS9_4plusIvEENS9_8equal_toIvEEiEE10hipError_tPvRmT2_T3_T4_T5_mT6_T7_P12ihipStream_tbENKUlT_T0_E_clISt17integral_constantIbLb1EES14_IbLb0EEEEDaS10_S11_EUlS10_E_NS1_11comp_targetILNS1_3genE5ELNS1_11target_archE942ELNS1_3gpuE9ELNS1_3repE0EEENS1_30default_config_static_selectorELNS0_4arch9wavefront6targetE0EEEvT1_
    .private_segment_fixed_size: 0
    .sgpr_count:     0
    .sgpr_spill_count: 0
    .symbol:         _ZN7rocprim17ROCPRIM_400000_NS6detail17trampoline_kernelINS0_14default_configENS1_27scan_by_key_config_selectorIiiEEZZNS1_16scan_by_key_implILNS1_25lookback_scan_determinismE0ELb0ES3_N6thrust23THRUST_200600_302600_NS18transform_iteratorI9which_rowNS9_17counting_iteratorIiNS9_11use_defaultESD_SD_EESD_SD_EENS9_6detail15normal_iteratorINS9_10device_ptrIiEEEESK_iNS9_4plusIvEENS9_8equal_toIvEEiEE10hipError_tPvRmT2_T3_T4_T5_mT6_T7_P12ihipStream_tbENKUlT_T0_E_clISt17integral_constantIbLb1EES14_IbLb0EEEEDaS10_S11_EUlS10_E_NS1_11comp_targetILNS1_3genE5ELNS1_11target_archE942ELNS1_3gpuE9ELNS1_3repE0EEENS1_30default_config_static_selectorELNS0_4arch9wavefront6targetE0EEEvT1_.kd
    .uniform_work_group_size: 1
    .uses_dynamic_stack: false
    .vgpr_count:     0
    .vgpr_spill_count: 0
    .wavefront_size: 32
  - .args:
      - .offset:         0
        .size:           112
        .value_kind:     by_value
    .group_segment_fixed_size: 0
    .kernarg_segment_align: 8
    .kernarg_segment_size: 112
    .language:       OpenCL C
    .language_version:
      - 2
      - 0
    .max_flat_workgroup_size: 256
    .name:           _ZN7rocprim17ROCPRIM_400000_NS6detail17trampoline_kernelINS0_14default_configENS1_27scan_by_key_config_selectorIiiEEZZNS1_16scan_by_key_implILNS1_25lookback_scan_determinismE0ELb0ES3_N6thrust23THRUST_200600_302600_NS18transform_iteratorI9which_rowNS9_17counting_iteratorIiNS9_11use_defaultESD_SD_EESD_SD_EENS9_6detail15normal_iteratorINS9_10device_ptrIiEEEESK_iNS9_4plusIvEENS9_8equal_toIvEEiEE10hipError_tPvRmT2_T3_T4_T5_mT6_T7_P12ihipStream_tbENKUlT_T0_E_clISt17integral_constantIbLb1EES14_IbLb0EEEEDaS10_S11_EUlS10_E_NS1_11comp_targetILNS1_3genE4ELNS1_11target_archE910ELNS1_3gpuE8ELNS1_3repE0EEENS1_30default_config_static_selectorELNS0_4arch9wavefront6targetE0EEEvT1_
    .private_segment_fixed_size: 0
    .sgpr_count:     0
    .sgpr_spill_count: 0
    .symbol:         _ZN7rocprim17ROCPRIM_400000_NS6detail17trampoline_kernelINS0_14default_configENS1_27scan_by_key_config_selectorIiiEEZZNS1_16scan_by_key_implILNS1_25lookback_scan_determinismE0ELb0ES3_N6thrust23THRUST_200600_302600_NS18transform_iteratorI9which_rowNS9_17counting_iteratorIiNS9_11use_defaultESD_SD_EESD_SD_EENS9_6detail15normal_iteratorINS9_10device_ptrIiEEEESK_iNS9_4plusIvEENS9_8equal_toIvEEiEE10hipError_tPvRmT2_T3_T4_T5_mT6_T7_P12ihipStream_tbENKUlT_T0_E_clISt17integral_constantIbLb1EES14_IbLb0EEEEDaS10_S11_EUlS10_E_NS1_11comp_targetILNS1_3genE4ELNS1_11target_archE910ELNS1_3gpuE8ELNS1_3repE0EEENS1_30default_config_static_selectorELNS0_4arch9wavefront6targetE0EEEvT1_.kd
    .uniform_work_group_size: 1
    .uses_dynamic_stack: false
    .vgpr_count:     0
    .vgpr_spill_count: 0
    .wavefront_size: 32
  - .args:
      - .offset:         0
        .size:           112
        .value_kind:     by_value
    .group_segment_fixed_size: 0
    .kernarg_segment_align: 8
    .kernarg_segment_size: 112
    .language:       OpenCL C
    .language_version:
      - 2
      - 0
    .max_flat_workgroup_size: 256
    .name:           _ZN7rocprim17ROCPRIM_400000_NS6detail17trampoline_kernelINS0_14default_configENS1_27scan_by_key_config_selectorIiiEEZZNS1_16scan_by_key_implILNS1_25lookback_scan_determinismE0ELb0ES3_N6thrust23THRUST_200600_302600_NS18transform_iteratorI9which_rowNS9_17counting_iteratorIiNS9_11use_defaultESD_SD_EESD_SD_EENS9_6detail15normal_iteratorINS9_10device_ptrIiEEEESK_iNS9_4plusIvEENS9_8equal_toIvEEiEE10hipError_tPvRmT2_T3_T4_T5_mT6_T7_P12ihipStream_tbENKUlT_T0_E_clISt17integral_constantIbLb1EES14_IbLb0EEEEDaS10_S11_EUlS10_E_NS1_11comp_targetILNS1_3genE3ELNS1_11target_archE908ELNS1_3gpuE7ELNS1_3repE0EEENS1_30default_config_static_selectorELNS0_4arch9wavefront6targetE0EEEvT1_
    .private_segment_fixed_size: 0
    .sgpr_count:     0
    .sgpr_spill_count: 0
    .symbol:         _ZN7rocprim17ROCPRIM_400000_NS6detail17trampoline_kernelINS0_14default_configENS1_27scan_by_key_config_selectorIiiEEZZNS1_16scan_by_key_implILNS1_25lookback_scan_determinismE0ELb0ES3_N6thrust23THRUST_200600_302600_NS18transform_iteratorI9which_rowNS9_17counting_iteratorIiNS9_11use_defaultESD_SD_EESD_SD_EENS9_6detail15normal_iteratorINS9_10device_ptrIiEEEESK_iNS9_4plusIvEENS9_8equal_toIvEEiEE10hipError_tPvRmT2_T3_T4_T5_mT6_T7_P12ihipStream_tbENKUlT_T0_E_clISt17integral_constantIbLb1EES14_IbLb0EEEEDaS10_S11_EUlS10_E_NS1_11comp_targetILNS1_3genE3ELNS1_11target_archE908ELNS1_3gpuE7ELNS1_3repE0EEENS1_30default_config_static_selectorELNS0_4arch9wavefront6targetE0EEEvT1_.kd
    .uniform_work_group_size: 1
    .uses_dynamic_stack: false
    .vgpr_count:     0
    .vgpr_spill_count: 0
    .wavefront_size: 32
  - .args:
      - .offset:         0
        .size:           112
        .value_kind:     by_value
    .group_segment_fixed_size: 0
    .kernarg_segment_align: 8
    .kernarg_segment_size: 112
    .language:       OpenCL C
    .language_version:
      - 2
      - 0
    .max_flat_workgroup_size: 256
    .name:           _ZN7rocprim17ROCPRIM_400000_NS6detail17trampoline_kernelINS0_14default_configENS1_27scan_by_key_config_selectorIiiEEZZNS1_16scan_by_key_implILNS1_25lookback_scan_determinismE0ELb0ES3_N6thrust23THRUST_200600_302600_NS18transform_iteratorI9which_rowNS9_17counting_iteratorIiNS9_11use_defaultESD_SD_EESD_SD_EENS9_6detail15normal_iteratorINS9_10device_ptrIiEEEESK_iNS9_4plusIvEENS9_8equal_toIvEEiEE10hipError_tPvRmT2_T3_T4_T5_mT6_T7_P12ihipStream_tbENKUlT_T0_E_clISt17integral_constantIbLb1EES14_IbLb0EEEEDaS10_S11_EUlS10_E_NS1_11comp_targetILNS1_3genE2ELNS1_11target_archE906ELNS1_3gpuE6ELNS1_3repE0EEENS1_30default_config_static_selectorELNS0_4arch9wavefront6targetE0EEEvT1_
    .private_segment_fixed_size: 0
    .sgpr_count:     0
    .sgpr_spill_count: 0
    .symbol:         _ZN7rocprim17ROCPRIM_400000_NS6detail17trampoline_kernelINS0_14default_configENS1_27scan_by_key_config_selectorIiiEEZZNS1_16scan_by_key_implILNS1_25lookback_scan_determinismE0ELb0ES3_N6thrust23THRUST_200600_302600_NS18transform_iteratorI9which_rowNS9_17counting_iteratorIiNS9_11use_defaultESD_SD_EESD_SD_EENS9_6detail15normal_iteratorINS9_10device_ptrIiEEEESK_iNS9_4plusIvEENS9_8equal_toIvEEiEE10hipError_tPvRmT2_T3_T4_T5_mT6_T7_P12ihipStream_tbENKUlT_T0_E_clISt17integral_constantIbLb1EES14_IbLb0EEEEDaS10_S11_EUlS10_E_NS1_11comp_targetILNS1_3genE2ELNS1_11target_archE906ELNS1_3gpuE6ELNS1_3repE0EEENS1_30default_config_static_selectorELNS0_4arch9wavefront6targetE0EEEvT1_.kd
    .uniform_work_group_size: 1
    .uses_dynamic_stack: false
    .vgpr_count:     0
    .vgpr_spill_count: 0
    .wavefront_size: 32
  - .args:
      - .offset:         0
        .size:           112
        .value_kind:     by_value
    .group_segment_fixed_size: 0
    .kernarg_segment_align: 8
    .kernarg_segment_size: 112
    .language:       OpenCL C
    .language_version:
      - 2
      - 0
    .max_flat_workgroup_size: 256
    .name:           _ZN7rocprim17ROCPRIM_400000_NS6detail17trampoline_kernelINS0_14default_configENS1_27scan_by_key_config_selectorIiiEEZZNS1_16scan_by_key_implILNS1_25lookback_scan_determinismE0ELb0ES3_N6thrust23THRUST_200600_302600_NS18transform_iteratorI9which_rowNS9_17counting_iteratorIiNS9_11use_defaultESD_SD_EESD_SD_EENS9_6detail15normal_iteratorINS9_10device_ptrIiEEEESK_iNS9_4plusIvEENS9_8equal_toIvEEiEE10hipError_tPvRmT2_T3_T4_T5_mT6_T7_P12ihipStream_tbENKUlT_T0_E_clISt17integral_constantIbLb1EES14_IbLb0EEEEDaS10_S11_EUlS10_E_NS1_11comp_targetILNS1_3genE10ELNS1_11target_archE1200ELNS1_3gpuE4ELNS1_3repE0EEENS1_30default_config_static_selectorELNS0_4arch9wavefront6targetE0EEEvT1_
    .private_segment_fixed_size: 0
    .sgpr_count:     0
    .sgpr_spill_count: 0
    .symbol:         _ZN7rocprim17ROCPRIM_400000_NS6detail17trampoline_kernelINS0_14default_configENS1_27scan_by_key_config_selectorIiiEEZZNS1_16scan_by_key_implILNS1_25lookback_scan_determinismE0ELb0ES3_N6thrust23THRUST_200600_302600_NS18transform_iteratorI9which_rowNS9_17counting_iteratorIiNS9_11use_defaultESD_SD_EESD_SD_EENS9_6detail15normal_iteratorINS9_10device_ptrIiEEEESK_iNS9_4plusIvEENS9_8equal_toIvEEiEE10hipError_tPvRmT2_T3_T4_T5_mT6_T7_P12ihipStream_tbENKUlT_T0_E_clISt17integral_constantIbLb1EES14_IbLb0EEEEDaS10_S11_EUlS10_E_NS1_11comp_targetILNS1_3genE10ELNS1_11target_archE1200ELNS1_3gpuE4ELNS1_3repE0EEENS1_30default_config_static_selectorELNS0_4arch9wavefront6targetE0EEEvT1_.kd
    .uniform_work_group_size: 1
    .uses_dynamic_stack: false
    .vgpr_count:     0
    .vgpr_spill_count: 0
    .wavefront_size: 32
  - .args:
      - .offset:         0
        .size:           112
        .value_kind:     by_value
    .group_segment_fixed_size: 0
    .kernarg_segment_align: 8
    .kernarg_segment_size: 112
    .language:       OpenCL C
    .language_version:
      - 2
      - 0
    .max_flat_workgroup_size: 256
    .name:           _ZN7rocprim17ROCPRIM_400000_NS6detail17trampoline_kernelINS0_14default_configENS1_27scan_by_key_config_selectorIiiEEZZNS1_16scan_by_key_implILNS1_25lookback_scan_determinismE0ELb0ES3_N6thrust23THRUST_200600_302600_NS18transform_iteratorI9which_rowNS9_17counting_iteratorIiNS9_11use_defaultESD_SD_EESD_SD_EENS9_6detail15normal_iteratorINS9_10device_ptrIiEEEESK_iNS9_4plusIvEENS9_8equal_toIvEEiEE10hipError_tPvRmT2_T3_T4_T5_mT6_T7_P12ihipStream_tbENKUlT_T0_E_clISt17integral_constantIbLb1EES14_IbLb0EEEEDaS10_S11_EUlS10_E_NS1_11comp_targetILNS1_3genE9ELNS1_11target_archE1100ELNS1_3gpuE3ELNS1_3repE0EEENS1_30default_config_static_selectorELNS0_4arch9wavefront6targetE0EEEvT1_
    .private_segment_fixed_size: 0
    .sgpr_count:     0
    .sgpr_spill_count: 0
    .symbol:         _ZN7rocprim17ROCPRIM_400000_NS6detail17trampoline_kernelINS0_14default_configENS1_27scan_by_key_config_selectorIiiEEZZNS1_16scan_by_key_implILNS1_25lookback_scan_determinismE0ELb0ES3_N6thrust23THRUST_200600_302600_NS18transform_iteratorI9which_rowNS9_17counting_iteratorIiNS9_11use_defaultESD_SD_EESD_SD_EENS9_6detail15normal_iteratorINS9_10device_ptrIiEEEESK_iNS9_4plusIvEENS9_8equal_toIvEEiEE10hipError_tPvRmT2_T3_T4_T5_mT6_T7_P12ihipStream_tbENKUlT_T0_E_clISt17integral_constantIbLb1EES14_IbLb0EEEEDaS10_S11_EUlS10_E_NS1_11comp_targetILNS1_3genE9ELNS1_11target_archE1100ELNS1_3gpuE3ELNS1_3repE0EEENS1_30default_config_static_selectorELNS0_4arch9wavefront6targetE0EEEvT1_.kd
    .uniform_work_group_size: 1
    .uses_dynamic_stack: false
    .vgpr_count:     0
    .vgpr_spill_count: 0
    .wavefront_size: 32
  - .args:
      - .offset:         0
        .size:           112
        .value_kind:     by_value
    .group_segment_fixed_size: 0
    .kernarg_segment_align: 8
    .kernarg_segment_size: 112
    .language:       OpenCL C
    .language_version:
      - 2
      - 0
    .max_flat_workgroup_size: 256
    .name:           _ZN7rocprim17ROCPRIM_400000_NS6detail17trampoline_kernelINS0_14default_configENS1_27scan_by_key_config_selectorIiiEEZZNS1_16scan_by_key_implILNS1_25lookback_scan_determinismE0ELb0ES3_N6thrust23THRUST_200600_302600_NS18transform_iteratorI9which_rowNS9_17counting_iteratorIiNS9_11use_defaultESD_SD_EESD_SD_EENS9_6detail15normal_iteratorINS9_10device_ptrIiEEEESK_iNS9_4plusIvEENS9_8equal_toIvEEiEE10hipError_tPvRmT2_T3_T4_T5_mT6_T7_P12ihipStream_tbENKUlT_T0_E_clISt17integral_constantIbLb1EES14_IbLb0EEEEDaS10_S11_EUlS10_E_NS1_11comp_targetILNS1_3genE8ELNS1_11target_archE1030ELNS1_3gpuE2ELNS1_3repE0EEENS1_30default_config_static_selectorELNS0_4arch9wavefront6targetE0EEEvT1_
    .private_segment_fixed_size: 0
    .sgpr_count:     0
    .sgpr_spill_count: 0
    .symbol:         _ZN7rocprim17ROCPRIM_400000_NS6detail17trampoline_kernelINS0_14default_configENS1_27scan_by_key_config_selectorIiiEEZZNS1_16scan_by_key_implILNS1_25lookback_scan_determinismE0ELb0ES3_N6thrust23THRUST_200600_302600_NS18transform_iteratorI9which_rowNS9_17counting_iteratorIiNS9_11use_defaultESD_SD_EESD_SD_EENS9_6detail15normal_iteratorINS9_10device_ptrIiEEEESK_iNS9_4plusIvEENS9_8equal_toIvEEiEE10hipError_tPvRmT2_T3_T4_T5_mT6_T7_P12ihipStream_tbENKUlT_T0_E_clISt17integral_constantIbLb1EES14_IbLb0EEEEDaS10_S11_EUlS10_E_NS1_11comp_targetILNS1_3genE8ELNS1_11target_archE1030ELNS1_3gpuE2ELNS1_3repE0EEENS1_30default_config_static_selectorELNS0_4arch9wavefront6targetE0EEEvT1_.kd
    .uniform_work_group_size: 1
    .uses_dynamic_stack: false
    .vgpr_count:     0
    .vgpr_spill_count: 0
    .wavefront_size: 32
  - .args:
      - .address_space:  global
        .offset:         0
        .size:           8
        .value_kind:     global_buffer
      - .offset:         8
        .size:           4
        .value_kind:     by_value
      - .offset:         12
        .size:           4
        .value_kind:     by_value
      - .address_space:  global
        .offset:         16
        .size:           8
        .value_kind:     global_buffer
      - .offset:         24
        .size:           8
        .value_kind:     by_value
      - .actual_access:  write_only
        .address_space:  global
        .offset:         32
        .size:           8
        .value_kind:     global_buffer
      - .offset:         40
        .size:           8
        .value_kind:     by_value
      - .offset:         48
        .size:           4
        .value_kind:     by_value
      - .address_space:  global
        .offset:         56
        .size:           8
        .value_kind:     global_buffer
      - .offset:         64
        .size:           4
        .value_kind:     hidden_block_count_x
      - .offset:         68
        .size:           4
        .value_kind:     hidden_block_count_y
      - .offset:         72
        .size:           4
        .value_kind:     hidden_block_count_z
      - .offset:         76
        .size:           2
        .value_kind:     hidden_group_size_x
      - .offset:         78
        .size:           2
        .value_kind:     hidden_group_size_y
      - .offset:         80
        .size:           2
        .value_kind:     hidden_group_size_z
      - .offset:         82
        .size:           2
        .value_kind:     hidden_remainder_x
      - .offset:         84
        .size:           2
        .value_kind:     hidden_remainder_y
      - .offset:         86
        .size:           2
        .value_kind:     hidden_remainder_z
      - .offset:         104
        .size:           8
        .value_kind:     hidden_global_offset_x
      - .offset:         112
        .size:           8
        .value_kind:     hidden_global_offset_y
      - .offset:         120
        .size:           8
        .value_kind:     hidden_global_offset_z
      - .offset:         128
        .size:           2
        .value_kind:     hidden_grid_dims
    .group_segment_fixed_size: 0
    .kernarg_segment_align: 8
    .kernarg_segment_size: 320
    .language:       OpenCL C
    .language_version:
      - 2
      - 0
    .max_flat_workgroup_size: 256
    .name:           _ZN7rocprim17ROCPRIM_400000_NS6detail30init_device_scan_by_key_kernelINS1_19lookback_scan_stateINS0_5tupleIJibEEELb0ELb1EEEN6thrust23THRUST_200600_302600_NS18transform_iteratorI9which_rowNS8_17counting_iteratorIiNS8_11use_defaultESC_SC_EESC_SC_EEjNS1_16block_id_wrapperIjLb1EEEEEvT_jjPNSH_10value_typeET0_PNSt15iterator_traitsISK_E10value_typeEmT1_T2_
    .private_segment_fixed_size: 0
    .sgpr_count:     19
    .sgpr_spill_count: 0
    .symbol:         _ZN7rocprim17ROCPRIM_400000_NS6detail30init_device_scan_by_key_kernelINS1_19lookback_scan_stateINS0_5tupleIJibEEELb0ELb1EEEN6thrust23THRUST_200600_302600_NS18transform_iteratorI9which_rowNS8_17counting_iteratorIiNS8_11use_defaultESC_SC_EESC_SC_EEjNS1_16block_id_wrapperIjLb1EEEEEvT_jjPNSH_10value_typeET0_PNSt15iterator_traitsISK_E10value_typeEmT1_T2_.kd
    .uniform_work_group_size: 1
    .uses_dynamic_stack: false
    .vgpr_count:     10
    .vgpr_spill_count: 0
    .wavefront_size: 32
  - .args:
      - .address_space:  global
        .offset:         0
        .size:           8
        .value_kind:     global_buffer
      - .offset:         8
        .size:           4
        .value_kind:     by_value
      - .offset:         12
        .size:           4
        .value_kind:     by_value
      - .address_space:  global
        .offset:         16
        .size:           8
        .value_kind:     global_buffer
      - .address_space:  global
        .offset:         24
        .size:           8
        .value_kind:     global_buffer
      - .offset:         32
        .size:           4
        .value_kind:     hidden_block_count_x
      - .offset:         36
        .size:           4
        .value_kind:     hidden_block_count_y
      - .offset:         40
        .size:           4
        .value_kind:     hidden_block_count_z
      - .offset:         44
        .size:           2
        .value_kind:     hidden_group_size_x
      - .offset:         46
        .size:           2
        .value_kind:     hidden_group_size_y
      - .offset:         48
        .size:           2
        .value_kind:     hidden_group_size_z
      - .offset:         50
        .size:           2
        .value_kind:     hidden_remainder_x
      - .offset:         52
        .size:           2
        .value_kind:     hidden_remainder_y
      - .offset:         54
        .size:           2
        .value_kind:     hidden_remainder_z
      - .offset:         72
        .size:           8
        .value_kind:     hidden_global_offset_x
      - .offset:         80
        .size:           8
        .value_kind:     hidden_global_offset_y
      - .offset:         88
        .size:           8
        .value_kind:     hidden_global_offset_z
      - .offset:         96
        .size:           2
        .value_kind:     hidden_grid_dims
    .group_segment_fixed_size: 0
    .kernarg_segment_align: 8
    .kernarg_segment_size: 288
    .language:       OpenCL C
    .language_version:
      - 2
      - 0
    .max_flat_workgroup_size: 256
    .name:           _ZN7rocprim17ROCPRIM_400000_NS6detail30init_device_scan_by_key_kernelINS1_19lookback_scan_stateINS0_5tupleIJibEEELb0ELb1EEENS1_16block_id_wrapperIjLb1EEEEEvT_jjPNS9_10value_typeET0_
    .private_segment_fixed_size: 0
    .sgpr_count:     15
    .sgpr_spill_count: 0
    .symbol:         _ZN7rocprim17ROCPRIM_400000_NS6detail30init_device_scan_by_key_kernelINS1_19lookback_scan_stateINS0_5tupleIJibEEELb0ELb1EEENS1_16block_id_wrapperIjLb1EEEEEvT_jjPNS9_10value_typeET0_.kd
    .uniform_work_group_size: 1
    .uses_dynamic_stack: false
    .vgpr_count:     9
    .vgpr_spill_count: 0
    .wavefront_size: 32
  - .args:
      - .offset:         0
        .size:           112
        .value_kind:     by_value
    .group_segment_fixed_size: 14336
    .kernarg_segment_align: 8
    .kernarg_segment_size: 112
    .language:       OpenCL C
    .language_version:
      - 2
      - 0
    .max_flat_workgroup_size: 256
    .name:           _ZN7rocprim17ROCPRIM_400000_NS6detail17trampoline_kernelINS0_14default_configENS1_27scan_by_key_config_selectorIiiEEZZNS1_16scan_by_key_implILNS1_25lookback_scan_determinismE0ELb0ES3_N6thrust23THRUST_200600_302600_NS18transform_iteratorI9which_rowNS9_17counting_iteratorIiNS9_11use_defaultESD_SD_EESD_SD_EENS9_6detail15normal_iteratorINS9_10device_ptrIiEEEESK_iNS9_4plusIvEENS9_8equal_toIvEEiEE10hipError_tPvRmT2_T3_T4_T5_mT6_T7_P12ihipStream_tbENKUlT_T0_E_clISt17integral_constantIbLb0EES14_IbLb1EEEEDaS10_S11_EUlS10_E_NS1_11comp_targetILNS1_3genE0ELNS1_11target_archE4294967295ELNS1_3gpuE0ELNS1_3repE0EEENS1_30default_config_static_selectorELNS0_4arch9wavefront6targetE0EEEvT1_
    .private_segment_fixed_size: 0
    .sgpr_count:     50
    .sgpr_spill_count: 0
    .symbol:         _ZN7rocprim17ROCPRIM_400000_NS6detail17trampoline_kernelINS0_14default_configENS1_27scan_by_key_config_selectorIiiEEZZNS1_16scan_by_key_implILNS1_25lookback_scan_determinismE0ELb0ES3_N6thrust23THRUST_200600_302600_NS18transform_iteratorI9which_rowNS9_17counting_iteratorIiNS9_11use_defaultESD_SD_EESD_SD_EENS9_6detail15normal_iteratorINS9_10device_ptrIiEEEESK_iNS9_4plusIvEENS9_8equal_toIvEEiEE10hipError_tPvRmT2_T3_T4_T5_mT6_T7_P12ihipStream_tbENKUlT_T0_E_clISt17integral_constantIbLb0EES14_IbLb1EEEEDaS10_S11_EUlS10_E_NS1_11comp_targetILNS1_3genE0ELNS1_11target_archE4294967295ELNS1_3gpuE0ELNS1_3repE0EEENS1_30default_config_static_selectorELNS0_4arch9wavefront6targetE0EEEvT1_.kd
    .uniform_work_group_size: 1
    .uses_dynamic_stack: false
    .vgpr_count:     60
    .vgpr_spill_count: 0
    .wavefront_size: 32
  - .args:
      - .offset:         0
        .size:           112
        .value_kind:     by_value
    .group_segment_fixed_size: 0
    .kernarg_segment_align: 8
    .kernarg_segment_size: 112
    .language:       OpenCL C
    .language_version:
      - 2
      - 0
    .max_flat_workgroup_size: 256
    .name:           _ZN7rocprim17ROCPRIM_400000_NS6detail17trampoline_kernelINS0_14default_configENS1_27scan_by_key_config_selectorIiiEEZZNS1_16scan_by_key_implILNS1_25lookback_scan_determinismE0ELb0ES3_N6thrust23THRUST_200600_302600_NS18transform_iteratorI9which_rowNS9_17counting_iteratorIiNS9_11use_defaultESD_SD_EESD_SD_EENS9_6detail15normal_iteratorINS9_10device_ptrIiEEEESK_iNS9_4plusIvEENS9_8equal_toIvEEiEE10hipError_tPvRmT2_T3_T4_T5_mT6_T7_P12ihipStream_tbENKUlT_T0_E_clISt17integral_constantIbLb0EES14_IbLb1EEEEDaS10_S11_EUlS10_E_NS1_11comp_targetILNS1_3genE10ELNS1_11target_archE1201ELNS1_3gpuE5ELNS1_3repE0EEENS1_30default_config_static_selectorELNS0_4arch9wavefront6targetE0EEEvT1_
    .private_segment_fixed_size: 0
    .sgpr_count:     0
    .sgpr_spill_count: 0
    .symbol:         _ZN7rocprim17ROCPRIM_400000_NS6detail17trampoline_kernelINS0_14default_configENS1_27scan_by_key_config_selectorIiiEEZZNS1_16scan_by_key_implILNS1_25lookback_scan_determinismE0ELb0ES3_N6thrust23THRUST_200600_302600_NS18transform_iteratorI9which_rowNS9_17counting_iteratorIiNS9_11use_defaultESD_SD_EESD_SD_EENS9_6detail15normal_iteratorINS9_10device_ptrIiEEEESK_iNS9_4plusIvEENS9_8equal_toIvEEiEE10hipError_tPvRmT2_T3_T4_T5_mT6_T7_P12ihipStream_tbENKUlT_T0_E_clISt17integral_constantIbLb0EES14_IbLb1EEEEDaS10_S11_EUlS10_E_NS1_11comp_targetILNS1_3genE10ELNS1_11target_archE1201ELNS1_3gpuE5ELNS1_3repE0EEENS1_30default_config_static_selectorELNS0_4arch9wavefront6targetE0EEEvT1_.kd
    .uniform_work_group_size: 1
    .uses_dynamic_stack: false
    .vgpr_count:     0
    .vgpr_spill_count: 0
    .wavefront_size: 32
  - .args:
      - .offset:         0
        .size:           112
        .value_kind:     by_value
    .group_segment_fixed_size: 0
    .kernarg_segment_align: 8
    .kernarg_segment_size: 112
    .language:       OpenCL C
    .language_version:
      - 2
      - 0
    .max_flat_workgroup_size: 256
    .name:           _ZN7rocprim17ROCPRIM_400000_NS6detail17trampoline_kernelINS0_14default_configENS1_27scan_by_key_config_selectorIiiEEZZNS1_16scan_by_key_implILNS1_25lookback_scan_determinismE0ELb0ES3_N6thrust23THRUST_200600_302600_NS18transform_iteratorI9which_rowNS9_17counting_iteratorIiNS9_11use_defaultESD_SD_EESD_SD_EENS9_6detail15normal_iteratorINS9_10device_ptrIiEEEESK_iNS9_4plusIvEENS9_8equal_toIvEEiEE10hipError_tPvRmT2_T3_T4_T5_mT6_T7_P12ihipStream_tbENKUlT_T0_E_clISt17integral_constantIbLb0EES14_IbLb1EEEEDaS10_S11_EUlS10_E_NS1_11comp_targetILNS1_3genE5ELNS1_11target_archE942ELNS1_3gpuE9ELNS1_3repE0EEENS1_30default_config_static_selectorELNS0_4arch9wavefront6targetE0EEEvT1_
    .private_segment_fixed_size: 0
    .sgpr_count:     0
    .sgpr_spill_count: 0
    .symbol:         _ZN7rocprim17ROCPRIM_400000_NS6detail17trampoline_kernelINS0_14default_configENS1_27scan_by_key_config_selectorIiiEEZZNS1_16scan_by_key_implILNS1_25lookback_scan_determinismE0ELb0ES3_N6thrust23THRUST_200600_302600_NS18transform_iteratorI9which_rowNS9_17counting_iteratorIiNS9_11use_defaultESD_SD_EESD_SD_EENS9_6detail15normal_iteratorINS9_10device_ptrIiEEEESK_iNS9_4plusIvEENS9_8equal_toIvEEiEE10hipError_tPvRmT2_T3_T4_T5_mT6_T7_P12ihipStream_tbENKUlT_T0_E_clISt17integral_constantIbLb0EES14_IbLb1EEEEDaS10_S11_EUlS10_E_NS1_11comp_targetILNS1_3genE5ELNS1_11target_archE942ELNS1_3gpuE9ELNS1_3repE0EEENS1_30default_config_static_selectorELNS0_4arch9wavefront6targetE0EEEvT1_.kd
    .uniform_work_group_size: 1
    .uses_dynamic_stack: false
    .vgpr_count:     0
    .vgpr_spill_count: 0
    .wavefront_size: 32
  - .args:
      - .offset:         0
        .size:           112
        .value_kind:     by_value
    .group_segment_fixed_size: 0
    .kernarg_segment_align: 8
    .kernarg_segment_size: 112
    .language:       OpenCL C
    .language_version:
      - 2
      - 0
    .max_flat_workgroup_size: 256
    .name:           _ZN7rocprim17ROCPRIM_400000_NS6detail17trampoline_kernelINS0_14default_configENS1_27scan_by_key_config_selectorIiiEEZZNS1_16scan_by_key_implILNS1_25lookback_scan_determinismE0ELb0ES3_N6thrust23THRUST_200600_302600_NS18transform_iteratorI9which_rowNS9_17counting_iteratorIiNS9_11use_defaultESD_SD_EESD_SD_EENS9_6detail15normal_iteratorINS9_10device_ptrIiEEEESK_iNS9_4plusIvEENS9_8equal_toIvEEiEE10hipError_tPvRmT2_T3_T4_T5_mT6_T7_P12ihipStream_tbENKUlT_T0_E_clISt17integral_constantIbLb0EES14_IbLb1EEEEDaS10_S11_EUlS10_E_NS1_11comp_targetILNS1_3genE4ELNS1_11target_archE910ELNS1_3gpuE8ELNS1_3repE0EEENS1_30default_config_static_selectorELNS0_4arch9wavefront6targetE0EEEvT1_
    .private_segment_fixed_size: 0
    .sgpr_count:     0
    .sgpr_spill_count: 0
    .symbol:         _ZN7rocprim17ROCPRIM_400000_NS6detail17trampoline_kernelINS0_14default_configENS1_27scan_by_key_config_selectorIiiEEZZNS1_16scan_by_key_implILNS1_25lookback_scan_determinismE0ELb0ES3_N6thrust23THRUST_200600_302600_NS18transform_iteratorI9which_rowNS9_17counting_iteratorIiNS9_11use_defaultESD_SD_EESD_SD_EENS9_6detail15normal_iteratorINS9_10device_ptrIiEEEESK_iNS9_4plusIvEENS9_8equal_toIvEEiEE10hipError_tPvRmT2_T3_T4_T5_mT6_T7_P12ihipStream_tbENKUlT_T0_E_clISt17integral_constantIbLb0EES14_IbLb1EEEEDaS10_S11_EUlS10_E_NS1_11comp_targetILNS1_3genE4ELNS1_11target_archE910ELNS1_3gpuE8ELNS1_3repE0EEENS1_30default_config_static_selectorELNS0_4arch9wavefront6targetE0EEEvT1_.kd
    .uniform_work_group_size: 1
    .uses_dynamic_stack: false
    .vgpr_count:     0
    .vgpr_spill_count: 0
    .wavefront_size: 32
  - .args:
      - .offset:         0
        .size:           112
        .value_kind:     by_value
    .group_segment_fixed_size: 0
    .kernarg_segment_align: 8
    .kernarg_segment_size: 112
    .language:       OpenCL C
    .language_version:
      - 2
      - 0
    .max_flat_workgroup_size: 256
    .name:           _ZN7rocprim17ROCPRIM_400000_NS6detail17trampoline_kernelINS0_14default_configENS1_27scan_by_key_config_selectorIiiEEZZNS1_16scan_by_key_implILNS1_25lookback_scan_determinismE0ELb0ES3_N6thrust23THRUST_200600_302600_NS18transform_iteratorI9which_rowNS9_17counting_iteratorIiNS9_11use_defaultESD_SD_EESD_SD_EENS9_6detail15normal_iteratorINS9_10device_ptrIiEEEESK_iNS9_4plusIvEENS9_8equal_toIvEEiEE10hipError_tPvRmT2_T3_T4_T5_mT6_T7_P12ihipStream_tbENKUlT_T0_E_clISt17integral_constantIbLb0EES14_IbLb1EEEEDaS10_S11_EUlS10_E_NS1_11comp_targetILNS1_3genE3ELNS1_11target_archE908ELNS1_3gpuE7ELNS1_3repE0EEENS1_30default_config_static_selectorELNS0_4arch9wavefront6targetE0EEEvT1_
    .private_segment_fixed_size: 0
    .sgpr_count:     0
    .sgpr_spill_count: 0
    .symbol:         _ZN7rocprim17ROCPRIM_400000_NS6detail17trampoline_kernelINS0_14default_configENS1_27scan_by_key_config_selectorIiiEEZZNS1_16scan_by_key_implILNS1_25lookback_scan_determinismE0ELb0ES3_N6thrust23THRUST_200600_302600_NS18transform_iteratorI9which_rowNS9_17counting_iteratorIiNS9_11use_defaultESD_SD_EESD_SD_EENS9_6detail15normal_iteratorINS9_10device_ptrIiEEEESK_iNS9_4plusIvEENS9_8equal_toIvEEiEE10hipError_tPvRmT2_T3_T4_T5_mT6_T7_P12ihipStream_tbENKUlT_T0_E_clISt17integral_constantIbLb0EES14_IbLb1EEEEDaS10_S11_EUlS10_E_NS1_11comp_targetILNS1_3genE3ELNS1_11target_archE908ELNS1_3gpuE7ELNS1_3repE0EEENS1_30default_config_static_selectorELNS0_4arch9wavefront6targetE0EEEvT1_.kd
    .uniform_work_group_size: 1
    .uses_dynamic_stack: false
    .vgpr_count:     0
    .vgpr_spill_count: 0
    .wavefront_size: 32
  - .args:
      - .offset:         0
        .size:           112
        .value_kind:     by_value
    .group_segment_fixed_size: 0
    .kernarg_segment_align: 8
    .kernarg_segment_size: 112
    .language:       OpenCL C
    .language_version:
      - 2
      - 0
    .max_flat_workgroup_size: 256
    .name:           _ZN7rocprim17ROCPRIM_400000_NS6detail17trampoline_kernelINS0_14default_configENS1_27scan_by_key_config_selectorIiiEEZZNS1_16scan_by_key_implILNS1_25lookback_scan_determinismE0ELb0ES3_N6thrust23THRUST_200600_302600_NS18transform_iteratorI9which_rowNS9_17counting_iteratorIiNS9_11use_defaultESD_SD_EESD_SD_EENS9_6detail15normal_iteratorINS9_10device_ptrIiEEEESK_iNS9_4plusIvEENS9_8equal_toIvEEiEE10hipError_tPvRmT2_T3_T4_T5_mT6_T7_P12ihipStream_tbENKUlT_T0_E_clISt17integral_constantIbLb0EES14_IbLb1EEEEDaS10_S11_EUlS10_E_NS1_11comp_targetILNS1_3genE2ELNS1_11target_archE906ELNS1_3gpuE6ELNS1_3repE0EEENS1_30default_config_static_selectorELNS0_4arch9wavefront6targetE0EEEvT1_
    .private_segment_fixed_size: 0
    .sgpr_count:     0
    .sgpr_spill_count: 0
    .symbol:         _ZN7rocprim17ROCPRIM_400000_NS6detail17trampoline_kernelINS0_14default_configENS1_27scan_by_key_config_selectorIiiEEZZNS1_16scan_by_key_implILNS1_25lookback_scan_determinismE0ELb0ES3_N6thrust23THRUST_200600_302600_NS18transform_iteratorI9which_rowNS9_17counting_iteratorIiNS9_11use_defaultESD_SD_EESD_SD_EENS9_6detail15normal_iteratorINS9_10device_ptrIiEEEESK_iNS9_4plusIvEENS9_8equal_toIvEEiEE10hipError_tPvRmT2_T3_T4_T5_mT6_T7_P12ihipStream_tbENKUlT_T0_E_clISt17integral_constantIbLb0EES14_IbLb1EEEEDaS10_S11_EUlS10_E_NS1_11comp_targetILNS1_3genE2ELNS1_11target_archE906ELNS1_3gpuE6ELNS1_3repE0EEENS1_30default_config_static_selectorELNS0_4arch9wavefront6targetE0EEEvT1_.kd
    .uniform_work_group_size: 1
    .uses_dynamic_stack: false
    .vgpr_count:     0
    .vgpr_spill_count: 0
    .wavefront_size: 32
  - .args:
      - .offset:         0
        .size:           112
        .value_kind:     by_value
    .group_segment_fixed_size: 0
    .kernarg_segment_align: 8
    .kernarg_segment_size: 112
    .language:       OpenCL C
    .language_version:
      - 2
      - 0
    .max_flat_workgroup_size: 256
    .name:           _ZN7rocprim17ROCPRIM_400000_NS6detail17trampoline_kernelINS0_14default_configENS1_27scan_by_key_config_selectorIiiEEZZNS1_16scan_by_key_implILNS1_25lookback_scan_determinismE0ELb0ES3_N6thrust23THRUST_200600_302600_NS18transform_iteratorI9which_rowNS9_17counting_iteratorIiNS9_11use_defaultESD_SD_EESD_SD_EENS9_6detail15normal_iteratorINS9_10device_ptrIiEEEESK_iNS9_4plusIvEENS9_8equal_toIvEEiEE10hipError_tPvRmT2_T3_T4_T5_mT6_T7_P12ihipStream_tbENKUlT_T0_E_clISt17integral_constantIbLb0EES14_IbLb1EEEEDaS10_S11_EUlS10_E_NS1_11comp_targetILNS1_3genE10ELNS1_11target_archE1200ELNS1_3gpuE4ELNS1_3repE0EEENS1_30default_config_static_selectorELNS0_4arch9wavefront6targetE0EEEvT1_
    .private_segment_fixed_size: 0
    .sgpr_count:     0
    .sgpr_spill_count: 0
    .symbol:         _ZN7rocprim17ROCPRIM_400000_NS6detail17trampoline_kernelINS0_14default_configENS1_27scan_by_key_config_selectorIiiEEZZNS1_16scan_by_key_implILNS1_25lookback_scan_determinismE0ELb0ES3_N6thrust23THRUST_200600_302600_NS18transform_iteratorI9which_rowNS9_17counting_iteratorIiNS9_11use_defaultESD_SD_EESD_SD_EENS9_6detail15normal_iteratorINS9_10device_ptrIiEEEESK_iNS9_4plusIvEENS9_8equal_toIvEEiEE10hipError_tPvRmT2_T3_T4_T5_mT6_T7_P12ihipStream_tbENKUlT_T0_E_clISt17integral_constantIbLb0EES14_IbLb1EEEEDaS10_S11_EUlS10_E_NS1_11comp_targetILNS1_3genE10ELNS1_11target_archE1200ELNS1_3gpuE4ELNS1_3repE0EEENS1_30default_config_static_selectorELNS0_4arch9wavefront6targetE0EEEvT1_.kd
    .uniform_work_group_size: 1
    .uses_dynamic_stack: false
    .vgpr_count:     0
    .vgpr_spill_count: 0
    .wavefront_size: 32
  - .args:
      - .offset:         0
        .size:           112
        .value_kind:     by_value
    .group_segment_fixed_size: 0
    .kernarg_segment_align: 8
    .kernarg_segment_size: 112
    .language:       OpenCL C
    .language_version:
      - 2
      - 0
    .max_flat_workgroup_size: 256
    .name:           _ZN7rocprim17ROCPRIM_400000_NS6detail17trampoline_kernelINS0_14default_configENS1_27scan_by_key_config_selectorIiiEEZZNS1_16scan_by_key_implILNS1_25lookback_scan_determinismE0ELb0ES3_N6thrust23THRUST_200600_302600_NS18transform_iteratorI9which_rowNS9_17counting_iteratorIiNS9_11use_defaultESD_SD_EESD_SD_EENS9_6detail15normal_iteratorINS9_10device_ptrIiEEEESK_iNS9_4plusIvEENS9_8equal_toIvEEiEE10hipError_tPvRmT2_T3_T4_T5_mT6_T7_P12ihipStream_tbENKUlT_T0_E_clISt17integral_constantIbLb0EES14_IbLb1EEEEDaS10_S11_EUlS10_E_NS1_11comp_targetILNS1_3genE9ELNS1_11target_archE1100ELNS1_3gpuE3ELNS1_3repE0EEENS1_30default_config_static_selectorELNS0_4arch9wavefront6targetE0EEEvT1_
    .private_segment_fixed_size: 0
    .sgpr_count:     0
    .sgpr_spill_count: 0
    .symbol:         _ZN7rocprim17ROCPRIM_400000_NS6detail17trampoline_kernelINS0_14default_configENS1_27scan_by_key_config_selectorIiiEEZZNS1_16scan_by_key_implILNS1_25lookback_scan_determinismE0ELb0ES3_N6thrust23THRUST_200600_302600_NS18transform_iteratorI9which_rowNS9_17counting_iteratorIiNS9_11use_defaultESD_SD_EESD_SD_EENS9_6detail15normal_iteratorINS9_10device_ptrIiEEEESK_iNS9_4plusIvEENS9_8equal_toIvEEiEE10hipError_tPvRmT2_T3_T4_T5_mT6_T7_P12ihipStream_tbENKUlT_T0_E_clISt17integral_constantIbLb0EES14_IbLb1EEEEDaS10_S11_EUlS10_E_NS1_11comp_targetILNS1_3genE9ELNS1_11target_archE1100ELNS1_3gpuE3ELNS1_3repE0EEENS1_30default_config_static_selectorELNS0_4arch9wavefront6targetE0EEEvT1_.kd
    .uniform_work_group_size: 1
    .uses_dynamic_stack: false
    .vgpr_count:     0
    .vgpr_spill_count: 0
    .wavefront_size: 32
  - .args:
      - .offset:         0
        .size:           112
        .value_kind:     by_value
    .group_segment_fixed_size: 0
    .kernarg_segment_align: 8
    .kernarg_segment_size: 112
    .language:       OpenCL C
    .language_version:
      - 2
      - 0
    .max_flat_workgroup_size: 256
    .name:           _ZN7rocprim17ROCPRIM_400000_NS6detail17trampoline_kernelINS0_14default_configENS1_27scan_by_key_config_selectorIiiEEZZNS1_16scan_by_key_implILNS1_25lookback_scan_determinismE0ELb0ES3_N6thrust23THRUST_200600_302600_NS18transform_iteratorI9which_rowNS9_17counting_iteratorIiNS9_11use_defaultESD_SD_EESD_SD_EENS9_6detail15normal_iteratorINS9_10device_ptrIiEEEESK_iNS9_4plusIvEENS9_8equal_toIvEEiEE10hipError_tPvRmT2_T3_T4_T5_mT6_T7_P12ihipStream_tbENKUlT_T0_E_clISt17integral_constantIbLb0EES14_IbLb1EEEEDaS10_S11_EUlS10_E_NS1_11comp_targetILNS1_3genE8ELNS1_11target_archE1030ELNS1_3gpuE2ELNS1_3repE0EEENS1_30default_config_static_selectorELNS0_4arch9wavefront6targetE0EEEvT1_
    .private_segment_fixed_size: 0
    .sgpr_count:     0
    .sgpr_spill_count: 0
    .symbol:         _ZN7rocprim17ROCPRIM_400000_NS6detail17trampoline_kernelINS0_14default_configENS1_27scan_by_key_config_selectorIiiEEZZNS1_16scan_by_key_implILNS1_25lookback_scan_determinismE0ELb0ES3_N6thrust23THRUST_200600_302600_NS18transform_iteratorI9which_rowNS9_17counting_iteratorIiNS9_11use_defaultESD_SD_EESD_SD_EENS9_6detail15normal_iteratorINS9_10device_ptrIiEEEESK_iNS9_4plusIvEENS9_8equal_toIvEEiEE10hipError_tPvRmT2_T3_T4_T5_mT6_T7_P12ihipStream_tbENKUlT_T0_E_clISt17integral_constantIbLb0EES14_IbLb1EEEEDaS10_S11_EUlS10_E_NS1_11comp_targetILNS1_3genE8ELNS1_11target_archE1030ELNS1_3gpuE2ELNS1_3repE0EEENS1_30default_config_static_selectorELNS0_4arch9wavefront6targetE0EEEvT1_.kd
    .uniform_work_group_size: 1
    .uses_dynamic_stack: false
    .vgpr_count:     0
    .vgpr_spill_count: 0
    .wavefront_size: 32
  - .args:
      - .offset:         0
        .size:           16
        .value_kind:     by_value
      - .offset:         16
        .size:           8
        .value_kind:     by_value
      - .offset:         24
        .size:           8
        .value_kind:     by_value
    .group_segment_fixed_size: 0
    .kernarg_segment_align: 8
    .kernarg_segment_size: 32
    .language:       OpenCL C
    .language_version:
      - 2
      - 0
    .max_flat_workgroup_size: 256
    .name:           _ZN6thrust23THRUST_200600_302600_NS11hip_rocprim14__parallel_for6kernelILj256ENS1_20__uninitialized_fill7functorINS0_10device_ptrIiEEiEEmLj1EEEvT0_T1_SA_
    .private_segment_fixed_size: 0
    .sgpr_count:     14
    .sgpr_spill_count: 0
    .symbol:         _ZN6thrust23THRUST_200600_302600_NS11hip_rocprim14__parallel_for6kernelILj256ENS1_20__uninitialized_fill7functorINS0_10device_ptrIiEEiEEmLj1EEEvT0_T1_SA_.kd
    .uniform_work_group_size: 1
    .uses_dynamic_stack: false
    .vgpr_count:     2
    .vgpr_spill_count: 0
    .wavefront_size: 32
  - .args:
      - .offset:         0
        .size:           16
        .value_kind:     by_value
      - .offset:         16
        .size:           8
        .value_kind:     by_value
      - .offset:         24
        .size:           8
        .value_kind:     by_value
    .group_segment_fixed_size: 0
    .kernarg_segment_align: 8
    .kernarg_segment_size: 32
    .language:       OpenCL C
    .language_version:
      - 2
      - 0
    .max_flat_workgroup_size: 256
    .name:           _ZN6thrust23THRUST_200600_302600_NS11hip_rocprim14__parallel_for6kernelILj256ENS1_10__tabulate7functorINS0_6detail15normal_iteratorINS0_10device_ptrIiEEEENS0_6system6detail7generic6detail22compute_sequence_valueIivEElEElLj1EEEvT0_T1_SJ_
    .private_segment_fixed_size: 0
    .sgpr_count:     14
    .sgpr_spill_count: 0
    .symbol:         _ZN6thrust23THRUST_200600_302600_NS11hip_rocprim14__parallel_for6kernelILj256ENS1_10__tabulate7functorINS0_6detail15normal_iteratorINS0_10device_ptrIiEEEENS0_6system6detail7generic6detail22compute_sequence_valueIivEElEElLj1EEEvT0_T1_SJ_.kd
    .uniform_work_group_size: 1
    .uses_dynamic_stack: false
    .vgpr_count:     4
    .vgpr_spill_count: 0
    .wavefront_size: 32
amdhsa.target:   amdgcn-amd-amdhsa--gfx1250
amdhsa.version:
  - 1
  - 2
...

	.end_amdgpu_metadata
